;; amdgpu-corpus repo=ROCm/AMDMIGraphX kind=compiled arch=gfx1201 opt=O3
	.text
	.amdgcn_target "amdgcn-amd-amdhsa--gfx1201"
	.amdhsa_code_object_version 6
	.p2align	2                               ; -- Begin function _ZNK8migraphx13basic_printerIZNS_4coutEvEUlT_E_ElsEPKc
	.type	_ZNK8migraphx13basic_printerIZNS_4coutEvEUlT_E_ElsEPKc,@function
_ZNK8migraphx13basic_printerIZNS_4coutEvEUlT_E_ElsEPKc: ; @_ZNK8migraphx13basic_printerIZNS_4coutEvEUlT_E_ElsEPKc
; %bb.0:
	s_wait_loadcnt_dscnt 0x0
	s_wait_expcnt 0x0
	s_wait_samplecnt 0x0
	s_wait_bvhcnt 0x0
	s_wait_kmcnt 0x0
	s_load_b64 s[2:3], s[8:9], 0x50
	v_mbcnt_lo_u32_b32 v35, -1, 0
	v_mov_b32_e32 v8, 0
	v_mov_b32_e32 v9, 0
	s_delay_alu instid0(VALU_DEP_3) | instskip(SKIP_1) | instid1(VALU_DEP_1)
	v_readfirstlane_b32 s0, v35
	s_wait_alu 0xf1ff
	v_cmp_eq_u32_e64 s0, s0, v35
	s_delay_alu instid0(VALU_DEP_1)
	s_and_saveexec_b32 s1, s0
	s_cbranch_execz .LBB0_6
; %bb.1:
	v_mov_b32_e32 v2, 0
	s_mov_b32 s4, exec_lo
	s_wait_kmcnt 0x0
	global_load_b64 v[5:6], v2, s[2:3] offset:24 scope:SCOPE_SYS
	s_wait_loadcnt 0x0
	global_inv scope:SCOPE_SYS
	s_clause 0x1
	global_load_b64 v[3:4], v2, s[2:3] offset:40
	global_load_b64 v[7:8], v2, s[2:3]
	s_wait_loadcnt 0x1
	v_and_b32_e32 v3, v3, v5
	v_and_b32_e32 v4, v4, v6
	s_delay_alu instid0(VALU_DEP_2) | instskip(NEXT) | instid1(VALU_DEP_2)
	v_mul_lo_u32 v9, 0, v3
	v_mul_lo_u32 v4, 24, v4
	v_mul_hi_u32 v10, 24, v3
	v_mul_lo_u32 v3, 24, v3
	s_delay_alu instid0(VALU_DEP_3) | instskip(SKIP_1) | instid1(VALU_DEP_2)
	v_add_nc_u32_e32 v4, v4, v9
	s_wait_loadcnt 0x0
	v_add_co_u32 v3, vcc_lo, v7, v3
	s_delay_alu instid0(VALU_DEP_2) | instskip(SKIP_1) | instid1(VALU_DEP_1)
	v_add_nc_u32_e32 v4, v4, v10
	s_wait_alu 0xfffd
	v_add_co_ci_u32_e32 v4, vcc_lo, v8, v4, vcc_lo
	global_load_b64 v[3:4], v[3:4], off scope:SCOPE_SYS
	s_wait_loadcnt 0x0
	global_atomic_cmpswap_b64 v[8:9], v2, v[3:6], s[2:3] offset:24 th:TH_ATOMIC_RETURN scope:SCOPE_SYS
	s_wait_loadcnt 0x0
	global_inv scope:SCOPE_SYS
	v_cmpx_ne_u64_e64 v[8:9], v[5:6]
	s_cbranch_execz .LBB0_5
; %bb.2:
	s_mov_b32 s5, 0
.LBB0_3:                                ; =>This Inner Loop Header: Depth=1
	s_sleep 1
	s_clause 0x1
	global_load_b64 v[3:4], v2, s[2:3] offset:40
	global_load_b64 v[10:11], v2, s[2:3]
	v_dual_mov_b32 v5, v8 :: v_dual_mov_b32 v6, v9
	s_wait_loadcnt 0x1
	s_delay_alu instid0(VALU_DEP_1) | instskip(NEXT) | instid1(VALU_DEP_2)
	v_and_b32_e32 v3, v3, v5
	v_and_b32_e32 v4, v4, v6
	s_wait_loadcnt 0x0
	s_delay_alu instid0(VALU_DEP_2) | instskip(NEXT) | instid1(VALU_DEP_1)
	v_mad_co_u64_u32 v[7:8], null, v3, 24, v[10:11]
	v_mov_b32_e32 v3, v8
	s_delay_alu instid0(VALU_DEP_1) | instskip(NEXT) | instid1(VALU_DEP_1)
	v_mad_co_u64_u32 v[3:4], null, v4, 24, v[3:4]
	v_mov_b32_e32 v8, v3
	global_load_b64 v[3:4], v[7:8], off scope:SCOPE_SYS
	s_wait_loadcnt 0x0
	global_atomic_cmpswap_b64 v[8:9], v2, v[3:6], s[2:3] offset:24 th:TH_ATOMIC_RETURN scope:SCOPE_SYS
	s_wait_loadcnt 0x0
	global_inv scope:SCOPE_SYS
	v_cmp_eq_u64_e32 vcc_lo, v[8:9], v[5:6]
	s_wait_alu 0xfffe
	s_or_b32 s5, vcc_lo, s5
	s_wait_alu 0xfffe
	s_and_not1_b32 exec_lo, exec_lo, s5
	s_cbranch_execnz .LBB0_3
; %bb.4:
	s_or_b32 exec_lo, exec_lo, s5
.LBB0_5:
	s_wait_alu 0xfffe
	s_or_b32 exec_lo, exec_lo, s4
.LBB0_6:
	s_wait_alu 0xfffe
	s_or_b32 exec_lo, exec_lo, s1
	v_readfirstlane_b32 s4, v8
	v_mov_b32_e32 v7, 0
	v_readfirstlane_b32 s1, v9
	s_mov_b32 s5, exec_lo
	s_wait_kmcnt 0x0
	s_clause 0x1
	global_load_b64 v[10:11], v7, s[2:3] offset:40
	global_load_b128 v[2:5], v7, s[2:3]
	s_wait_loadcnt 0x1
	s_wait_alu 0xf1ff
	v_and_b32_e32 v12, s4, v10
	v_and_b32_e32 v13, s1, v11
	s_delay_alu instid0(VALU_DEP_2) | instskip(NEXT) | instid1(VALU_DEP_2)
	v_mul_lo_u32 v8, 0, v12
	v_mul_lo_u32 v6, 24, v13
	v_mul_hi_u32 v9, 24, v12
	v_mul_lo_u32 v10, 24, v12
	s_delay_alu instid0(VALU_DEP_3) | instskip(SKIP_1) | instid1(VALU_DEP_2)
	v_add_nc_u32_e32 v6, v6, v8
	s_wait_loadcnt 0x0
	v_add_co_u32 v10, vcc_lo, v2, v10
	s_delay_alu instid0(VALU_DEP_2) | instskip(SKIP_1) | instid1(VALU_DEP_1)
	v_add_nc_u32_e32 v6, v6, v9
	s_wait_alu 0xfffd
	v_add_co_ci_u32_e32 v11, vcc_lo, v3, v6, vcc_lo
	s_and_saveexec_b32 s6, s0
	s_cbranch_execz .LBB0_8
; %bb.7:
	s_wait_alu 0xfffe
	v_dual_mov_b32 v6, s5 :: v_dual_mov_b32 v9, 1
	v_mov_b32_e32 v8, 2
	global_store_b128 v[10:11], v[6:9], off offset:8
.LBB0_8:
	s_wait_alu 0xfffe
	s_or_b32 exec_lo, exec_lo, s6
	v_lshlrev_b64_e32 v[12:13], 12, v[12:13]
	v_dual_mov_b32 v9, v7 :: v_dual_lshlrev_b32 v34, 6, v35
	s_mov_b32 s8, 0
	s_wait_alu 0xfffe
	s_mov_b32 s11, s8
	s_delay_alu instid0(VALU_DEP_2) | instskip(SKIP_3) | instid1(VALU_DEP_2)
	v_add_co_u32 v4, vcc_lo, v4, v12
	s_wait_alu 0xfffd
	v_add_co_ci_u32_e32 v5, vcc_lo, v5, v13, vcc_lo
	s_mov_b32 s9, s8
	v_add_co_u32 v12, vcc_lo, v4, v34
	s_mov_b32 s10, s8
	s_wait_alu 0xfffe
	v_dual_mov_b32 v6, 33 :: v_dual_mov_b32 v17, s11
	v_dual_mov_b32 v8, v7 :: v_dual_mov_b32 v15, s9
	v_readfirstlane_b32 s6, v4
	v_readfirstlane_b32 s7, v5
	s_wait_alu 0xfffd
	v_add_co_ci_u32_e32 v13, vcc_lo, 0, v5, vcc_lo
	v_mov_b32_e32 v16, s10
	v_mov_b32_e32 v14, s8
	s_clause 0x3
	global_store_b128 v34, v[6:9], s[6:7]
	global_store_b128 v34, v[14:17], s[6:7] offset:16
	global_store_b128 v34, v[14:17], s[6:7] offset:32
	;; [unrolled: 1-line block ×3, first 2 shown]
	s_and_saveexec_b32 s5, s0
	s_cbranch_execz .LBB0_16
; %bb.9:
	v_mov_b32_e32 v8, 0
	s_mov_b32 s6, exec_lo
	s_clause 0x1
	global_load_b64 v[16:17], v8, s[2:3] offset:32 scope:SCOPE_SYS
	global_load_b64 v[4:5], v8, s[2:3] offset:40
	v_dual_mov_b32 v15, s1 :: v_dual_mov_b32 v14, s4
	s_wait_loadcnt 0x0
	v_and_b32_e32 v5, s1, v5
	v_and_b32_e32 v4, s4, v4
	s_delay_alu instid0(VALU_DEP_2) | instskip(NEXT) | instid1(VALU_DEP_2)
	v_mul_lo_u32 v5, 24, v5
	v_mul_lo_u32 v6, 0, v4
	v_mul_hi_u32 v7, 24, v4
	v_mul_lo_u32 v4, 24, v4
	s_delay_alu instid0(VALU_DEP_3) | instskip(NEXT) | instid1(VALU_DEP_2)
	v_add_nc_u32_e32 v5, v5, v6
	v_add_co_u32 v6, vcc_lo, v2, v4
	s_delay_alu instid0(VALU_DEP_2) | instskip(SKIP_1) | instid1(VALU_DEP_1)
	v_add_nc_u32_e32 v5, v5, v7
	s_wait_alu 0xfffd
	v_add_co_ci_u32_e32 v7, vcc_lo, v3, v5, vcc_lo
	global_store_b64 v[6:7], v[16:17], off
	global_wb scope:SCOPE_SYS
	s_wait_storecnt 0x0
	global_atomic_cmpswap_b64 v[4:5], v8, v[14:17], s[2:3] offset:32 th:TH_ATOMIC_RETURN scope:SCOPE_SYS
	s_wait_loadcnt 0x0
	v_cmpx_ne_u64_e64 v[4:5], v[16:17]
	s_cbranch_execz .LBB0_12
; %bb.10:
	s_mov_b32 s7, 0
.LBB0_11:                               ; =>This Inner Loop Header: Depth=1
	v_dual_mov_b32 v2, s4 :: v_dual_mov_b32 v3, s1
	s_sleep 1
	global_store_b64 v[6:7], v[4:5], off
	global_wb scope:SCOPE_SYS
	s_wait_storecnt 0x0
	global_atomic_cmpswap_b64 v[2:3], v8, v[2:5], s[2:3] offset:32 th:TH_ATOMIC_RETURN scope:SCOPE_SYS
	s_wait_loadcnt 0x0
	v_cmp_eq_u64_e32 vcc_lo, v[2:3], v[4:5]
	v_dual_mov_b32 v5, v3 :: v_dual_mov_b32 v4, v2
	s_wait_alu 0xfffe
	s_or_b32 s7, vcc_lo, s7
	s_wait_alu 0xfffe
	s_and_not1_b32 exec_lo, exec_lo, s7
	s_cbranch_execnz .LBB0_11
.LBB0_12:
	s_wait_alu 0xfffe
	s_or_b32 exec_lo, exec_lo, s6
	v_mov_b32_e32 v5, 0
	s_mov_b32 s7, exec_lo
	s_mov_b32 s6, exec_lo
	s_wait_alu 0xfffe
	v_mbcnt_lo_u32_b32 v4, s7, 0
	global_load_b64 v[2:3], v5, s[2:3] offset:16
	v_cmpx_eq_u32_e32 0, v4
	s_cbranch_execz .LBB0_14
; %bb.13:
	s_bcnt1_i32_b32 s7, s7
	s_wait_alu 0xfffe
	v_mov_b32_e32 v4, s7
	global_wb scope:SCOPE_SYS
	s_wait_loadcnt 0x0
	global_atomic_add_u64 v[2:3], v[4:5], off offset:8 scope:SCOPE_SYS
.LBB0_14:
	s_or_b32 exec_lo, exec_lo, s6
	s_wait_loadcnt 0x0
	global_load_b64 v[4:5], v[2:3], off offset:16
	s_wait_loadcnt 0x0
	v_cmp_eq_u64_e32 vcc_lo, 0, v[4:5]
	s_cbranch_vccnz .LBB0_16
; %bb.15:
	global_load_b32 v2, v[2:3], off offset:24
	s_wait_loadcnt 0x0
	v_dual_mov_b32 v3, 0 :: v_dual_and_b32 v6, 0xffffff, v2
	global_wb scope:SCOPE_SYS
	s_wait_storecnt 0x0
	global_store_b64 v[4:5], v[2:3], off scope:SCOPE_SYS
	v_readfirstlane_b32 m0, v6
	s_sendmsg sendmsg(MSG_INTERRUPT)
.LBB0_16:
	s_wait_alu 0xfffe
	s_or_b32 exec_lo, exec_lo, s5
	s_branch .LBB0_20
.LBB0_17:                               ;   in Loop: Header=BB0_20 Depth=1
	s_wait_alu 0xfffe
	s_or_b32 exec_lo, exec_lo, s5
	s_delay_alu instid0(VALU_DEP_1) | instskip(NEXT) | instid1(VALU_DEP_1)
	v_readfirstlane_b32 s5, v2
	s_cmp_eq_u32 s5, 0
	s_cbranch_scc1 .LBB0_19
; %bb.18:                               ;   in Loop: Header=BB0_20 Depth=1
	s_sleep 1
	s_cbranch_execnz .LBB0_20
	s_branch .LBB0_22
.LBB0_19:
	s_branch .LBB0_22
.LBB0_20:                               ; =>This Inner Loop Header: Depth=1
	v_mov_b32_e32 v2, 1
	s_and_saveexec_b32 s5, s0
	s_cbranch_execz .LBB0_17
; %bb.21:                               ;   in Loop: Header=BB0_20 Depth=1
	global_load_b32 v2, v[10:11], off offset:20 scope:SCOPE_SYS
	s_wait_loadcnt 0x0
	global_inv scope:SCOPE_SYS
	v_and_b32_e32 v2, 1, v2
	s_branch .LBB0_17
.LBB0_22:
	global_load_b64 v[6:7], v[12:13], off
	s_and_saveexec_b32 s5, s0
	s_cbranch_execz .LBB0_26
; %bb.23:
	v_mov_b32_e32 v10, 0
	s_clause 0x2
	global_load_b64 v[4:5], v10, s[2:3] offset:40
	global_load_b64 v[11:12], v10, s[2:3] offset:24 scope:SCOPE_SYS
	global_load_b64 v[8:9], v10, s[2:3]
	s_wait_loadcnt 0x2
	v_add_co_u32 v13, vcc_lo, v4, 1
	s_wait_alu 0xfffd
	v_add_co_ci_u32_e32 v14, vcc_lo, 0, v5, vcc_lo
	s_delay_alu instid0(VALU_DEP_2) | instskip(SKIP_1) | instid1(VALU_DEP_2)
	v_add_co_u32 v2, vcc_lo, v13, s4
	s_wait_alu 0xfffd
	v_add_co_ci_u32_e32 v3, vcc_lo, s1, v14, vcc_lo
	s_delay_alu instid0(VALU_DEP_1) | instskip(SKIP_2) | instid1(VALU_DEP_1)
	v_cmp_eq_u64_e32 vcc_lo, 0, v[2:3]
	s_wait_alu 0xfffd
	v_dual_cndmask_b32 v3, v3, v14 :: v_dual_cndmask_b32 v2, v2, v13
	v_and_b32_e32 v5, v3, v5
	s_delay_alu instid0(VALU_DEP_2) | instskip(NEXT) | instid1(VALU_DEP_2)
	v_and_b32_e32 v4, v2, v4
	v_mul_lo_u32 v5, 24, v5
	s_delay_alu instid0(VALU_DEP_2) | instskip(SKIP_2) | instid1(VALU_DEP_3)
	v_mul_lo_u32 v13, 0, v4
	v_mul_hi_u32 v14, 24, v4
	v_mul_lo_u32 v4, 24, v4
	v_add_nc_u32_e32 v5, v5, v13
	s_wait_loadcnt 0x0
	s_delay_alu instid0(VALU_DEP_2) | instskip(NEXT) | instid1(VALU_DEP_2)
	v_add_co_u32 v8, vcc_lo, v8, v4
	v_dual_mov_b32 v4, v11 :: v_dual_add_nc_u32 v5, v5, v14
	s_wait_alu 0xfffd
	s_delay_alu instid0(VALU_DEP_1)
	v_add_co_ci_u32_e32 v9, vcc_lo, v9, v5, vcc_lo
	v_mov_b32_e32 v5, v12
	global_store_b64 v[8:9], v[11:12], off
	global_wb scope:SCOPE_SYS
	s_wait_storecnt 0x0
	global_atomic_cmpswap_b64 v[4:5], v10, v[2:5], s[2:3] offset:24 th:TH_ATOMIC_RETURN scope:SCOPE_SYS
	s_wait_loadcnt 0x0
	v_cmp_ne_u64_e32 vcc_lo, v[4:5], v[11:12]
	s_and_b32 exec_lo, exec_lo, vcc_lo
	s_cbranch_execz .LBB0_26
; %bb.24:
	s_mov_b32 s0, 0
.LBB0_25:                               ; =>This Inner Loop Header: Depth=1
	s_sleep 1
	global_store_b64 v[8:9], v[4:5], off
	global_wb scope:SCOPE_SYS
	s_wait_storecnt 0x0
	global_atomic_cmpswap_b64 v[11:12], v10, v[2:5], s[2:3] offset:24 th:TH_ATOMIC_RETURN scope:SCOPE_SYS
	s_wait_loadcnt 0x0
	v_cmp_eq_u64_e32 vcc_lo, v[11:12], v[4:5]
	v_dual_mov_b32 v4, v11 :: v_dual_mov_b32 v5, v12
	s_wait_alu 0xfffe
	s_or_b32 s0, vcc_lo, s0
	s_wait_alu 0xfffe
	s_and_not1_b32 exec_lo, exec_lo, s0
	s_cbranch_execnz .LBB0_25
.LBB0_26:
	s_wait_alu 0xfffe
	s_or_b32 exec_lo, exec_lo, s5
	s_getpc_b64 s[4:5]
	s_wait_alu 0xfffe
	s_sext_i32_i16 s5, s5
	s_add_co_u32 s4, s4, .str.7@rel32@lo+12
	s_wait_alu 0xfffe
	s_add_co_ci_u32 s5, s5, .str.7@rel32@hi+24
	s_wait_alu 0xfffe
	s_cmp_lg_u64 s[4:5], 0
	s_cbranch_scc0 .LBB0_105
; %bb.27:
	s_wait_loadcnt 0x0
	v_dual_mov_b32 v9, 0 :: v_dual_and_b32 v32, 2, v6
	v_dual_mov_b32 v3, v7 :: v_dual_and_b32 v2, -3, v6
	v_dual_mov_b32 v10, 2 :: v_dual_mov_b32 v11, 1
	s_mov_b64 s[6:7], 3
	s_branch .LBB0_29
.LBB0_28:                               ;   in Loop: Header=BB0_29 Depth=1
	s_wait_alu 0xfffe
	s_or_b32 exec_lo, exec_lo, s11
	s_sub_nc_u64 s[6:7], s[6:7], s[8:9]
	s_add_nc_u64 s[4:5], s[4:5], s[8:9]
	s_wait_alu 0xfffe
	s_cmp_lg_u64 s[6:7], 0
	s_cbranch_scc0 .LBB0_104
.LBB0_29:                               ; =>This Loop Header: Depth=1
                                        ;     Child Loop BB0_38 Depth 2
                                        ;     Child Loop BB0_34 Depth 2
	;; [unrolled: 1-line block ×11, first 2 shown]
	s_wait_alu 0xfffe
	v_cmp_lt_u64_e64 s0, s[6:7], 56
	v_cmp_gt_u64_e64 s1, s[6:7], 7
                                        ; implicit-def: $vgpr4_vgpr5
                                        ; implicit-def: $sgpr14
	s_delay_alu instid0(VALU_DEP_2) | instskip(SKIP_2) | instid1(VALU_DEP_1)
	s_and_b32 s0, s0, exec_lo
	s_cselect_b32 s9, s7, 0
	s_cselect_b32 s8, s6, 56
	s_and_b32 vcc_lo, exec_lo, s1
	s_mov_b32 s0, -1
	s_wait_alu 0xfffe
	s_cbranch_vccz .LBB0_36
; %bb.30:                               ;   in Loop: Header=BB0_29 Depth=1
	s_and_not1_b32 vcc_lo, exec_lo, s0
	s_mov_b64 s[0:1], s[4:5]
	s_wait_alu 0xfffe
	s_cbranch_vccz .LBB0_40
.LBB0_31:                               ;   in Loop: Header=BB0_29 Depth=1
	s_wait_alu 0xfffe
	s_cmp_gt_u32 s14, 7
	s_cbranch_scc1 .LBB0_41
.LBB0_32:                               ;   in Loop: Header=BB0_29 Depth=1
	v_mov_b32_e32 v12, 0
	v_mov_b32_e32 v13, 0
	s_cmp_eq_u32 s14, 0
	s_cbranch_scc1 .LBB0_35
; %bb.33:                               ;   in Loop: Header=BB0_29 Depth=1
	s_mov_b64 s[10:11], 0
	s_mov_b64 s[12:13], 0
.LBB0_34:                               ;   Parent Loop BB0_29 Depth=1
                                        ; =>  This Inner Loop Header: Depth=2
	s_wait_alu 0xfffe
	s_add_nc_u64 s[16:17], s[0:1], s[12:13]
	s_add_nc_u64 s[12:13], s[12:13], 1
	global_load_u8 v8, v9, s[16:17]
	s_wait_alu 0xfffe
	s_cmp_lg_u32 s14, s12
	s_wait_loadcnt 0x0
	v_and_b32_e32 v8, 0xffff, v8
	s_delay_alu instid0(VALU_DEP_1) | instskip(SKIP_1) | instid1(VALU_DEP_1)
	v_lshlrev_b64_e32 v[14:15], s10, v[8:9]
	s_add_nc_u64 s[10:11], s[10:11], 8
	v_or_b32_e32 v12, v14, v12
	s_delay_alu instid0(VALU_DEP_2)
	v_or_b32_e32 v13, v15, v13
	s_cbranch_scc1 .LBB0_34
.LBB0_35:                               ;   in Loop: Header=BB0_29 Depth=1
	s_mov_b32 s15, 0
	s_cbranch_execz .LBB0_42
	s_branch .LBB0_43
.LBB0_36:                               ;   in Loop: Header=BB0_29 Depth=1
	s_wait_loadcnt 0x0
	v_mov_b32_e32 v4, 0
	v_mov_b32_e32 v5, 0
	s_cmp_eq_u64 s[6:7], 0
	s_mov_b64 s[0:1], 0
	s_cbranch_scc1 .LBB0_39
; %bb.37:                               ;   in Loop: Header=BB0_29 Depth=1
	v_mov_b32_e32 v4, 0
	v_mov_b32_e32 v5, 0
	s_mov_b64 s[10:11], 0
.LBB0_38:                               ;   Parent Loop BB0_29 Depth=1
                                        ; =>  This Inner Loop Header: Depth=2
	s_wait_alu 0xfffe
	s_add_nc_u64 s[12:13], s[4:5], s[10:11]
	s_add_nc_u64 s[10:11], s[10:11], 1
	global_load_u8 v8, v9, s[12:13]
	s_wait_alu 0xfffe
	s_cmp_lg_u32 s8, s10
	s_wait_loadcnt 0x0
	v_and_b32_e32 v8, 0xffff, v8
	s_delay_alu instid0(VALU_DEP_1) | instskip(SKIP_1) | instid1(VALU_DEP_1)
	v_lshlrev_b64_e32 v[12:13], s0, v[8:9]
	s_add_nc_u64 s[0:1], s[0:1], 8
	v_or_b32_e32 v4, v12, v4
	s_delay_alu instid0(VALU_DEP_2)
	v_or_b32_e32 v5, v13, v5
	s_cbranch_scc1 .LBB0_38
.LBB0_39:                               ;   in Loop: Header=BB0_29 Depth=1
	s_mov_b32 s14, 0
	s_mov_b64 s[0:1], s[4:5]
	s_cbranch_execnz .LBB0_31
.LBB0_40:                               ;   in Loop: Header=BB0_29 Depth=1
	global_load_b64 v[4:5], v9, s[4:5]
	s_add_co_i32 s14, s8, -8
	s_add_nc_u64 s[0:1], s[4:5], 8
	s_wait_alu 0xfffe
	s_cmp_gt_u32 s14, 7
	s_cbranch_scc0 .LBB0_32
.LBB0_41:                               ;   in Loop: Header=BB0_29 Depth=1
                                        ; implicit-def: $vgpr12_vgpr13
                                        ; implicit-def: $sgpr15
.LBB0_42:                               ;   in Loop: Header=BB0_29 Depth=1
	global_load_b64 v[12:13], v9, s[0:1]
	s_add_co_i32 s15, s14, -8
	s_add_nc_u64 s[0:1], s[0:1], 8
.LBB0_43:                               ;   in Loop: Header=BB0_29 Depth=1
	s_wait_alu 0xfffe
	s_cmp_gt_u32 s15, 7
	s_cbranch_scc1 .LBB0_48
; %bb.44:                               ;   in Loop: Header=BB0_29 Depth=1
	v_mov_b32_e32 v14, 0
	v_mov_b32_e32 v15, 0
	s_cmp_eq_u32 s15, 0
	s_cbranch_scc1 .LBB0_47
; %bb.45:                               ;   in Loop: Header=BB0_29 Depth=1
	s_mov_b64 s[10:11], 0
	s_mov_b64 s[12:13], 0
.LBB0_46:                               ;   Parent Loop BB0_29 Depth=1
                                        ; =>  This Inner Loop Header: Depth=2
	s_wait_alu 0xfffe
	s_add_nc_u64 s[16:17], s[0:1], s[12:13]
	s_add_nc_u64 s[12:13], s[12:13], 1
	global_load_u8 v8, v9, s[16:17]
	s_wait_alu 0xfffe
	s_cmp_lg_u32 s15, s12
	s_wait_loadcnt 0x0
	v_and_b32_e32 v8, 0xffff, v8
	s_delay_alu instid0(VALU_DEP_1) | instskip(SKIP_1) | instid1(VALU_DEP_1)
	v_lshlrev_b64_e32 v[16:17], s10, v[8:9]
	s_add_nc_u64 s[10:11], s[10:11], 8
	v_or_b32_e32 v14, v16, v14
	s_delay_alu instid0(VALU_DEP_2)
	v_or_b32_e32 v15, v17, v15
	s_cbranch_scc1 .LBB0_46
.LBB0_47:                               ;   in Loop: Header=BB0_29 Depth=1
	s_mov_b32 s14, 0
	s_cbranch_execz .LBB0_49
	s_branch .LBB0_50
.LBB0_48:                               ;   in Loop: Header=BB0_29 Depth=1
                                        ; implicit-def: $sgpr14
.LBB0_49:                               ;   in Loop: Header=BB0_29 Depth=1
	global_load_b64 v[14:15], v9, s[0:1]
	s_add_co_i32 s14, s15, -8
	s_add_nc_u64 s[0:1], s[0:1], 8
.LBB0_50:                               ;   in Loop: Header=BB0_29 Depth=1
	s_wait_alu 0xfffe
	s_cmp_gt_u32 s14, 7
	s_cbranch_scc1 .LBB0_55
; %bb.51:                               ;   in Loop: Header=BB0_29 Depth=1
	v_mov_b32_e32 v16, 0
	v_mov_b32_e32 v17, 0
	s_cmp_eq_u32 s14, 0
	s_cbranch_scc1 .LBB0_54
; %bb.52:                               ;   in Loop: Header=BB0_29 Depth=1
	s_mov_b64 s[10:11], 0
	s_mov_b64 s[12:13], 0
.LBB0_53:                               ;   Parent Loop BB0_29 Depth=1
                                        ; =>  This Inner Loop Header: Depth=2
	s_wait_alu 0xfffe
	s_add_nc_u64 s[16:17], s[0:1], s[12:13]
	s_add_nc_u64 s[12:13], s[12:13], 1
	global_load_u8 v8, v9, s[16:17]
	s_wait_alu 0xfffe
	s_cmp_lg_u32 s14, s12
	s_wait_loadcnt 0x0
	v_and_b32_e32 v8, 0xffff, v8
	s_delay_alu instid0(VALU_DEP_1) | instskip(SKIP_1) | instid1(VALU_DEP_1)
	v_lshlrev_b64_e32 v[18:19], s10, v[8:9]
	s_add_nc_u64 s[10:11], s[10:11], 8
	v_or_b32_e32 v16, v18, v16
	s_delay_alu instid0(VALU_DEP_2)
	v_or_b32_e32 v17, v19, v17
	s_cbranch_scc1 .LBB0_53
.LBB0_54:                               ;   in Loop: Header=BB0_29 Depth=1
	s_mov_b32 s15, 0
	s_cbranch_execz .LBB0_56
	s_branch .LBB0_57
.LBB0_55:                               ;   in Loop: Header=BB0_29 Depth=1
                                        ; implicit-def: $vgpr16_vgpr17
                                        ; implicit-def: $sgpr15
.LBB0_56:                               ;   in Loop: Header=BB0_29 Depth=1
	global_load_b64 v[16:17], v9, s[0:1]
	s_add_co_i32 s15, s14, -8
	s_add_nc_u64 s[0:1], s[0:1], 8
.LBB0_57:                               ;   in Loop: Header=BB0_29 Depth=1
	s_wait_alu 0xfffe
	s_cmp_gt_u32 s15, 7
	s_cbranch_scc1 .LBB0_62
; %bb.58:                               ;   in Loop: Header=BB0_29 Depth=1
	v_mov_b32_e32 v18, 0
	v_mov_b32_e32 v19, 0
	s_cmp_eq_u32 s15, 0
	s_cbranch_scc1 .LBB0_61
; %bb.59:                               ;   in Loop: Header=BB0_29 Depth=1
	s_mov_b64 s[10:11], 0
	s_mov_b64 s[12:13], 0
.LBB0_60:                               ;   Parent Loop BB0_29 Depth=1
                                        ; =>  This Inner Loop Header: Depth=2
	s_wait_alu 0xfffe
	s_add_nc_u64 s[16:17], s[0:1], s[12:13]
	s_add_nc_u64 s[12:13], s[12:13], 1
	global_load_u8 v8, v9, s[16:17]
	s_wait_alu 0xfffe
	s_cmp_lg_u32 s15, s12
	s_wait_loadcnt 0x0
	v_and_b32_e32 v8, 0xffff, v8
	s_delay_alu instid0(VALU_DEP_1) | instskip(SKIP_1) | instid1(VALU_DEP_1)
	v_lshlrev_b64_e32 v[20:21], s10, v[8:9]
	s_add_nc_u64 s[10:11], s[10:11], 8
	v_or_b32_e32 v18, v20, v18
	s_delay_alu instid0(VALU_DEP_2)
	v_or_b32_e32 v19, v21, v19
	s_cbranch_scc1 .LBB0_60
.LBB0_61:                               ;   in Loop: Header=BB0_29 Depth=1
	s_mov_b32 s14, 0
	s_cbranch_execz .LBB0_63
	s_branch .LBB0_64
.LBB0_62:                               ;   in Loop: Header=BB0_29 Depth=1
                                        ; implicit-def: $sgpr14
.LBB0_63:                               ;   in Loop: Header=BB0_29 Depth=1
	global_load_b64 v[18:19], v9, s[0:1]
	s_add_co_i32 s14, s15, -8
	s_add_nc_u64 s[0:1], s[0:1], 8
.LBB0_64:                               ;   in Loop: Header=BB0_29 Depth=1
	s_wait_alu 0xfffe
	s_cmp_gt_u32 s14, 7
	s_cbranch_scc1 .LBB0_69
; %bb.65:                               ;   in Loop: Header=BB0_29 Depth=1
	v_mov_b32_e32 v20, 0
	v_mov_b32_e32 v21, 0
	s_cmp_eq_u32 s14, 0
	s_cbranch_scc1 .LBB0_68
; %bb.66:                               ;   in Loop: Header=BB0_29 Depth=1
	s_mov_b64 s[10:11], 0
	s_mov_b64 s[12:13], 0
.LBB0_67:                               ;   Parent Loop BB0_29 Depth=1
                                        ; =>  This Inner Loop Header: Depth=2
	s_wait_alu 0xfffe
	s_add_nc_u64 s[16:17], s[0:1], s[12:13]
	s_add_nc_u64 s[12:13], s[12:13], 1
	global_load_u8 v8, v9, s[16:17]
	s_wait_alu 0xfffe
	s_cmp_lg_u32 s14, s12
	s_wait_loadcnt 0x0
	v_and_b32_e32 v8, 0xffff, v8
	s_delay_alu instid0(VALU_DEP_1) | instskip(SKIP_1) | instid1(VALU_DEP_1)
	v_lshlrev_b64_e32 v[22:23], s10, v[8:9]
	s_add_nc_u64 s[10:11], s[10:11], 8
	v_or_b32_e32 v20, v22, v20
	s_delay_alu instid0(VALU_DEP_2)
	v_or_b32_e32 v21, v23, v21
	s_cbranch_scc1 .LBB0_67
.LBB0_68:                               ;   in Loop: Header=BB0_29 Depth=1
	s_mov_b32 s15, 0
	s_cbranch_execz .LBB0_70
	s_branch .LBB0_71
.LBB0_69:                               ;   in Loop: Header=BB0_29 Depth=1
                                        ; implicit-def: $vgpr20_vgpr21
                                        ; implicit-def: $sgpr15
.LBB0_70:                               ;   in Loop: Header=BB0_29 Depth=1
	global_load_b64 v[20:21], v9, s[0:1]
	s_add_co_i32 s15, s14, -8
	s_add_nc_u64 s[0:1], s[0:1], 8
.LBB0_71:                               ;   in Loop: Header=BB0_29 Depth=1
	s_wait_alu 0xfffe
	s_cmp_gt_u32 s15, 7
	s_cbranch_scc1 .LBB0_76
; %bb.72:                               ;   in Loop: Header=BB0_29 Depth=1
	v_mov_b32_e32 v22, 0
	v_mov_b32_e32 v23, 0
	s_cmp_eq_u32 s15, 0
	s_cbranch_scc1 .LBB0_75
; %bb.73:                               ;   in Loop: Header=BB0_29 Depth=1
	s_mov_b64 s[10:11], 0
	s_mov_b64 s[12:13], s[0:1]
.LBB0_74:                               ;   Parent Loop BB0_29 Depth=1
                                        ; =>  This Inner Loop Header: Depth=2
	global_load_u8 v8, v9, s[12:13]
	s_add_co_i32 s15, s15, -1
	s_wait_alu 0xfffe
	s_add_nc_u64 s[12:13], s[12:13], 1
	s_cmp_lg_u32 s15, 0
	s_wait_loadcnt 0x0
	v_and_b32_e32 v8, 0xffff, v8
	s_delay_alu instid0(VALU_DEP_1) | instskip(SKIP_1) | instid1(VALU_DEP_1)
	v_lshlrev_b64_e32 v[24:25], s10, v[8:9]
	s_add_nc_u64 s[10:11], s[10:11], 8
	v_or_b32_e32 v22, v24, v22
	s_delay_alu instid0(VALU_DEP_2)
	v_or_b32_e32 v23, v25, v23
	s_cbranch_scc1 .LBB0_74
.LBB0_75:                               ;   in Loop: Header=BB0_29 Depth=1
	s_cbranch_execz .LBB0_77
	s_branch .LBB0_78
.LBB0_76:                               ;   in Loop: Header=BB0_29 Depth=1
.LBB0_77:                               ;   in Loop: Header=BB0_29 Depth=1
	global_load_b64 v[22:23], v9, s[0:1]
.LBB0_78:                               ;   in Loop: Header=BB0_29 Depth=1
	v_readfirstlane_b32 s0, v35
	v_mov_b32_e32 v28, 0
	v_mov_b32_e32 v29, 0
	s_wait_alu 0xf1ff
	s_delay_alu instid0(VALU_DEP_3) | instskip(NEXT) | instid1(VALU_DEP_1)
	v_cmp_eq_u32_e64 s0, s0, v35
	s_and_saveexec_b32 s1, s0
	s_cbranch_execz .LBB0_84
; %bb.79:                               ;   in Loop: Header=BB0_29 Depth=1
	global_load_b64 v[26:27], v9, s[2:3] offset:24 scope:SCOPE_SYS
	s_wait_loadcnt 0x0
	global_inv scope:SCOPE_SYS
	s_clause 0x1
	global_load_b64 v[24:25], v9, s[2:3] offset:40
	global_load_b64 v[28:29], v9, s[2:3]
	s_mov_b32 s10, exec_lo
	s_wait_loadcnt 0x1
	v_and_b32_e32 v8, v25, v27
	v_and_b32_e32 v24, v24, v26
	s_delay_alu instid0(VALU_DEP_2) | instskip(NEXT) | instid1(VALU_DEP_2)
	v_mul_lo_u32 v8, 24, v8
	v_mul_lo_u32 v25, 0, v24
	v_mul_hi_u32 v30, 24, v24
	v_mul_lo_u32 v24, 24, v24
	s_delay_alu instid0(VALU_DEP_3) | instskip(SKIP_1) | instid1(VALU_DEP_2)
	v_add_nc_u32_e32 v8, v8, v25
	s_wait_loadcnt 0x0
	v_add_co_u32 v24, vcc_lo, v28, v24
	s_delay_alu instid0(VALU_DEP_2) | instskip(SKIP_1) | instid1(VALU_DEP_1)
	v_add_nc_u32_e32 v8, v8, v30
	s_wait_alu 0xfffd
	v_add_co_ci_u32_e32 v25, vcc_lo, v29, v8, vcc_lo
	global_load_b64 v[24:25], v[24:25], off scope:SCOPE_SYS
	s_wait_loadcnt 0x0
	global_atomic_cmpswap_b64 v[28:29], v9, v[24:27], s[2:3] offset:24 th:TH_ATOMIC_RETURN scope:SCOPE_SYS
	s_wait_loadcnt 0x0
	global_inv scope:SCOPE_SYS
	v_cmpx_ne_u64_e64 v[28:29], v[26:27]
	s_cbranch_execz .LBB0_83
; %bb.80:                               ;   in Loop: Header=BB0_29 Depth=1
	s_mov_b32 s11, 0
.LBB0_81:                               ;   Parent Loop BB0_29 Depth=1
                                        ; =>  This Inner Loop Header: Depth=2
	s_sleep 1
	s_clause 0x1
	global_load_b64 v[24:25], v9, s[2:3] offset:40
	global_load_b64 v[30:31], v9, s[2:3]
	v_dual_mov_b32 v26, v28 :: v_dual_mov_b32 v27, v29
	s_wait_loadcnt 0x1
	s_delay_alu instid0(VALU_DEP_1) | instskip(NEXT) | instid1(VALU_DEP_2)
	v_and_b32_e32 v8, v24, v26
	v_and_b32_e32 v24, v25, v27
	s_wait_loadcnt 0x0
	s_delay_alu instid0(VALU_DEP_2) | instskip(NEXT) | instid1(VALU_DEP_1)
	v_mad_co_u64_u32 v[28:29], null, v8, 24, v[30:31]
	v_mov_b32_e32 v8, v29
	s_delay_alu instid0(VALU_DEP_1) | instskip(NEXT) | instid1(VALU_DEP_1)
	v_mad_co_u64_u32 v[24:25], null, v24, 24, v[8:9]
	v_mov_b32_e32 v29, v24
	global_load_b64 v[24:25], v[28:29], off scope:SCOPE_SYS
	s_wait_loadcnt 0x0
	global_atomic_cmpswap_b64 v[28:29], v9, v[24:27], s[2:3] offset:24 th:TH_ATOMIC_RETURN scope:SCOPE_SYS
	s_wait_loadcnt 0x0
	global_inv scope:SCOPE_SYS
	v_cmp_eq_u64_e32 vcc_lo, v[28:29], v[26:27]
	s_wait_alu 0xfffe
	s_or_b32 s11, vcc_lo, s11
	s_wait_alu 0xfffe
	s_and_not1_b32 exec_lo, exec_lo, s11
	s_cbranch_execnz .LBB0_81
; %bb.82:                               ;   in Loop: Header=BB0_29 Depth=1
	s_or_b32 exec_lo, exec_lo, s11
.LBB0_83:                               ;   in Loop: Header=BB0_29 Depth=1
	s_wait_alu 0xfffe
	s_or_b32 exec_lo, exec_lo, s10
.LBB0_84:                               ;   in Loop: Header=BB0_29 Depth=1
	s_wait_alu 0xfffe
	s_or_b32 exec_lo, exec_lo, s1
	s_clause 0x1
	global_load_b64 v[30:31], v9, s[2:3] offset:40
	global_load_b128 v[24:27], v9, s[2:3]
	v_readfirstlane_b32 s1, v29
	v_readfirstlane_b32 s10, v28
	s_mov_b32 s11, exec_lo
	s_wait_loadcnt 0x1
	s_wait_alu 0xf1ff
	v_and_b32_e32 v31, s1, v31
	v_and_b32_e32 v30, s10, v30
	s_delay_alu instid0(VALU_DEP_2) | instskip(NEXT) | instid1(VALU_DEP_2)
	v_mul_lo_u32 v8, 24, v31
	v_mul_lo_u32 v28, 0, v30
	v_mul_hi_u32 v29, 24, v30
	v_mul_lo_u32 v33, 24, v30
	s_delay_alu instid0(VALU_DEP_3) | instskip(SKIP_1) | instid1(VALU_DEP_2)
	v_add_nc_u32_e32 v8, v8, v28
	s_wait_loadcnt 0x0
	v_add_co_u32 v28, vcc_lo, v24, v33
	s_delay_alu instid0(VALU_DEP_2) | instskip(SKIP_1) | instid1(VALU_DEP_1)
	v_add_nc_u32_e32 v8, v8, v29
	s_wait_alu 0xfffd
	v_add_co_ci_u32_e32 v29, vcc_lo, v25, v8, vcc_lo
	s_and_saveexec_b32 s12, s0
	s_cbranch_execz .LBB0_86
; %bb.85:                               ;   in Loop: Header=BB0_29 Depth=1
	s_wait_alu 0xfffe
	v_mov_b32_e32 v8, s11
	global_store_b128 v[28:29], v[8:11], off offset:8
.LBB0_86:                               ;   in Loop: Header=BB0_29 Depth=1
	s_wait_alu 0xfffe
	s_or_b32 exec_lo, exec_lo, s12
	v_cmp_gt_u64_e64 vcc_lo, s[6:7], 56
	v_lshlrev_b64_e32 v[30:31], 12, v[30:31]
	v_or_b32_e32 v8, 0, v3
	v_or_b32_e32 v33, v2, v32
	s_lshl_b32 s11, s8, 2
	s_wait_alu 0xfffe
	s_add_co_i32 s11, s11, 28
	s_wait_alu 0xfffd
	v_dual_cndmask_b32 v3, v8, v3 :: v_dual_cndmask_b32 v2, v33, v2
	v_add_co_u32 v26, vcc_lo, v26, v30
	s_wait_alu 0xfffd
	v_add_co_ci_u32_e32 v27, vcc_lo, v27, v31, vcc_lo
	s_wait_alu 0xfffe
	s_and_b32 s11, s11, 0x1e0
	v_readfirstlane_b32 s12, v26
	s_wait_alu 0xfffe
	v_and_or_b32 v2, 0xffffff1f, v2, s11
	v_readfirstlane_b32 s13, v27
	s_clause 0x3
	global_store_b128 v34, v[2:5], s[12:13]
	global_store_b128 v34, v[12:15], s[12:13] offset:16
	global_store_b128 v34, v[16:19], s[12:13] offset:32
	;; [unrolled: 1-line block ×3, first 2 shown]
	s_and_saveexec_b32 s11, s0
	s_cbranch_execz .LBB0_94
; %bb.87:                               ;   in Loop: Header=BB0_29 Depth=1
	s_clause 0x1
	global_load_b64 v[16:17], v9, s[2:3] offset:32 scope:SCOPE_SYS
	global_load_b64 v[2:3], v9, s[2:3] offset:40
	s_mov_b32 s12, exec_lo
	v_dual_mov_b32 v14, s10 :: v_dual_mov_b32 v15, s1
	s_wait_loadcnt 0x0
	v_and_b32_e32 v3, s1, v3
	v_and_b32_e32 v2, s10, v2
	s_delay_alu instid0(VALU_DEP_2) | instskip(NEXT) | instid1(VALU_DEP_2)
	v_mul_lo_u32 v3, 24, v3
	v_mul_lo_u32 v4, 0, v2
	v_mul_hi_u32 v5, 24, v2
	v_mul_lo_u32 v2, 24, v2
	s_delay_alu instid0(VALU_DEP_3) | instskip(NEXT) | instid1(VALU_DEP_2)
	v_add_nc_u32_e32 v3, v3, v4
	v_add_co_u32 v12, vcc_lo, v24, v2
	s_delay_alu instid0(VALU_DEP_2) | instskip(SKIP_1) | instid1(VALU_DEP_1)
	v_add_nc_u32_e32 v3, v3, v5
	s_wait_alu 0xfffd
	v_add_co_ci_u32_e32 v13, vcc_lo, v25, v3, vcc_lo
	global_store_b64 v[12:13], v[16:17], off
	global_wb scope:SCOPE_SYS
	s_wait_storecnt 0x0
	global_atomic_cmpswap_b64 v[4:5], v9, v[14:17], s[2:3] offset:32 th:TH_ATOMIC_RETURN scope:SCOPE_SYS
	s_wait_loadcnt 0x0
	v_cmpx_ne_u64_e64 v[4:5], v[16:17]
	s_cbranch_execz .LBB0_90
; %bb.88:                               ;   in Loop: Header=BB0_29 Depth=1
	s_mov_b32 s13, 0
.LBB0_89:                               ;   Parent Loop BB0_29 Depth=1
                                        ; =>  This Inner Loop Header: Depth=2
	v_dual_mov_b32 v2, s10 :: v_dual_mov_b32 v3, s1
	s_sleep 1
	global_store_b64 v[12:13], v[4:5], off
	global_wb scope:SCOPE_SYS
	s_wait_storecnt 0x0
	global_atomic_cmpswap_b64 v[2:3], v9, v[2:5], s[2:3] offset:32 th:TH_ATOMIC_RETURN scope:SCOPE_SYS
	s_wait_loadcnt 0x0
	v_cmp_eq_u64_e32 vcc_lo, v[2:3], v[4:5]
	v_dual_mov_b32 v5, v3 :: v_dual_mov_b32 v4, v2
	s_wait_alu 0xfffe
	s_or_b32 s13, vcc_lo, s13
	s_wait_alu 0xfffe
	s_and_not1_b32 exec_lo, exec_lo, s13
	s_cbranch_execnz .LBB0_89
.LBB0_90:                               ;   in Loop: Header=BB0_29 Depth=1
	s_wait_alu 0xfffe
	s_or_b32 exec_lo, exec_lo, s12
	global_load_b64 v[2:3], v9, s[2:3] offset:16
	s_mov_b32 s13, exec_lo
	s_mov_b32 s12, exec_lo
	s_wait_alu 0xfffe
	v_mbcnt_lo_u32_b32 v4, s13, 0
	s_delay_alu instid0(VALU_DEP_1)
	v_cmpx_eq_u32_e32 0, v4
	s_cbranch_execz .LBB0_92
; %bb.91:                               ;   in Loop: Header=BB0_29 Depth=1
	s_bcnt1_i32_b32 s13, s13
	s_wait_alu 0xfffe
	v_mov_b32_e32 v8, s13
	global_wb scope:SCOPE_SYS
	s_wait_loadcnt 0x0
	global_atomic_add_u64 v[2:3], v[8:9], off offset:8 scope:SCOPE_SYS
.LBB0_92:                               ;   in Loop: Header=BB0_29 Depth=1
	s_or_b32 exec_lo, exec_lo, s12
	s_wait_loadcnt 0x0
	global_load_b64 v[4:5], v[2:3], off offset:16
	s_wait_loadcnt 0x0
	v_cmp_eq_u64_e32 vcc_lo, 0, v[4:5]
	s_cbranch_vccnz .LBB0_94
; %bb.93:                               ;   in Loop: Header=BB0_29 Depth=1
	global_load_b32 v8, v[2:3], off offset:24
	s_wait_loadcnt 0x0
	v_and_b32_e32 v2, 0xffffff, v8
	global_wb scope:SCOPE_SYS
	s_wait_storecnt 0x0
	global_store_b64 v[4:5], v[8:9], off scope:SCOPE_SYS
	v_readfirstlane_b32 m0, v2
	s_sendmsg sendmsg(MSG_INTERRUPT)
.LBB0_94:                               ;   in Loop: Header=BB0_29 Depth=1
	s_wait_alu 0xfffe
	s_or_b32 exec_lo, exec_lo, s11
	v_add_co_u32 v2, vcc_lo, v26, v34
	s_wait_alu 0xfffd
	v_add_co_ci_u32_e32 v3, vcc_lo, 0, v27, vcc_lo
	s_branch .LBB0_98
.LBB0_95:                               ;   in Loop: Header=BB0_98 Depth=2
	s_wait_alu 0xfffe
	s_or_b32 exec_lo, exec_lo, s11
	s_delay_alu instid0(VALU_DEP_1) | instskip(NEXT) | instid1(VALU_DEP_1)
	v_readfirstlane_b32 s11, v4
	s_cmp_eq_u32 s11, 0
	s_cbranch_scc1 .LBB0_97
; %bb.96:                               ;   in Loop: Header=BB0_98 Depth=2
	s_sleep 1
	s_cbranch_execnz .LBB0_98
	s_branch .LBB0_100
.LBB0_97:                               ;   in Loop: Header=BB0_29 Depth=1
	s_branch .LBB0_100
.LBB0_98:                               ;   Parent Loop BB0_29 Depth=1
                                        ; =>  This Inner Loop Header: Depth=2
	v_mov_b32_e32 v4, 1
	s_and_saveexec_b32 s11, s0
	s_cbranch_execz .LBB0_95
; %bb.99:                               ;   in Loop: Header=BB0_98 Depth=2
	global_load_b32 v4, v[28:29], off offset:20 scope:SCOPE_SYS
	s_wait_loadcnt 0x0
	global_inv scope:SCOPE_SYS
	v_and_b32_e32 v4, 1, v4
	s_branch .LBB0_95
.LBB0_100:                              ;   in Loop: Header=BB0_29 Depth=1
	global_load_b128 v[2:5], v[2:3], off
	s_and_saveexec_b32 s11, s0
	s_cbranch_execz .LBB0_28
; %bb.101:                              ;   in Loop: Header=BB0_29 Depth=1
	s_clause 0x2
	global_load_b64 v[4:5], v9, s[2:3] offset:40
	global_load_b64 v[16:17], v9, s[2:3] offset:24 scope:SCOPE_SYS
	global_load_b64 v[14:15], v9, s[2:3]
	s_wait_loadcnt 0x2
	v_add_co_u32 v8, vcc_lo, v4, 1
	s_wait_alu 0xfffd
	v_add_co_ci_u32_e32 v18, vcc_lo, 0, v5, vcc_lo
	s_delay_alu instid0(VALU_DEP_2) | instskip(SKIP_1) | instid1(VALU_DEP_2)
	v_add_co_u32 v12, vcc_lo, v8, s10
	s_wait_alu 0xfffd
	v_add_co_ci_u32_e32 v13, vcc_lo, s1, v18, vcc_lo
	s_delay_alu instid0(VALU_DEP_1) | instskip(SKIP_2) | instid1(VALU_DEP_1)
	v_cmp_eq_u64_e32 vcc_lo, 0, v[12:13]
	s_wait_alu 0xfffd
	v_dual_cndmask_b32 v13, v13, v18 :: v_dual_cndmask_b32 v12, v12, v8
	v_and_b32_e32 v5, v13, v5
	s_delay_alu instid0(VALU_DEP_2) | instskip(NEXT) | instid1(VALU_DEP_1)
	v_and_b32_e32 v4, v12, v4
	v_mul_lo_u32 v8, 0, v4
	v_mul_hi_u32 v18, 24, v4
	v_mul_lo_u32 v4, 24, v4
	s_wait_loadcnt 0x0
	s_delay_alu instid0(VALU_DEP_1) | instskip(SKIP_2) | instid1(VALU_DEP_1)
	v_add_co_u32 v4, vcc_lo, v14, v4
	v_mov_b32_e32 v14, v16
	v_mul_lo_u32 v5, 24, v5
	v_add_nc_u32_e32 v5, v5, v8
	s_delay_alu instid0(VALU_DEP_1) | instskip(SKIP_1) | instid1(VALU_DEP_1)
	v_add_nc_u32_e32 v5, v5, v18
	s_wait_alu 0xfffd
	v_add_co_ci_u32_e32 v5, vcc_lo, v15, v5, vcc_lo
	v_mov_b32_e32 v15, v17
	global_store_b64 v[4:5], v[16:17], off
	global_wb scope:SCOPE_SYS
	s_wait_storecnt 0x0
	global_atomic_cmpswap_b64 v[14:15], v9, v[12:15], s[2:3] offset:24 th:TH_ATOMIC_RETURN scope:SCOPE_SYS
	s_wait_loadcnt 0x0
	v_cmp_ne_u64_e32 vcc_lo, v[14:15], v[16:17]
	s_and_b32 exec_lo, exec_lo, vcc_lo
	s_cbranch_execz .LBB0_28
; %bb.102:                              ;   in Loop: Header=BB0_29 Depth=1
	s_mov_b32 s0, 0
.LBB0_103:                              ;   Parent Loop BB0_29 Depth=1
                                        ; =>  This Inner Loop Header: Depth=2
	s_sleep 1
	global_store_b64 v[4:5], v[14:15], off
	global_wb scope:SCOPE_SYS
	s_wait_storecnt 0x0
	global_atomic_cmpswap_b64 v[16:17], v9, v[12:15], s[2:3] offset:24 th:TH_ATOMIC_RETURN scope:SCOPE_SYS
	s_wait_loadcnt 0x0
	v_cmp_eq_u64_e32 vcc_lo, v[16:17], v[14:15]
	v_dual_mov_b32 v14, v16 :: v_dual_mov_b32 v15, v17
	s_wait_alu 0xfffe
	s_or_b32 s0, vcc_lo, s0
	s_wait_alu 0xfffe
	s_and_not1_b32 exec_lo, exec_lo, s0
	s_cbranch_execnz .LBB0_103
	s_branch .LBB0_28
.LBB0_104:
	s_branch .LBB0_133
.LBB0_105:
                                        ; implicit-def: $vgpr2_vgpr3
	s_cbranch_execz .LBB0_133
; %bb.106:
	v_readfirstlane_b32 s0, v35
	v_mov_b32_e32 v9, 0
	v_mov_b32_e32 v10, 0
	s_wait_alu 0xf1ff
	s_delay_alu instid0(VALU_DEP_3) | instskip(NEXT) | instid1(VALU_DEP_1)
	v_cmp_eq_u32_e64 s0, s0, v35
	s_and_saveexec_b32 s1, s0
	s_cbranch_execz .LBB0_112
; %bb.107:
	s_wait_loadcnt 0x0
	v_mov_b32_e32 v2, 0
	s_mov_b32 s4, exec_lo
	global_load_b64 v[11:12], v2, s[2:3] offset:24 scope:SCOPE_SYS
	s_wait_loadcnt 0x0
	global_inv scope:SCOPE_SYS
	s_clause 0x1
	global_load_b64 v[3:4], v2, s[2:3] offset:40
	global_load_b64 v[8:9], v2, s[2:3]
	s_wait_loadcnt 0x1
	v_and_b32_e32 v3, v3, v11
	v_and_b32_e32 v4, v4, v12
	s_delay_alu instid0(VALU_DEP_2) | instskip(NEXT) | instid1(VALU_DEP_2)
	v_mul_lo_u32 v5, 0, v3
	v_mul_lo_u32 v4, 24, v4
	v_mul_hi_u32 v10, 24, v3
	v_mul_lo_u32 v3, 24, v3
	s_delay_alu instid0(VALU_DEP_3) | instskip(SKIP_1) | instid1(VALU_DEP_2)
	v_add_nc_u32_e32 v4, v4, v5
	s_wait_loadcnt 0x0
	v_add_co_u32 v3, vcc_lo, v8, v3
	s_delay_alu instid0(VALU_DEP_2) | instskip(SKIP_1) | instid1(VALU_DEP_1)
	v_add_nc_u32_e32 v4, v4, v10
	s_wait_alu 0xfffd
	v_add_co_ci_u32_e32 v4, vcc_lo, v9, v4, vcc_lo
	global_load_b64 v[9:10], v[3:4], off scope:SCOPE_SYS
	s_wait_loadcnt 0x0
	global_atomic_cmpswap_b64 v[9:10], v2, v[9:12], s[2:3] offset:24 th:TH_ATOMIC_RETURN scope:SCOPE_SYS
	s_wait_loadcnt 0x0
	global_inv scope:SCOPE_SYS
	v_cmpx_ne_u64_e64 v[9:10], v[11:12]
	s_cbranch_execz .LBB0_111
; %bb.108:
	s_mov_b32 s5, 0
.LBB0_109:                              ; =>This Inner Loop Header: Depth=1
	s_sleep 1
	s_clause 0x1
	global_load_b64 v[3:4], v2, s[2:3] offset:40
	global_load_b64 v[13:14], v2, s[2:3]
	v_dual_mov_b32 v12, v10 :: v_dual_mov_b32 v11, v9
	s_wait_loadcnt 0x1
	s_delay_alu instid0(VALU_DEP_1) | instskip(SKIP_1) | instid1(VALU_DEP_1)
	v_and_b32_e32 v3, v3, v11
	s_wait_loadcnt 0x0
	v_mad_co_u64_u32 v[8:9], null, v3, 24, v[13:14]
	s_delay_alu instid0(VALU_DEP_1) | instskip(NEXT) | instid1(VALU_DEP_1)
	v_dual_mov_b32 v3, v9 :: v_dual_and_b32 v4, v4, v12
	v_mad_co_u64_u32 v[3:4], null, v4, 24, v[3:4]
	s_delay_alu instid0(VALU_DEP_1)
	v_mov_b32_e32 v9, v3
	global_load_b64 v[9:10], v[8:9], off scope:SCOPE_SYS
	s_wait_loadcnt 0x0
	global_atomic_cmpswap_b64 v[9:10], v2, v[9:12], s[2:3] offset:24 th:TH_ATOMIC_RETURN scope:SCOPE_SYS
	s_wait_loadcnt 0x0
	global_inv scope:SCOPE_SYS
	v_cmp_eq_u64_e32 vcc_lo, v[9:10], v[11:12]
	s_wait_alu 0xfffe
	s_or_b32 s5, vcc_lo, s5
	s_wait_alu 0xfffe
	s_and_not1_b32 exec_lo, exec_lo, s5
	s_cbranch_execnz .LBB0_109
; %bb.110:
	s_or_b32 exec_lo, exec_lo, s5
.LBB0_111:
	s_wait_alu 0xfffe
	s_or_b32 exec_lo, exec_lo, s4
.LBB0_112:
	s_wait_alu 0xfffe
	s_or_b32 exec_lo, exec_lo, s1
	v_readfirstlane_b32 s1, v10
	v_mov_b32_e32 v8, 0
	v_readfirstlane_b32 s4, v9
	s_mov_b32 s5, exec_lo
	s_clause 0x1
	global_load_b64 v[11:12], v8, s[2:3] offset:40
	global_load_b128 v[2:5], v8, s[2:3]
	s_wait_loadcnt 0x1
	s_wait_alu 0xf1ff
	v_and_b32_e32 v13, s1, v12
	v_and_b32_e32 v12, s4, v11
	s_delay_alu instid0(VALU_DEP_2) | instskip(NEXT) | instid1(VALU_DEP_2)
	v_mul_lo_u32 v9, 24, v13
	v_mul_lo_u32 v10, 0, v12
	v_mul_hi_u32 v11, 24, v12
	v_mul_lo_u32 v14, 24, v12
	s_delay_alu instid0(VALU_DEP_3) | instskip(SKIP_1) | instid1(VALU_DEP_2)
	v_add_nc_u32_e32 v9, v9, v10
	s_wait_loadcnt 0x0
	v_add_co_u32 v10, vcc_lo, v2, v14
	s_delay_alu instid0(VALU_DEP_2) | instskip(SKIP_1) | instid1(VALU_DEP_1)
	v_add_nc_u32_e32 v9, v9, v11
	s_wait_alu 0xfffd
	v_add_co_ci_u32_e32 v11, vcc_lo, v3, v9, vcc_lo
	s_and_saveexec_b32 s6, s0
	s_cbranch_execz .LBB0_114
; %bb.113:
	s_wait_alu 0xfffe
	v_dual_mov_b32 v14, s5 :: v_dual_mov_b32 v15, v8
	v_dual_mov_b32 v16, 2 :: v_dual_mov_b32 v17, 1
	global_store_b128 v[10:11], v[14:17], off offset:8
.LBB0_114:
	s_wait_alu 0xfffe
	s_or_b32 exec_lo, exec_lo, s6
	v_lshlrev_b64_e32 v[12:13], 12, v[12:13]
	s_mov_b32 s8, 0
	v_and_or_b32 v6, 0xffffff1f, v6, 32
	s_wait_alu 0xfffe
	s_mov_b32 s11, s8
	s_mov_b32 s9, s8
	s_mov_b32 s10, s8
	v_add_co_u32 v4, vcc_lo, v4, v12
	s_wait_alu 0xfffd
	v_add_co_ci_u32_e32 v5, vcc_lo, v5, v13, vcc_lo
	v_mov_b32_e32 v9, v8
	s_delay_alu instid0(VALU_DEP_3) | instskip(SKIP_1) | instid1(VALU_DEP_4)
	v_add_co_u32 v12, vcc_lo, v4, v34
	v_readfirstlane_b32 s6, v4
	v_readfirstlane_b32 s7, v5
	s_wait_alu 0xfffe
	v_dual_mov_b32 v17, s11 :: v_dual_mov_b32 v14, s8
	s_wait_alu 0xfffd
	v_add_co_ci_u32_e32 v13, vcc_lo, 0, v5, vcc_lo
	v_dual_mov_b32 v16, s10 :: v_dual_mov_b32 v15, s9
	s_clause 0x3
	global_store_b128 v34, v[6:9], s[6:7]
	global_store_b128 v34, v[14:17], s[6:7] offset:16
	global_store_b128 v34, v[14:17], s[6:7] offset:32
	;; [unrolled: 1-line block ×3, first 2 shown]
	s_and_saveexec_b32 s5, s0
	s_cbranch_execz .LBB0_122
; %bb.115:
	v_mov_b32_e32 v8, 0
	s_mov_b32 s6, exec_lo
	s_clause 0x1
	global_load_b64 v[16:17], v8, s[2:3] offset:32 scope:SCOPE_SYS
	global_load_b64 v[4:5], v8, s[2:3] offset:40
	v_dual_mov_b32 v15, s1 :: v_dual_mov_b32 v14, s4
	s_wait_loadcnt 0x0
	v_and_b32_e32 v5, s1, v5
	v_and_b32_e32 v4, s4, v4
	s_delay_alu instid0(VALU_DEP_2) | instskip(NEXT) | instid1(VALU_DEP_2)
	v_mul_lo_u32 v5, 24, v5
	v_mul_lo_u32 v6, 0, v4
	v_mul_hi_u32 v7, 24, v4
	v_mul_lo_u32 v4, 24, v4
	s_delay_alu instid0(VALU_DEP_3) | instskip(NEXT) | instid1(VALU_DEP_2)
	v_add_nc_u32_e32 v5, v5, v6
	v_add_co_u32 v6, vcc_lo, v2, v4
	s_delay_alu instid0(VALU_DEP_2) | instskip(SKIP_1) | instid1(VALU_DEP_1)
	v_add_nc_u32_e32 v5, v5, v7
	s_wait_alu 0xfffd
	v_add_co_ci_u32_e32 v7, vcc_lo, v3, v5, vcc_lo
	global_store_b64 v[6:7], v[16:17], off
	global_wb scope:SCOPE_SYS
	s_wait_storecnt 0x0
	global_atomic_cmpswap_b64 v[4:5], v8, v[14:17], s[2:3] offset:32 th:TH_ATOMIC_RETURN scope:SCOPE_SYS
	s_wait_loadcnt 0x0
	v_cmpx_ne_u64_e64 v[4:5], v[16:17]
	s_cbranch_execz .LBB0_118
; %bb.116:
	s_mov_b32 s7, 0
.LBB0_117:                              ; =>This Inner Loop Header: Depth=1
	v_dual_mov_b32 v2, s4 :: v_dual_mov_b32 v3, s1
	s_sleep 1
	global_store_b64 v[6:7], v[4:5], off
	global_wb scope:SCOPE_SYS
	s_wait_storecnt 0x0
	global_atomic_cmpswap_b64 v[2:3], v8, v[2:5], s[2:3] offset:32 th:TH_ATOMIC_RETURN scope:SCOPE_SYS
	s_wait_loadcnt 0x0
	v_cmp_eq_u64_e32 vcc_lo, v[2:3], v[4:5]
	v_dual_mov_b32 v5, v3 :: v_dual_mov_b32 v4, v2
	s_wait_alu 0xfffe
	s_or_b32 s7, vcc_lo, s7
	s_wait_alu 0xfffe
	s_and_not1_b32 exec_lo, exec_lo, s7
	s_cbranch_execnz .LBB0_117
.LBB0_118:
	s_wait_alu 0xfffe
	s_or_b32 exec_lo, exec_lo, s6
	v_mov_b32_e32 v5, 0
	s_mov_b32 s7, exec_lo
	s_mov_b32 s6, exec_lo
	s_wait_alu 0xfffe
	v_mbcnt_lo_u32_b32 v4, s7, 0
	global_load_b64 v[2:3], v5, s[2:3] offset:16
	v_cmpx_eq_u32_e32 0, v4
	s_cbranch_execz .LBB0_120
; %bb.119:
	s_bcnt1_i32_b32 s7, s7
	s_wait_alu 0xfffe
	v_mov_b32_e32 v4, s7
	global_wb scope:SCOPE_SYS
	s_wait_loadcnt 0x0
	global_atomic_add_u64 v[2:3], v[4:5], off offset:8 scope:SCOPE_SYS
.LBB0_120:
	s_or_b32 exec_lo, exec_lo, s6
	s_wait_loadcnt 0x0
	global_load_b64 v[4:5], v[2:3], off offset:16
	s_wait_loadcnt 0x0
	v_cmp_eq_u64_e32 vcc_lo, 0, v[4:5]
	s_cbranch_vccnz .LBB0_122
; %bb.121:
	global_load_b32 v2, v[2:3], off offset:24
	s_wait_loadcnt 0x0
	v_dual_mov_b32 v3, 0 :: v_dual_and_b32 v6, 0xffffff, v2
	global_wb scope:SCOPE_SYS
	s_wait_storecnt 0x0
	global_store_b64 v[4:5], v[2:3], off scope:SCOPE_SYS
	v_readfirstlane_b32 m0, v6
	s_sendmsg sendmsg(MSG_INTERRUPT)
.LBB0_122:
	s_wait_alu 0xfffe
	s_or_b32 exec_lo, exec_lo, s5
	s_branch .LBB0_126
.LBB0_123:                              ;   in Loop: Header=BB0_126 Depth=1
	s_wait_alu 0xfffe
	s_or_b32 exec_lo, exec_lo, s5
	s_delay_alu instid0(VALU_DEP_1) | instskip(NEXT) | instid1(VALU_DEP_1)
	v_readfirstlane_b32 s5, v2
	s_cmp_eq_u32 s5, 0
	s_cbranch_scc1 .LBB0_125
; %bb.124:                              ;   in Loop: Header=BB0_126 Depth=1
	s_sleep 1
	s_cbranch_execnz .LBB0_126
	s_branch .LBB0_128
.LBB0_125:
	s_branch .LBB0_128
.LBB0_126:                              ; =>This Inner Loop Header: Depth=1
	v_mov_b32_e32 v2, 1
	s_and_saveexec_b32 s5, s0
	s_cbranch_execz .LBB0_123
; %bb.127:                              ;   in Loop: Header=BB0_126 Depth=1
	global_load_b32 v2, v[10:11], off offset:20 scope:SCOPE_SYS
	s_wait_loadcnt 0x0
	global_inv scope:SCOPE_SYS
	v_and_b32_e32 v2, 1, v2
	s_branch .LBB0_123
.LBB0_128:
	global_load_b64 v[2:3], v[12:13], off
	s_and_saveexec_b32 s5, s0
	s_cbranch_execz .LBB0_132
; %bb.129:
	v_mov_b32_e32 v10, 0
	s_clause 0x2
	global_load_b64 v[6:7], v10, s[2:3] offset:40
	global_load_b64 v[11:12], v10, s[2:3] offset:24 scope:SCOPE_SYS
	global_load_b64 v[8:9], v10, s[2:3]
	s_wait_loadcnt 0x2
	v_add_co_u32 v13, vcc_lo, v6, 1
	s_wait_alu 0xfffd
	v_add_co_ci_u32_e32 v14, vcc_lo, 0, v7, vcc_lo
	s_delay_alu instid0(VALU_DEP_2) | instskip(SKIP_1) | instid1(VALU_DEP_2)
	v_add_co_u32 v4, vcc_lo, v13, s4
	s_wait_alu 0xfffd
	v_add_co_ci_u32_e32 v5, vcc_lo, s1, v14, vcc_lo
	s_delay_alu instid0(VALU_DEP_1) | instskip(SKIP_2) | instid1(VALU_DEP_1)
	v_cmp_eq_u64_e32 vcc_lo, 0, v[4:5]
	s_wait_alu 0xfffd
	v_dual_cndmask_b32 v5, v5, v14 :: v_dual_cndmask_b32 v4, v4, v13
	v_and_b32_e32 v7, v5, v7
	s_delay_alu instid0(VALU_DEP_2) | instskip(NEXT) | instid1(VALU_DEP_2)
	v_and_b32_e32 v6, v4, v6
	v_mul_lo_u32 v7, 24, v7
	s_delay_alu instid0(VALU_DEP_2) | instskip(SKIP_2) | instid1(VALU_DEP_3)
	v_mul_lo_u32 v13, 0, v6
	v_mul_hi_u32 v14, 24, v6
	v_mul_lo_u32 v6, 24, v6
	v_add_nc_u32_e32 v7, v7, v13
	s_wait_loadcnt 0x0
	s_delay_alu instid0(VALU_DEP_2) | instskip(SKIP_1) | instid1(VALU_DEP_3)
	v_add_co_u32 v8, vcc_lo, v8, v6
	v_mov_b32_e32 v6, v11
	v_add_nc_u32_e32 v7, v7, v14
	s_wait_alu 0xfffd
	s_delay_alu instid0(VALU_DEP_1)
	v_add_co_ci_u32_e32 v9, vcc_lo, v9, v7, vcc_lo
	v_mov_b32_e32 v7, v12
	global_store_b64 v[8:9], v[11:12], off
	global_wb scope:SCOPE_SYS
	s_wait_storecnt 0x0
	global_atomic_cmpswap_b64 v[6:7], v10, v[4:7], s[2:3] offset:24 th:TH_ATOMIC_RETURN scope:SCOPE_SYS
	s_wait_loadcnt 0x0
	v_cmp_ne_u64_e32 vcc_lo, v[6:7], v[11:12]
	s_and_b32 exec_lo, exec_lo, vcc_lo
	s_cbranch_execz .LBB0_132
; %bb.130:
	s_mov_b32 s0, 0
.LBB0_131:                              ; =>This Inner Loop Header: Depth=1
	s_sleep 1
	global_store_b64 v[8:9], v[6:7], off
	global_wb scope:SCOPE_SYS
	s_wait_storecnt 0x0
	global_atomic_cmpswap_b64 v[11:12], v10, v[4:7], s[2:3] offset:24 th:TH_ATOMIC_RETURN scope:SCOPE_SYS
	s_wait_loadcnt 0x0
	v_cmp_eq_u64_e32 vcc_lo, v[11:12], v[6:7]
	v_dual_mov_b32 v6, v11 :: v_dual_mov_b32 v7, v12
	s_wait_alu 0xfffe
	s_or_b32 s0, vcc_lo, s0
	s_wait_alu 0xfffe
	s_and_not1_b32 exec_lo, exec_lo, s0
	s_cbranch_execnz .LBB0_131
.LBB0_132:
	s_wait_alu 0xfffe
	s_or_b32 exec_lo, exec_lo, s5
.LBB0_133:
	v_cmp_ne_u64_e32 vcc_lo, 0, v[0:1]
	v_mov_b32_e32 v26, 0
	v_mov_b32_e32 v27, 0
	s_and_saveexec_b32 s1, vcc_lo
	s_cbranch_execnz .LBB0_157
; %bb.134:
	s_wait_alu 0xfffe
	s_or_b32 exec_lo, exec_lo, s1
	s_and_saveexec_b32 s0, vcc_lo
	s_wait_alu 0xfffe
	s_xor_b32 s6, exec_lo, s0
	s_cbranch_execnz .LBB0_160
.LBB0_135:
	s_wait_alu 0xfffe
	s_and_not1_saveexec_b32 s1, s6
	s_cbranch_execz .LBB0_250
.LBB0_136:
	v_readfirstlane_b32 s0, v35
	v_mov_b32_e32 v0, 0
	v_mov_b32_e32 v1, 0
	s_wait_alu 0xf1ff
	s_delay_alu instid0(VALU_DEP_3) | instskip(NEXT) | instid1(VALU_DEP_1)
	v_cmp_eq_u32_e64 s0, s0, v35
	s_and_saveexec_b32 s4, s0
	s_cbranch_execz .LBB0_142
; %bb.137:
	s_wait_loadcnt 0x0
	v_mov_b32_e32 v4, 0
	s_mov_b32 s5, exec_lo
	global_load_b64 v[7:8], v4, s[2:3] offset:24 scope:SCOPE_SYS
	s_wait_loadcnt 0x0
	global_inv scope:SCOPE_SYS
	s_clause 0x1
	global_load_b64 v[0:1], v4, s[2:3] offset:40
	global_load_b64 v[5:6], v4, s[2:3]
	s_wait_loadcnt 0x1
	v_and_b32_e32 v1, v1, v8
	v_and_b32_e32 v0, v0, v7
	s_delay_alu instid0(VALU_DEP_2) | instskip(NEXT) | instid1(VALU_DEP_2)
	v_mul_lo_u32 v1, 24, v1
	v_mul_lo_u32 v9, 0, v0
	v_mul_hi_u32 v10, 24, v0
	v_mul_lo_u32 v0, 24, v0
	s_delay_alu instid0(VALU_DEP_3) | instskip(SKIP_1) | instid1(VALU_DEP_2)
	v_add_nc_u32_e32 v1, v1, v9
	s_wait_loadcnt 0x0
	v_add_co_u32 v0, vcc_lo, v5, v0
	s_delay_alu instid0(VALU_DEP_2) | instskip(SKIP_1) | instid1(VALU_DEP_1)
	v_add_nc_u32_e32 v1, v1, v10
	s_wait_alu 0xfffd
	v_add_co_ci_u32_e32 v1, vcc_lo, v6, v1, vcc_lo
	global_load_b64 v[5:6], v[0:1], off scope:SCOPE_SYS
	s_wait_loadcnt 0x0
	global_atomic_cmpswap_b64 v[0:1], v4, v[5:8], s[2:3] offset:24 th:TH_ATOMIC_RETURN scope:SCOPE_SYS
	s_wait_loadcnt 0x0
	global_inv scope:SCOPE_SYS
	v_cmpx_ne_u64_e64 v[0:1], v[7:8]
	s_cbranch_execz .LBB0_141
; %bb.138:
	s_mov_b32 s6, 0
.LBB0_139:                              ; =>This Inner Loop Header: Depth=1
	s_sleep 1
	s_clause 0x1
	global_load_b64 v[5:6], v4, s[2:3] offset:40
	global_load_b64 v[9:10], v4, s[2:3]
	v_dual_mov_b32 v8, v1 :: v_dual_mov_b32 v7, v0
	s_wait_loadcnt 0x1
	s_delay_alu instid0(VALU_DEP_1) | instskip(NEXT) | instid1(VALU_DEP_2)
	v_and_b32_e32 v0, v5, v7
	v_and_b32_e32 v5, v6, v8
	s_wait_loadcnt 0x0
	s_delay_alu instid0(VALU_DEP_2) | instskip(NEXT) | instid1(VALU_DEP_1)
	v_mad_co_u64_u32 v[0:1], null, v0, 24, v[9:10]
	v_mad_co_u64_u32 v[5:6], null, v5, 24, v[1:2]
	s_delay_alu instid0(VALU_DEP_1)
	v_mov_b32_e32 v1, v5
	global_load_b64 v[5:6], v[0:1], off scope:SCOPE_SYS
	s_wait_loadcnt 0x0
	global_atomic_cmpswap_b64 v[0:1], v4, v[5:8], s[2:3] offset:24 th:TH_ATOMIC_RETURN scope:SCOPE_SYS
	s_wait_loadcnt 0x0
	global_inv scope:SCOPE_SYS
	v_cmp_eq_u64_e32 vcc_lo, v[0:1], v[7:8]
	s_wait_alu 0xfffe
	s_or_b32 s6, vcc_lo, s6
	s_wait_alu 0xfffe
	s_and_not1_b32 exec_lo, exec_lo, s6
	s_cbranch_execnz .LBB0_139
; %bb.140:
	s_or_b32 exec_lo, exec_lo, s6
.LBB0_141:
	s_wait_alu 0xfffe
	s_or_b32 exec_lo, exec_lo, s5
.LBB0_142:
	s_wait_alu 0xfffe
	s_or_b32 exec_lo, exec_lo, s4
	v_readfirstlane_b32 s4, v1
	s_wait_loadcnt 0x0
	v_mov_b32_e32 v4, 0
	v_readfirstlane_b32 s5, v0
	s_mov_b32 s6, exec_lo
	s_clause 0x1
	global_load_b64 v[10:11], v4, s[2:3] offset:40
	global_load_b128 v[6:9], v4, s[2:3]
	s_wait_loadcnt 0x1
	s_wait_alu 0xf1ff
	v_and_b32_e32 v1, s4, v11
	v_and_b32_e32 v0, s5, v10
	s_delay_alu instid0(VALU_DEP_2) | instskip(NEXT) | instid1(VALU_DEP_2)
	v_mul_lo_u32 v5, 24, v1
	v_mul_lo_u32 v10, 0, v0
	v_mul_hi_u32 v11, 24, v0
	v_mul_lo_u32 v12, 24, v0
	s_delay_alu instid0(VALU_DEP_3) | instskip(SKIP_1) | instid1(VALU_DEP_2)
	v_add_nc_u32_e32 v5, v5, v10
	s_wait_loadcnt 0x0
	v_add_co_u32 v10, vcc_lo, v6, v12
	s_delay_alu instid0(VALU_DEP_2) | instskip(SKIP_1) | instid1(VALU_DEP_1)
	v_add_nc_u32_e32 v5, v5, v11
	s_wait_alu 0xfffd
	v_add_co_ci_u32_e32 v11, vcc_lo, v7, v5, vcc_lo
	s_and_saveexec_b32 s7, s0
	s_cbranch_execz .LBB0_144
; %bb.143:
	s_wait_alu 0xfffe
	v_dual_mov_b32 v12, s6 :: v_dual_mov_b32 v13, v4
	v_dual_mov_b32 v14, 2 :: v_dual_mov_b32 v15, 1
	global_store_b128 v[10:11], v[12:15], off offset:8
.LBB0_144:
	s_wait_alu 0xfffe
	s_or_b32 exec_lo, exec_lo, s7
	v_lshlrev_b64_e32 v[0:1], 12, v[0:1]
	s_mov_b32 s8, 0
	v_and_or_b32 v2, 0xffffff1d, v2, 34
	s_wait_alu 0xfffe
	s_mov_b32 s11, s8
	s_mov_b32 s9, s8
	;; [unrolled: 1-line block ×3, first 2 shown]
	v_add_co_u32 v0, vcc_lo, v8, v0
	s_wait_alu 0xfffd
	v_add_co_ci_u32_e32 v1, vcc_lo, v9, v1, vcc_lo
	v_mov_b32_e32 v5, v4
	s_delay_alu instid0(VALU_DEP_3)
	v_readfirstlane_b32 s6, v0
	s_wait_alu 0xfffe
	v_dual_mov_b32 v15, s11 :: v_dual_mov_b32 v12, s8
	v_readfirstlane_b32 s7, v1
	v_dual_mov_b32 v14, s10 :: v_dual_mov_b32 v13, s9
	s_clause 0x3
	global_store_b128 v34, v[2:5], s[6:7]
	global_store_b128 v34, v[12:15], s[6:7] offset:16
	global_store_b128 v34, v[12:15], s[6:7] offset:32
	global_store_b128 v34, v[12:15], s[6:7] offset:48
	s_and_saveexec_b32 s6, s0
	s_cbranch_execz .LBB0_151
; %bb.145:
	v_mov_b32_e32 v8, 0
	s_mov_b32 s7, exec_lo
	s_clause 0x1
	global_load_b64 v[14:15], v8, s[2:3] offset:32 scope:SCOPE_SYS
	global_load_b64 v[0:1], v8, s[2:3] offset:40
	v_dual_mov_b32 v13, s4 :: v_dual_mov_b32 v12, s5
	s_wait_loadcnt 0x0
	v_and_b32_e32 v1, s4, v1
	v_and_b32_e32 v0, s5, v0
	s_delay_alu instid0(VALU_DEP_2) | instskip(NEXT) | instid1(VALU_DEP_2)
	v_mul_lo_u32 v1, 24, v1
	v_mul_lo_u32 v2, 0, v0
	v_mul_hi_u32 v3, 24, v0
	v_mul_lo_u32 v0, 24, v0
	s_delay_alu instid0(VALU_DEP_3) | instskip(NEXT) | instid1(VALU_DEP_2)
	v_add_nc_u32_e32 v1, v1, v2
	v_add_co_u32 v4, vcc_lo, v6, v0
	s_delay_alu instid0(VALU_DEP_2) | instskip(SKIP_1) | instid1(VALU_DEP_1)
	v_add_nc_u32_e32 v1, v1, v3
	s_wait_alu 0xfffd
	v_add_co_ci_u32_e32 v5, vcc_lo, v7, v1, vcc_lo
	global_store_b64 v[4:5], v[14:15], off
	global_wb scope:SCOPE_SYS
	s_wait_storecnt 0x0
	global_atomic_cmpswap_b64 v[2:3], v8, v[12:15], s[2:3] offset:32 th:TH_ATOMIC_RETURN scope:SCOPE_SYS
	s_wait_loadcnt 0x0
	v_cmpx_ne_u64_e64 v[2:3], v[14:15]
	s_cbranch_execz .LBB0_147
.LBB0_146:                              ; =>This Inner Loop Header: Depth=1
	v_dual_mov_b32 v0, s5 :: v_dual_mov_b32 v1, s4
	s_sleep 1
	global_store_b64 v[4:5], v[2:3], off
	global_wb scope:SCOPE_SYS
	s_wait_storecnt 0x0
	global_atomic_cmpswap_b64 v[0:1], v8, v[0:3], s[2:3] offset:32 th:TH_ATOMIC_RETURN scope:SCOPE_SYS
	s_wait_loadcnt 0x0
	v_cmp_eq_u64_e32 vcc_lo, v[0:1], v[2:3]
	v_dual_mov_b32 v3, v1 :: v_dual_mov_b32 v2, v0
	s_or_b32 s8, vcc_lo, s8
	s_wait_alu 0xfffe
	s_and_not1_b32 exec_lo, exec_lo, s8
	s_cbranch_execnz .LBB0_146
.LBB0_147:
	s_wait_alu 0xfffe
	s_or_b32 exec_lo, exec_lo, s7
	v_mov_b32_e32 v3, 0
	s_mov_b32 s8, exec_lo
	s_mov_b32 s7, exec_lo
	s_wait_alu 0xfffe
	v_mbcnt_lo_u32_b32 v2, s8, 0
	global_load_b64 v[0:1], v3, s[2:3] offset:16
	v_cmpx_eq_u32_e32 0, v2
	s_cbranch_execz .LBB0_149
; %bb.148:
	s_bcnt1_i32_b32 s8, s8
	s_wait_alu 0xfffe
	v_mov_b32_e32 v2, s8
	global_wb scope:SCOPE_SYS
	s_wait_loadcnt 0x0
	global_atomic_add_u64 v[0:1], v[2:3], off offset:8 scope:SCOPE_SYS
.LBB0_149:
	s_or_b32 exec_lo, exec_lo, s7
	s_wait_loadcnt 0x0
	global_load_b64 v[2:3], v[0:1], off offset:16
	s_wait_loadcnt 0x0
	v_cmp_eq_u64_e32 vcc_lo, 0, v[2:3]
	s_cbranch_vccnz .LBB0_151
; %bb.150:
	global_load_b32 v0, v[0:1], off offset:24
	s_wait_loadcnt 0x0
	v_dual_mov_b32 v1, 0 :: v_dual_and_b32 v4, 0xffffff, v0
	global_wb scope:SCOPE_SYS
	s_wait_storecnt 0x0
	global_store_b64 v[2:3], v[0:1], off scope:SCOPE_SYS
	v_readfirstlane_b32 m0, v4
	s_sendmsg sendmsg(MSG_INTERRUPT)
.LBB0_151:
	s_wait_alu 0xfffe
	s_or_b32 exec_lo, exec_lo, s6
	s_branch .LBB0_155
.LBB0_152:                              ;   in Loop: Header=BB0_155 Depth=1
	s_wait_alu 0xfffe
	s_or_b32 exec_lo, exec_lo, s6
	s_delay_alu instid0(VALU_DEP_1) | instskip(NEXT) | instid1(VALU_DEP_1)
	v_readfirstlane_b32 s6, v0
	s_cmp_eq_u32 s6, 0
	s_cbranch_scc1 .LBB0_154
; %bb.153:                              ;   in Loop: Header=BB0_155 Depth=1
	s_sleep 1
	s_cbranch_execnz .LBB0_155
	s_branch .LBB0_244
.LBB0_154:
	s_branch .LBB0_244
.LBB0_155:                              ; =>This Inner Loop Header: Depth=1
	v_mov_b32_e32 v0, 1
	s_and_saveexec_b32 s6, s0
	s_cbranch_execz .LBB0_152
; %bb.156:                              ;   in Loop: Header=BB0_155 Depth=1
	global_load_b32 v0, v[10:11], off offset:20 scope:SCOPE_SYS
	s_wait_loadcnt 0x0
	global_inv scope:SCOPE_SYS
	v_and_b32_e32 v0, 1, v0
	s_branch .LBB0_152
.LBB0_157:
	s_wait_loadcnt 0x0
	v_add_co_u32 v4, s0, v0, -1
	s_wait_alu 0xf1ff
	v_add_co_ci_u32_e64 v5, s0, -1, v1, s0
	s_mov_b32 s4, 0
.LBB0_158:                              ; =>This Inner Loop Header: Depth=1
	flat_load_u8 v8, v[4:5] offset:1
	v_add_co_u32 v6, s0, v4, 1
	s_wait_alu 0xf1ff
	v_add_co_ci_u32_e64 v7, s0, 0, v5, s0
	s_delay_alu instid0(VALU_DEP_1) | instskip(SKIP_3) | instid1(VALU_DEP_1)
	v_dual_mov_b32 v4, v6 :: v_dual_mov_b32 v5, v7
	s_wait_loadcnt_dscnt 0x0
	v_cmp_eq_u16_e64 s0, 0, v8
	s_wait_alu 0xfffe
	s_or_b32 s4, s0, s4
	s_wait_alu 0xfffe
	s_and_not1_b32 exec_lo, exec_lo, s4
	s_cbranch_execnz .LBB0_158
; %bb.159:
	s_or_b32 exec_lo, exec_lo, s4
	v_sub_co_u32 v4, s0, v6, v0
	s_wait_alu 0xf1ff
	v_sub_co_ci_u32_e64 v5, s0, v7, v1, s0
	s_delay_alu instid0(VALU_DEP_2) | instskip(SKIP_1) | instid1(VALU_DEP_2)
	v_add_co_u32 v26, s0, v4, 1
	s_wait_alu 0xf1ff
	v_add_co_ci_u32_e64 v27, s0, 0, v5, s0
	s_or_b32 exec_lo, exec_lo, s1
	s_and_saveexec_b32 s0, vcc_lo
	s_wait_alu 0xfffe
	s_xor_b32 s6, exec_lo, s0
	s_cbranch_execz .LBB0_135
.LBB0_160:
	s_wait_loadcnt 0x0
	v_dual_mov_b32 v7, 0 :: v_dual_and_b32 v2, -3, v2
	v_dual_mov_b32 v8, 2 :: v_dual_mov_b32 v9, 1
	s_mov_b32 s8, 0
	s_mov_b32 s7, 0
	s_branch .LBB0_162
.LBB0_161:                              ;   in Loop: Header=BB0_162 Depth=1
	s_wait_alu 0xfffe
	s_or_b32 exec_lo, exec_lo, s5
	v_sub_co_u32 v26, vcc_lo, v26, v28
	s_wait_alu 0xfffd
	v_sub_co_ci_u32_e32 v27, vcc_lo, v27, v29, vcc_lo
	v_add_co_u32 v0, s0, v0, v28
	s_wait_alu 0xf1ff
	v_add_co_ci_u32_e64 v1, s0, v1, v29, s0
	s_delay_alu instid0(VALU_DEP_3)
	v_cmp_eq_u64_e32 vcc_lo, 0, v[26:27]
	s_or_b32 s7, vcc_lo, s7
	s_wait_alu 0xfffe
	s_and_not1_b32 exec_lo, exec_lo, s7
	s_cbranch_execz .LBB0_249
.LBB0_162:                              ; =>This Loop Header: Depth=1
                                        ;     Child Loop BB0_165 Depth 2
                                        ;     Child Loop BB0_173 Depth 2
	;; [unrolled: 1-line block ×11, first 2 shown]
	v_cmp_gt_u64_e32 vcc_lo, 56, v[26:27]
	s_mov_b32 s1, exec_lo
                                        ; implicit-def: $sgpr4
	s_wait_alu 0xfffd
	v_dual_cndmask_b32 v29, 0, v27 :: v_dual_cndmask_b32 v28, 56, v26
	v_cmpx_gt_u64_e32 8, v[26:27]
	s_wait_alu 0xfffe
	s_xor_b32 s1, exec_lo, s1
	s_cbranch_execz .LBB0_168
; %bb.163:                              ;   in Loop: Header=BB0_162 Depth=1
	s_wait_loadcnt 0x0
	v_mov_b32_e32 v4, 0
	v_mov_b32_e32 v5, 0
	s_mov_b64 s[4:5], 0
	s_mov_b32 s9, exec_lo
	v_cmpx_ne_u64_e32 0, v[26:27]
	s_cbranch_execz .LBB0_167
; %bb.164:                              ;   in Loop: Header=BB0_162 Depth=1
	v_lshlrev_b64_e32 v[10:11], 3, v[28:29]
	v_mov_b32_e32 v4, 0
	v_dual_mov_b32 v5, 0 :: v_dual_mov_b32 v12, v1
	v_mov_b32_e32 v11, v0
	s_mov_b32 s10, 0
.LBB0_165:                              ;   Parent Loop BB0_162 Depth=1
                                        ; =>  This Inner Loop Header: Depth=2
	flat_load_u8 v6, v[11:12]
	v_mov_b32_e32 v14, s8
	v_add_co_u32 v11, vcc_lo, v11, 1
	s_wait_alu 0xfffd
	v_add_co_ci_u32_e32 v12, vcc_lo, 0, v12, vcc_lo
	s_wait_loadcnt_dscnt 0x0
	v_and_b32_e32 v13, 0xffff, v6
	s_wait_alu 0xfffe
	s_delay_alu instid0(VALU_DEP_1) | instskip(SKIP_3) | instid1(VALU_DEP_2)
	v_lshlrev_b64_e32 v[13:14], s4, v[13:14]
	s_add_nc_u64 s[4:5], s[4:5], 8
	s_wait_alu 0xfffe
	v_cmp_eq_u32_e64 s0, s4, v10
	v_or_b32_e32 v5, v14, v5
	s_delay_alu instid0(VALU_DEP_3) | instskip(NEXT) | instid1(VALU_DEP_3)
	v_or_b32_e32 v4, v13, v4
	s_or_b32 s10, s0, s10
	s_wait_alu 0xfffe
	s_and_not1_b32 exec_lo, exec_lo, s10
	s_cbranch_execnz .LBB0_165
; %bb.166:                              ;   in Loop: Header=BB0_162 Depth=1
	s_or_b32 exec_lo, exec_lo, s10
.LBB0_167:                              ;   in Loop: Header=BB0_162 Depth=1
	s_wait_alu 0xfffe
	s_or_b32 exec_lo, exec_lo, s9
	s_mov_b32 s4, 0
.LBB0_168:                              ;   in Loop: Header=BB0_162 Depth=1
	s_wait_alu 0xfffe
	s_or_saveexec_b32 s0, s1
	v_dual_mov_b32 v6, s4 :: v_dual_mov_b32 v23, v1
	v_mov_b32_e32 v22, v0
	s_wait_alu 0xfffe
	s_xor_b32 exec_lo, exec_lo, s0
	s_cbranch_execz .LBB0_170
; %bb.169:                              ;   in Loop: Header=BB0_162 Depth=1
	s_wait_loadcnt 0x0
	flat_load_b64 v[4:5], v[0:1]
	v_add_co_u32 v22, vcc_lo, v0, 8
	s_wait_alu 0xfffd
	v_add_co_ci_u32_e32 v23, vcc_lo, 0, v1, vcc_lo
	s_wait_loadcnt_dscnt 0x0
	v_and_b32_e32 v6, 0xff, v5
	v_and_b32_e32 v10, 0xff00, v5
	;; [unrolled: 1-line block ×4, first 2 shown]
	v_or3_b32 v4, v4, 0, 0
	s_delay_alu instid0(VALU_DEP_4) | instskip(SKIP_1) | instid1(VALU_DEP_2)
	v_or_b32_e32 v10, v6, v10
	v_add_nc_u32_e32 v6, -8, v28
	v_or3_b32 v5, v10, v11, v5
.LBB0_170:                              ;   in Loop: Header=BB0_162 Depth=1
	s_or_b32 exec_lo, exec_lo, s0
                                        ; implicit-def: $vgpr10_vgpr11
                                        ; implicit-def: $sgpr1
	s_delay_alu instid0(SALU_CYCLE_1) | instskip(NEXT) | instid1(VALU_DEP_2)
	s_mov_b32 s0, exec_lo
	v_cmpx_gt_u32_e32 8, v6
	s_wait_alu 0xfffe
	s_xor_b32 s9, exec_lo, s0
	s_cbranch_execz .LBB0_176
; %bb.171:                              ;   in Loop: Header=BB0_162 Depth=1
	v_mov_b32_e32 v10, 0
	v_mov_b32_e32 v11, 0
	s_mov_b32 s10, exec_lo
	v_cmpx_ne_u32_e32 0, v6
	s_cbranch_execz .LBB0_175
; %bb.172:                              ;   in Loop: Header=BB0_162 Depth=1
	v_mov_b32_e32 v10, 0
	v_mov_b32_e32 v11, 0
	s_mov_b64 s[0:1], 0
	s_mov_b32 s11, 0
	s_mov_b64 s[4:5], 0
.LBB0_173:                              ;   Parent Loop BB0_162 Depth=1
                                        ; =>  This Inner Loop Header: Depth=2
	s_wait_alu 0xfffe
	v_add_co_u32 v12, vcc_lo, v22, s4
	s_wait_alu 0xfffd
	v_add_co_ci_u32_e32 v13, vcc_lo, s5, v23, vcc_lo
	s_add_nc_u64 s[4:5], s[4:5], 1
	s_wait_alu 0xfffe
	v_cmp_eq_u32_e32 vcc_lo, s4, v6
	flat_load_u8 v12, v[12:13]
	v_mov_b32_e32 v13, s8
	s_or_b32 s11, vcc_lo, s11
	s_wait_loadcnt_dscnt 0x0
	v_and_b32_e32 v12, 0xffff, v12
	s_delay_alu instid0(VALU_DEP_1) | instskip(SKIP_1) | instid1(VALU_DEP_1)
	v_lshlrev_b64_e32 v[12:13], s0, v[12:13]
	s_add_nc_u64 s[0:1], s[0:1], 8
	v_or_b32_e32 v11, v13, v11
	s_delay_alu instid0(VALU_DEP_2)
	v_or_b32_e32 v10, v12, v10
	s_wait_alu 0xfffe
	s_and_not1_b32 exec_lo, exec_lo, s11
	s_cbranch_execnz .LBB0_173
; %bb.174:                              ;   in Loop: Header=BB0_162 Depth=1
	s_or_b32 exec_lo, exec_lo, s11
.LBB0_175:                              ;   in Loop: Header=BB0_162 Depth=1
	s_wait_alu 0xfffe
	s_or_b32 exec_lo, exec_lo, s10
	s_mov_b32 s1, 0
                                        ; implicit-def: $vgpr6
.LBB0_176:                              ;   in Loop: Header=BB0_162 Depth=1
	s_wait_alu 0xfffe
	s_or_saveexec_b32 s0, s9
	v_mov_b32_e32 v14, s1
	s_wait_alu 0xfffe
	s_xor_b32 exec_lo, exec_lo, s0
	s_cbranch_execz .LBB0_178
; %bb.177:                              ;   in Loop: Header=BB0_162 Depth=1
	flat_load_b64 v[10:11], v[22:23]
	v_add_co_u32 v22, vcc_lo, v22, 8
	v_add_nc_u32_e32 v14, -8, v6
	s_wait_alu 0xfffd
	v_add_co_ci_u32_e32 v23, vcc_lo, 0, v23, vcc_lo
	s_wait_loadcnt_dscnt 0x0
	v_and_b32_e32 v12, 0xff, v11
	v_and_b32_e32 v13, 0xff00, v11
	;; [unrolled: 1-line block ×4, first 2 shown]
	v_or3_b32 v10, v10, 0, 0
	s_delay_alu instid0(VALU_DEP_4) | instskip(NEXT) | instid1(VALU_DEP_1)
	v_or_b32_e32 v12, v12, v13
	v_or3_b32 v11, v12, v15, v11
.LBB0_178:                              ;   in Loop: Header=BB0_162 Depth=1
	s_or_b32 exec_lo, exec_lo, s0
                                        ; implicit-def: $sgpr1
	s_delay_alu instid0(SALU_CYCLE_1)
	s_mov_b32 s0, exec_lo
	v_cmpx_gt_u32_e32 8, v14
	s_wait_alu 0xfffe
	s_xor_b32 s9, exec_lo, s0
	s_cbranch_execz .LBB0_184
; %bb.179:                              ;   in Loop: Header=BB0_162 Depth=1
	v_mov_b32_e32 v12, 0
	v_mov_b32_e32 v13, 0
	s_mov_b32 s10, exec_lo
	v_cmpx_ne_u32_e32 0, v14
	s_cbranch_execz .LBB0_183
; %bb.180:                              ;   in Loop: Header=BB0_162 Depth=1
	v_mov_b32_e32 v12, 0
	v_mov_b32_e32 v13, 0
	s_mov_b64 s[0:1], 0
	s_mov_b32 s11, 0
	s_mov_b64 s[4:5], 0
.LBB0_181:                              ;   Parent Loop BB0_162 Depth=1
                                        ; =>  This Inner Loop Header: Depth=2
	s_wait_alu 0xfffe
	v_add_co_u32 v15, vcc_lo, v22, s4
	s_wait_alu 0xfffd
	v_add_co_ci_u32_e32 v16, vcc_lo, s5, v23, vcc_lo
	s_add_nc_u64 s[4:5], s[4:5], 1
	s_wait_alu 0xfffe
	v_cmp_eq_u32_e32 vcc_lo, s4, v14
	flat_load_u8 v6, v[15:16]
	v_mov_b32_e32 v16, s8
	s_or_b32 s11, vcc_lo, s11
	s_wait_loadcnt_dscnt 0x0
	v_and_b32_e32 v15, 0xffff, v6
	s_delay_alu instid0(VALU_DEP_1) | instskip(SKIP_1) | instid1(VALU_DEP_1)
	v_lshlrev_b64_e32 v[15:16], s0, v[15:16]
	s_add_nc_u64 s[0:1], s[0:1], 8
	v_or_b32_e32 v13, v16, v13
	s_delay_alu instid0(VALU_DEP_2)
	v_or_b32_e32 v12, v15, v12
	s_wait_alu 0xfffe
	s_and_not1_b32 exec_lo, exec_lo, s11
	s_cbranch_execnz .LBB0_181
; %bb.182:                              ;   in Loop: Header=BB0_162 Depth=1
	s_or_b32 exec_lo, exec_lo, s11
.LBB0_183:                              ;   in Loop: Header=BB0_162 Depth=1
	s_wait_alu 0xfffe
	s_or_b32 exec_lo, exec_lo, s10
	s_mov_b32 s1, 0
                                        ; implicit-def: $vgpr14
.LBB0_184:                              ;   in Loop: Header=BB0_162 Depth=1
	s_wait_alu 0xfffe
	s_or_saveexec_b32 s0, s9
	v_mov_b32_e32 v6, s1
	s_wait_alu 0xfffe
	s_xor_b32 exec_lo, exec_lo, s0
	s_cbranch_execz .LBB0_186
; %bb.185:                              ;   in Loop: Header=BB0_162 Depth=1
	flat_load_b64 v[12:13], v[22:23]
	v_add_co_u32 v22, vcc_lo, v22, 8
	s_wait_alu 0xfffd
	v_add_co_ci_u32_e32 v23, vcc_lo, 0, v23, vcc_lo
	s_wait_loadcnt_dscnt 0x0
	v_and_b32_e32 v6, 0xff, v13
	v_and_b32_e32 v15, 0xff00, v13
	;; [unrolled: 1-line block ×4, first 2 shown]
	v_or3_b32 v12, v12, 0, 0
	s_delay_alu instid0(VALU_DEP_4) | instskip(SKIP_1) | instid1(VALU_DEP_2)
	v_or_b32_e32 v15, v6, v15
	v_add_nc_u32_e32 v6, -8, v14
	v_or3_b32 v13, v15, v16, v13
.LBB0_186:                              ;   in Loop: Header=BB0_162 Depth=1
	s_or_b32 exec_lo, exec_lo, s0
                                        ; implicit-def: $vgpr14_vgpr15
                                        ; implicit-def: $sgpr1
	s_delay_alu instid0(SALU_CYCLE_1) | instskip(NEXT) | instid1(VALU_DEP_1)
	s_mov_b32 s0, exec_lo
	v_cmpx_gt_u32_e32 8, v6
	s_wait_alu 0xfffe
	s_xor_b32 s9, exec_lo, s0
	s_cbranch_execz .LBB0_192
; %bb.187:                              ;   in Loop: Header=BB0_162 Depth=1
	v_mov_b32_e32 v14, 0
	v_mov_b32_e32 v15, 0
	s_mov_b32 s10, exec_lo
	v_cmpx_ne_u32_e32 0, v6
	s_cbranch_execz .LBB0_191
; %bb.188:                              ;   in Loop: Header=BB0_162 Depth=1
	v_mov_b32_e32 v14, 0
	v_mov_b32_e32 v15, 0
	s_mov_b64 s[0:1], 0
	s_mov_b32 s11, 0
	s_mov_b64 s[4:5], 0
.LBB0_189:                              ;   Parent Loop BB0_162 Depth=1
                                        ; =>  This Inner Loop Header: Depth=2
	s_wait_alu 0xfffe
	v_add_co_u32 v16, vcc_lo, v22, s4
	s_wait_alu 0xfffd
	v_add_co_ci_u32_e32 v17, vcc_lo, s5, v23, vcc_lo
	s_add_nc_u64 s[4:5], s[4:5], 1
	s_wait_alu 0xfffe
	v_cmp_eq_u32_e32 vcc_lo, s4, v6
	flat_load_u8 v16, v[16:17]
	v_mov_b32_e32 v17, s8
	s_or_b32 s11, vcc_lo, s11
	s_wait_loadcnt_dscnt 0x0
	v_and_b32_e32 v16, 0xffff, v16
	s_delay_alu instid0(VALU_DEP_1) | instskip(SKIP_1) | instid1(VALU_DEP_1)
	v_lshlrev_b64_e32 v[16:17], s0, v[16:17]
	s_add_nc_u64 s[0:1], s[0:1], 8
	v_or_b32_e32 v15, v17, v15
	s_delay_alu instid0(VALU_DEP_2)
	v_or_b32_e32 v14, v16, v14
	s_wait_alu 0xfffe
	s_and_not1_b32 exec_lo, exec_lo, s11
	s_cbranch_execnz .LBB0_189
; %bb.190:                              ;   in Loop: Header=BB0_162 Depth=1
	s_or_b32 exec_lo, exec_lo, s11
.LBB0_191:                              ;   in Loop: Header=BB0_162 Depth=1
	s_wait_alu 0xfffe
	s_or_b32 exec_lo, exec_lo, s10
	s_mov_b32 s1, 0
                                        ; implicit-def: $vgpr6
.LBB0_192:                              ;   in Loop: Header=BB0_162 Depth=1
	s_wait_alu 0xfffe
	s_or_saveexec_b32 s0, s9
	v_mov_b32_e32 v18, s1
	s_wait_alu 0xfffe
	s_xor_b32 exec_lo, exec_lo, s0
	s_cbranch_execz .LBB0_194
; %bb.193:                              ;   in Loop: Header=BB0_162 Depth=1
	flat_load_b64 v[14:15], v[22:23]
	v_add_co_u32 v22, vcc_lo, v22, 8
	v_add_nc_u32_e32 v18, -8, v6
	s_wait_alu 0xfffd
	v_add_co_ci_u32_e32 v23, vcc_lo, 0, v23, vcc_lo
	s_wait_loadcnt_dscnt 0x0
	v_and_b32_e32 v16, 0xff, v15
	v_and_b32_e32 v17, 0xff00, v15
	;; [unrolled: 1-line block ×4, first 2 shown]
	v_or3_b32 v14, v14, 0, 0
	s_delay_alu instid0(VALU_DEP_4) | instskip(NEXT) | instid1(VALU_DEP_1)
	v_or_b32_e32 v16, v16, v17
	v_or3_b32 v15, v16, v19, v15
.LBB0_194:                              ;   in Loop: Header=BB0_162 Depth=1
	s_or_b32 exec_lo, exec_lo, s0
                                        ; implicit-def: $sgpr1
	s_delay_alu instid0(SALU_CYCLE_1)
	s_mov_b32 s0, exec_lo
	v_cmpx_gt_u32_e32 8, v18
	s_wait_alu 0xfffe
	s_xor_b32 s9, exec_lo, s0
	s_cbranch_execz .LBB0_200
; %bb.195:                              ;   in Loop: Header=BB0_162 Depth=1
	v_mov_b32_e32 v16, 0
	v_mov_b32_e32 v17, 0
	s_mov_b32 s10, exec_lo
	v_cmpx_ne_u32_e32 0, v18
	s_cbranch_execz .LBB0_199
; %bb.196:                              ;   in Loop: Header=BB0_162 Depth=1
	v_mov_b32_e32 v16, 0
	v_mov_b32_e32 v17, 0
	s_mov_b64 s[0:1], 0
	s_mov_b32 s11, 0
	s_mov_b64 s[4:5], 0
.LBB0_197:                              ;   Parent Loop BB0_162 Depth=1
                                        ; =>  This Inner Loop Header: Depth=2
	s_wait_alu 0xfffe
	v_add_co_u32 v19, vcc_lo, v22, s4
	s_wait_alu 0xfffd
	v_add_co_ci_u32_e32 v20, vcc_lo, s5, v23, vcc_lo
	s_add_nc_u64 s[4:5], s[4:5], 1
	s_wait_alu 0xfffe
	v_cmp_eq_u32_e32 vcc_lo, s4, v18
	flat_load_u8 v6, v[19:20]
	v_mov_b32_e32 v20, s8
	s_or_b32 s11, vcc_lo, s11
	s_wait_loadcnt_dscnt 0x0
	v_and_b32_e32 v19, 0xffff, v6
	s_delay_alu instid0(VALU_DEP_1) | instskip(SKIP_1) | instid1(VALU_DEP_1)
	v_lshlrev_b64_e32 v[19:20], s0, v[19:20]
	s_add_nc_u64 s[0:1], s[0:1], 8
	v_or_b32_e32 v17, v20, v17
	s_delay_alu instid0(VALU_DEP_2)
	v_or_b32_e32 v16, v19, v16
	s_wait_alu 0xfffe
	s_and_not1_b32 exec_lo, exec_lo, s11
	s_cbranch_execnz .LBB0_197
; %bb.198:                              ;   in Loop: Header=BB0_162 Depth=1
	s_or_b32 exec_lo, exec_lo, s11
.LBB0_199:                              ;   in Loop: Header=BB0_162 Depth=1
	s_wait_alu 0xfffe
	s_or_b32 exec_lo, exec_lo, s10
	s_mov_b32 s1, 0
                                        ; implicit-def: $vgpr18
.LBB0_200:                              ;   in Loop: Header=BB0_162 Depth=1
	s_wait_alu 0xfffe
	s_or_saveexec_b32 s0, s9
	v_mov_b32_e32 v6, s1
	s_wait_alu 0xfffe
	s_xor_b32 exec_lo, exec_lo, s0
	s_cbranch_execz .LBB0_202
; %bb.201:                              ;   in Loop: Header=BB0_162 Depth=1
	flat_load_b64 v[16:17], v[22:23]
	v_add_co_u32 v22, vcc_lo, v22, 8
	s_wait_alu 0xfffd
	v_add_co_ci_u32_e32 v23, vcc_lo, 0, v23, vcc_lo
	s_wait_loadcnt_dscnt 0x0
	v_and_b32_e32 v6, 0xff, v17
	v_and_b32_e32 v19, 0xff00, v17
	;; [unrolled: 1-line block ×4, first 2 shown]
	v_or3_b32 v16, v16, 0, 0
	s_delay_alu instid0(VALU_DEP_4) | instskip(SKIP_1) | instid1(VALU_DEP_2)
	v_or_b32_e32 v19, v6, v19
	v_add_nc_u32_e32 v6, -8, v18
	v_or3_b32 v17, v19, v20, v17
.LBB0_202:                              ;   in Loop: Header=BB0_162 Depth=1
	s_or_b32 exec_lo, exec_lo, s0
                                        ; implicit-def: $vgpr18_vgpr19
                                        ; implicit-def: $sgpr1
	s_delay_alu instid0(SALU_CYCLE_1) | instskip(NEXT) | instid1(VALU_DEP_1)
	s_mov_b32 s0, exec_lo
	v_cmpx_gt_u32_e32 8, v6
	s_wait_alu 0xfffe
	s_xor_b32 s9, exec_lo, s0
	s_cbranch_execz .LBB0_208
; %bb.203:                              ;   in Loop: Header=BB0_162 Depth=1
	v_mov_b32_e32 v18, 0
	v_mov_b32_e32 v19, 0
	s_mov_b32 s10, exec_lo
	v_cmpx_ne_u32_e32 0, v6
	s_cbranch_execz .LBB0_207
; %bb.204:                              ;   in Loop: Header=BB0_162 Depth=1
	v_mov_b32_e32 v18, 0
	v_mov_b32_e32 v19, 0
	s_mov_b64 s[0:1], 0
	s_mov_b32 s11, 0
	s_mov_b64 s[4:5], 0
.LBB0_205:                              ;   Parent Loop BB0_162 Depth=1
                                        ; =>  This Inner Loop Header: Depth=2
	s_wait_alu 0xfffe
	v_add_co_u32 v20, vcc_lo, v22, s4
	s_wait_alu 0xfffd
	v_add_co_ci_u32_e32 v21, vcc_lo, s5, v23, vcc_lo
	s_add_nc_u64 s[4:5], s[4:5], 1
	s_wait_alu 0xfffe
	v_cmp_eq_u32_e32 vcc_lo, s4, v6
	flat_load_u8 v20, v[20:21]
	v_mov_b32_e32 v21, s8
	s_or_b32 s11, vcc_lo, s11
	s_wait_loadcnt_dscnt 0x0
	v_and_b32_e32 v20, 0xffff, v20
	s_delay_alu instid0(VALU_DEP_1) | instskip(SKIP_1) | instid1(VALU_DEP_1)
	v_lshlrev_b64_e32 v[20:21], s0, v[20:21]
	s_add_nc_u64 s[0:1], s[0:1], 8
	v_or_b32_e32 v19, v21, v19
	s_delay_alu instid0(VALU_DEP_2)
	v_or_b32_e32 v18, v20, v18
	s_wait_alu 0xfffe
	s_and_not1_b32 exec_lo, exec_lo, s11
	s_cbranch_execnz .LBB0_205
; %bb.206:                              ;   in Loop: Header=BB0_162 Depth=1
	s_or_b32 exec_lo, exec_lo, s11
.LBB0_207:                              ;   in Loop: Header=BB0_162 Depth=1
	s_wait_alu 0xfffe
	s_or_b32 exec_lo, exec_lo, s10
	s_mov_b32 s1, 0
                                        ; implicit-def: $vgpr6
.LBB0_208:                              ;   in Loop: Header=BB0_162 Depth=1
	s_wait_alu 0xfffe
	s_or_saveexec_b32 s0, s9
	v_mov_b32_e32 v24, s1
	s_wait_alu 0xfffe
	s_xor_b32 exec_lo, exec_lo, s0
	s_cbranch_execz .LBB0_210
; %bb.209:                              ;   in Loop: Header=BB0_162 Depth=1
	flat_load_b64 v[18:19], v[22:23]
	v_add_co_u32 v22, vcc_lo, v22, 8
	v_add_nc_u32_e32 v24, -8, v6
	s_wait_alu 0xfffd
	v_add_co_ci_u32_e32 v23, vcc_lo, 0, v23, vcc_lo
	s_wait_loadcnt_dscnt 0x0
	v_and_b32_e32 v20, 0xff, v19
	v_and_b32_e32 v21, 0xff00, v19
	;; [unrolled: 1-line block ×4, first 2 shown]
	v_or3_b32 v18, v18, 0, 0
	s_delay_alu instid0(VALU_DEP_4) | instskip(NEXT) | instid1(VALU_DEP_1)
	v_or_b32_e32 v20, v20, v21
	v_or3_b32 v19, v20, v25, v19
.LBB0_210:                              ;   in Loop: Header=BB0_162 Depth=1
	s_or_b32 exec_lo, exec_lo, s0
	s_delay_alu instid0(SALU_CYCLE_1)
	s_mov_b32 s0, exec_lo
	v_cmpx_gt_u32_e32 8, v24
	s_wait_alu 0xfffe
	s_xor_b32 s1, exec_lo, s0
	s_cbranch_execz .LBB0_216
; %bb.211:                              ;   in Loop: Header=BB0_162 Depth=1
	v_mov_b32_e32 v20, 0
	v_mov_b32_e32 v21, 0
	s_mov_b32 s9, exec_lo
	v_cmpx_ne_u32_e32 0, v24
	s_cbranch_execz .LBB0_215
; %bb.212:                              ;   in Loop: Header=BB0_162 Depth=1
	v_mov_b32_e32 v20, 0
	v_mov_b32_e32 v21, 0
	s_mov_b64 s[4:5], 0
	s_mov_b32 s10, 0
.LBB0_213:                              ;   Parent Loop BB0_162 Depth=1
                                        ; =>  This Inner Loop Header: Depth=2
	flat_load_u8 v6, v[22:23]
	v_dual_mov_b32 v31, s8 :: v_dual_add_nc_u32 v24, -1, v24
	v_add_co_u32 v22, vcc_lo, v22, 1
	s_wait_alu 0xfffd
	v_add_co_ci_u32_e32 v23, vcc_lo, 0, v23, vcc_lo
	s_delay_alu instid0(VALU_DEP_3) | instskip(SKIP_1) | instid1(VALU_DEP_1)
	v_cmp_eq_u32_e64 s0, 0, v24
	s_wait_alu 0xfffe
	s_or_b32 s10, s0, s10
	s_wait_loadcnt_dscnt 0x0
	v_and_b32_e32 v30, 0xffff, v6
	s_delay_alu instid0(VALU_DEP_1) | instskip(SKIP_1) | instid1(VALU_DEP_1)
	v_lshlrev_b64_e32 v[30:31], s4, v[30:31]
	s_add_nc_u64 s[4:5], s[4:5], 8
	v_or_b32_e32 v21, v31, v21
	s_delay_alu instid0(VALU_DEP_2)
	v_or_b32_e32 v20, v30, v20
	s_wait_alu 0xfffe
	s_and_not1_b32 exec_lo, exec_lo, s10
	s_cbranch_execnz .LBB0_213
; %bb.214:                              ;   in Loop: Header=BB0_162 Depth=1
	s_or_b32 exec_lo, exec_lo, s10
.LBB0_215:                              ;   in Loop: Header=BB0_162 Depth=1
	s_wait_alu 0xfffe
	s_or_b32 exec_lo, exec_lo, s9
                                        ; implicit-def: $vgpr22_vgpr23
.LBB0_216:                              ;   in Loop: Header=BB0_162 Depth=1
	s_wait_alu 0xfffe
	s_and_not1_saveexec_b32 s0, s1
	s_cbranch_execz .LBB0_218
; %bb.217:                              ;   in Loop: Header=BB0_162 Depth=1
	flat_load_b64 v[20:21], v[22:23]
	s_wait_loadcnt_dscnt 0x0
	v_and_b32_e32 v6, 0xff, v21
	v_and_b32_e32 v22, 0xff00, v21
	;; [unrolled: 1-line block ×4, first 2 shown]
	v_or3_b32 v20, v20, 0, 0
	s_delay_alu instid0(VALU_DEP_4) | instskip(NEXT) | instid1(VALU_DEP_1)
	v_or_b32_e32 v6, v6, v22
	v_or3_b32 v21, v6, v23, v21
.LBB0_218:                              ;   in Loop: Header=BB0_162 Depth=1
	s_wait_alu 0xfffe
	s_or_b32 exec_lo, exec_lo, s0
	v_readfirstlane_b32 s0, v35
	v_mov_b32_e32 v30, 0
	v_mov_b32_e32 v31, 0
	s_wait_alu 0xf1ff
	s_delay_alu instid0(VALU_DEP_3) | instskip(NEXT) | instid1(VALU_DEP_1)
	v_cmp_eq_u32_e64 s0, s0, v35
	s_and_saveexec_b32 s1, s0
	s_cbranch_execz .LBB0_224
; %bb.219:                              ;   in Loop: Header=BB0_162 Depth=1
	global_load_b64 v[24:25], v7, s[2:3] offset:24 scope:SCOPE_SYS
	s_wait_loadcnt 0x0
	global_inv scope:SCOPE_SYS
	s_clause 0x1
	global_load_b64 v[22:23], v7, s[2:3] offset:40
	global_load_b64 v[30:31], v7, s[2:3]
	s_mov_b32 s4, exec_lo
	s_wait_loadcnt 0x1
	v_and_b32_e32 v6, v23, v25
	v_and_b32_e32 v22, v22, v24
	s_delay_alu instid0(VALU_DEP_2) | instskip(NEXT) | instid1(VALU_DEP_2)
	v_mul_lo_u32 v6, 24, v6
	v_mul_lo_u32 v23, 0, v22
	v_mul_hi_u32 v32, 24, v22
	v_mul_lo_u32 v22, 24, v22
	s_delay_alu instid0(VALU_DEP_3) | instskip(SKIP_1) | instid1(VALU_DEP_2)
	v_add_nc_u32_e32 v6, v6, v23
	s_wait_loadcnt 0x0
	v_add_co_u32 v22, vcc_lo, v30, v22
	s_delay_alu instid0(VALU_DEP_2) | instskip(SKIP_1) | instid1(VALU_DEP_1)
	v_add_nc_u32_e32 v6, v6, v32
	s_wait_alu 0xfffd
	v_add_co_ci_u32_e32 v23, vcc_lo, v31, v6, vcc_lo
	global_load_b64 v[22:23], v[22:23], off scope:SCOPE_SYS
	s_wait_loadcnt 0x0
	global_atomic_cmpswap_b64 v[30:31], v7, v[22:25], s[2:3] offset:24 th:TH_ATOMIC_RETURN scope:SCOPE_SYS
	s_wait_loadcnt 0x0
	global_inv scope:SCOPE_SYS
	v_cmpx_ne_u64_e64 v[30:31], v[24:25]
	s_cbranch_execz .LBB0_223
; %bb.220:                              ;   in Loop: Header=BB0_162 Depth=1
	s_mov_b32 s5, 0
.LBB0_221:                              ;   Parent Loop BB0_162 Depth=1
                                        ; =>  This Inner Loop Header: Depth=2
	s_sleep 1
	s_clause 0x1
	global_load_b64 v[22:23], v7, s[2:3] offset:40
	global_load_b64 v[32:33], v7, s[2:3]
	v_dual_mov_b32 v24, v30 :: v_dual_mov_b32 v25, v31
	s_wait_loadcnt 0x1
	s_delay_alu instid0(VALU_DEP_1) | instskip(NEXT) | instid1(VALU_DEP_2)
	v_and_b32_e32 v6, v22, v24
	v_and_b32_e32 v22, v23, v25
	s_wait_loadcnt 0x0
	s_delay_alu instid0(VALU_DEP_2) | instskip(NEXT) | instid1(VALU_DEP_1)
	v_mad_co_u64_u32 v[30:31], null, v6, 24, v[32:33]
	v_mov_b32_e32 v6, v31
	s_delay_alu instid0(VALU_DEP_1) | instskip(NEXT) | instid1(VALU_DEP_1)
	v_mad_co_u64_u32 v[22:23], null, v22, 24, v[6:7]
	v_mov_b32_e32 v31, v22
	global_load_b64 v[22:23], v[30:31], off scope:SCOPE_SYS
	s_wait_loadcnt 0x0
	global_atomic_cmpswap_b64 v[30:31], v7, v[22:25], s[2:3] offset:24 th:TH_ATOMIC_RETURN scope:SCOPE_SYS
	s_wait_loadcnt 0x0
	global_inv scope:SCOPE_SYS
	v_cmp_eq_u64_e32 vcc_lo, v[30:31], v[24:25]
	s_wait_alu 0xfffe
	s_or_b32 s5, vcc_lo, s5
	s_wait_alu 0xfffe
	s_and_not1_b32 exec_lo, exec_lo, s5
	s_cbranch_execnz .LBB0_221
; %bb.222:                              ;   in Loop: Header=BB0_162 Depth=1
	s_or_b32 exec_lo, exec_lo, s5
.LBB0_223:                              ;   in Loop: Header=BB0_162 Depth=1
	s_wait_alu 0xfffe
	s_or_b32 exec_lo, exec_lo, s4
.LBB0_224:                              ;   in Loop: Header=BB0_162 Depth=1
	s_wait_alu 0xfffe
	s_or_b32 exec_lo, exec_lo, s1
	s_clause 0x1
	global_load_b64 v[32:33], v7, s[2:3] offset:40
	global_load_b128 v[22:25], v7, s[2:3]
	v_readfirstlane_b32 s1, v31
	v_readfirstlane_b32 s4, v30
	s_mov_b32 s5, exec_lo
	s_wait_loadcnt 0x1
	s_wait_alu 0xf1ff
	v_and_b32_e32 v33, s1, v33
	v_and_b32_e32 v32, s4, v32
	s_delay_alu instid0(VALU_DEP_2) | instskip(NEXT) | instid1(VALU_DEP_2)
	v_mul_lo_u32 v6, 24, v33
	v_mul_lo_u32 v30, 0, v32
	v_mul_hi_u32 v31, 24, v32
	v_mul_lo_u32 v36, 24, v32
	s_delay_alu instid0(VALU_DEP_3) | instskip(SKIP_1) | instid1(VALU_DEP_2)
	v_add_nc_u32_e32 v6, v6, v30
	s_wait_loadcnt 0x0
	v_add_co_u32 v30, vcc_lo, v22, v36
	s_delay_alu instid0(VALU_DEP_2) | instskip(SKIP_1) | instid1(VALU_DEP_1)
	v_add_nc_u32_e32 v6, v6, v31
	s_wait_alu 0xfffd
	v_add_co_ci_u32_e32 v31, vcc_lo, v23, v6, vcc_lo
	s_and_saveexec_b32 s9, s0
	s_cbranch_execz .LBB0_226
; %bb.225:                              ;   in Loop: Header=BB0_162 Depth=1
	s_wait_alu 0xfffe
	v_mov_b32_e32 v6, s5
	global_store_b128 v[30:31], v[6:9], off offset:8
.LBB0_226:                              ;   in Loop: Header=BB0_162 Depth=1
	s_wait_alu 0xfffe
	s_or_b32 exec_lo, exec_lo, s9
	v_lshlrev_b64_e32 v[32:33], 12, v[32:33]
	v_cmp_lt_u64_e32 vcc_lo, 56, v[26:27]
	v_or_b32_e32 v6, 2, v2
	v_lshl_add_u32 v36, v28, 2, 28
	s_wait_alu 0xfffd
	s_delay_alu instid0(VALU_DEP_2) | instskip(SKIP_1) | instid1(VALU_DEP_3)
	v_cndmask_b32_e32 v2, v6, v2, vcc_lo
	v_add_co_u32 v24, vcc_lo, v24, v32
	v_and_b32_e32 v6, 0x1e0, v36
	s_wait_alu 0xfffd
	v_add_co_ci_u32_e32 v25, vcc_lo, v25, v33, vcc_lo
	s_delay_alu instid0(VALU_DEP_3) | instskip(NEXT) | instid1(VALU_DEP_3)
	v_readfirstlane_b32 s10, v24
	v_and_or_b32 v2, 0xffffff1f, v2, v6
	s_delay_alu instid0(VALU_DEP_3)
	v_readfirstlane_b32 s11, v25
	s_clause 0x3
	global_store_b128 v34, v[2:5], s[10:11]
	global_store_b128 v34, v[10:13], s[10:11] offset:16
	global_store_b128 v34, v[14:17], s[10:11] offset:32
	;; [unrolled: 1-line block ×3, first 2 shown]
	s_and_saveexec_b32 s5, s0
	s_cbranch_execz .LBB0_234
; %bb.227:                              ;   in Loop: Header=BB0_162 Depth=1
	s_clause 0x1
	global_load_b64 v[14:15], v7, s[2:3] offset:32 scope:SCOPE_SYS
	global_load_b64 v[2:3], v7, s[2:3] offset:40
	s_mov_b32 s9, exec_lo
	v_dual_mov_b32 v12, s4 :: v_dual_mov_b32 v13, s1
	s_wait_loadcnt 0x0
	v_and_b32_e32 v3, s1, v3
	v_and_b32_e32 v2, s4, v2
	s_delay_alu instid0(VALU_DEP_2) | instskip(NEXT) | instid1(VALU_DEP_2)
	v_mul_lo_u32 v3, 24, v3
	v_mul_lo_u32 v4, 0, v2
	v_mul_hi_u32 v5, 24, v2
	v_mul_lo_u32 v2, 24, v2
	s_delay_alu instid0(VALU_DEP_3) | instskip(NEXT) | instid1(VALU_DEP_2)
	v_add_nc_u32_e32 v3, v3, v4
	v_add_co_u32 v10, vcc_lo, v22, v2
	s_delay_alu instid0(VALU_DEP_2) | instskip(SKIP_1) | instid1(VALU_DEP_1)
	v_add_nc_u32_e32 v3, v3, v5
	s_wait_alu 0xfffd
	v_add_co_ci_u32_e32 v11, vcc_lo, v23, v3, vcc_lo
	global_store_b64 v[10:11], v[14:15], off
	global_wb scope:SCOPE_SYS
	s_wait_storecnt 0x0
	global_atomic_cmpswap_b64 v[4:5], v7, v[12:15], s[2:3] offset:32 th:TH_ATOMIC_RETURN scope:SCOPE_SYS
	s_wait_loadcnt 0x0
	v_cmpx_ne_u64_e64 v[4:5], v[14:15]
	s_cbranch_execz .LBB0_230
; %bb.228:                              ;   in Loop: Header=BB0_162 Depth=1
	s_mov_b32 s10, 0
.LBB0_229:                              ;   Parent Loop BB0_162 Depth=1
                                        ; =>  This Inner Loop Header: Depth=2
	v_dual_mov_b32 v2, s4 :: v_dual_mov_b32 v3, s1
	s_sleep 1
	global_store_b64 v[10:11], v[4:5], off
	global_wb scope:SCOPE_SYS
	s_wait_storecnt 0x0
	global_atomic_cmpswap_b64 v[2:3], v7, v[2:5], s[2:3] offset:32 th:TH_ATOMIC_RETURN scope:SCOPE_SYS
	s_wait_loadcnt 0x0
	v_cmp_eq_u64_e32 vcc_lo, v[2:3], v[4:5]
	v_dual_mov_b32 v5, v3 :: v_dual_mov_b32 v4, v2
	s_wait_alu 0xfffe
	s_or_b32 s10, vcc_lo, s10
	s_wait_alu 0xfffe
	s_and_not1_b32 exec_lo, exec_lo, s10
	s_cbranch_execnz .LBB0_229
.LBB0_230:                              ;   in Loop: Header=BB0_162 Depth=1
	s_wait_alu 0xfffe
	s_or_b32 exec_lo, exec_lo, s9
	global_load_b64 v[2:3], v7, s[2:3] offset:16
	s_mov_b32 s10, exec_lo
	s_mov_b32 s9, exec_lo
	s_wait_alu 0xfffe
	v_mbcnt_lo_u32_b32 v4, s10, 0
	s_delay_alu instid0(VALU_DEP_1)
	v_cmpx_eq_u32_e32 0, v4
	s_cbranch_execz .LBB0_232
; %bb.231:                              ;   in Loop: Header=BB0_162 Depth=1
	s_bcnt1_i32_b32 s10, s10
	s_wait_alu 0xfffe
	v_mov_b32_e32 v6, s10
	global_wb scope:SCOPE_SYS
	s_wait_loadcnt 0x0
	global_atomic_add_u64 v[2:3], v[6:7], off offset:8 scope:SCOPE_SYS
.LBB0_232:                              ;   in Loop: Header=BB0_162 Depth=1
	s_or_b32 exec_lo, exec_lo, s9
	s_wait_loadcnt 0x0
	global_load_b64 v[4:5], v[2:3], off offset:16
	s_wait_loadcnt 0x0
	v_cmp_eq_u64_e32 vcc_lo, 0, v[4:5]
	s_cbranch_vccnz .LBB0_234
; %bb.233:                              ;   in Loop: Header=BB0_162 Depth=1
	global_load_b32 v6, v[2:3], off offset:24
	s_wait_loadcnt 0x0
	v_and_b32_e32 v2, 0xffffff, v6
	global_wb scope:SCOPE_SYS
	s_wait_storecnt 0x0
	global_store_b64 v[4:5], v[6:7], off scope:SCOPE_SYS
	v_readfirstlane_b32 m0, v2
	s_sendmsg sendmsg(MSG_INTERRUPT)
.LBB0_234:                              ;   in Loop: Header=BB0_162 Depth=1
	s_wait_alu 0xfffe
	s_or_b32 exec_lo, exec_lo, s5
	v_add_co_u32 v2, vcc_lo, v24, v34
	s_wait_alu 0xfffd
	v_add_co_ci_u32_e32 v3, vcc_lo, 0, v25, vcc_lo
	s_branch .LBB0_238
.LBB0_235:                              ;   in Loop: Header=BB0_238 Depth=2
	s_wait_alu 0xfffe
	s_or_b32 exec_lo, exec_lo, s5
	s_delay_alu instid0(VALU_DEP_1) | instskip(NEXT) | instid1(VALU_DEP_1)
	v_readfirstlane_b32 s5, v4
	s_cmp_eq_u32 s5, 0
	s_cbranch_scc1 .LBB0_237
; %bb.236:                              ;   in Loop: Header=BB0_238 Depth=2
	s_sleep 1
	s_cbranch_execnz .LBB0_238
	s_branch .LBB0_240
.LBB0_237:                              ;   in Loop: Header=BB0_162 Depth=1
	s_branch .LBB0_240
.LBB0_238:                              ;   Parent Loop BB0_162 Depth=1
                                        ; =>  This Inner Loop Header: Depth=2
	v_mov_b32_e32 v4, 1
	s_and_saveexec_b32 s5, s0
	s_cbranch_execz .LBB0_235
; %bb.239:                              ;   in Loop: Header=BB0_238 Depth=2
	global_load_b32 v4, v[30:31], off offset:20 scope:SCOPE_SYS
	s_wait_loadcnt 0x0
	global_inv scope:SCOPE_SYS
	v_and_b32_e32 v4, 1, v4
	s_branch .LBB0_235
.LBB0_240:                              ;   in Loop: Header=BB0_162 Depth=1
	global_load_b128 v[2:5], v[2:3], off
	s_and_saveexec_b32 s5, s0
	s_cbranch_execz .LBB0_161
; %bb.241:                              ;   in Loop: Header=BB0_162 Depth=1
	s_clause 0x2
	global_load_b64 v[4:5], v7, s[2:3] offset:40
	global_load_b64 v[14:15], v7, s[2:3] offset:24 scope:SCOPE_SYS
	global_load_b64 v[12:13], v7, s[2:3]
	s_wait_loadcnt 0x2
	v_add_co_u32 v6, vcc_lo, v4, 1
	s_wait_alu 0xfffd
	v_add_co_ci_u32_e32 v16, vcc_lo, 0, v5, vcc_lo
	s_delay_alu instid0(VALU_DEP_2) | instskip(SKIP_1) | instid1(VALU_DEP_2)
	v_add_co_u32 v10, vcc_lo, v6, s4
	s_wait_alu 0xfffd
	v_add_co_ci_u32_e32 v11, vcc_lo, s1, v16, vcc_lo
	s_delay_alu instid0(VALU_DEP_1) | instskip(SKIP_2) | instid1(VALU_DEP_1)
	v_cmp_eq_u64_e32 vcc_lo, 0, v[10:11]
	s_wait_alu 0xfffd
	v_dual_cndmask_b32 v11, v11, v16 :: v_dual_cndmask_b32 v10, v10, v6
	v_and_b32_e32 v5, v11, v5
	s_delay_alu instid0(VALU_DEP_2) | instskip(NEXT) | instid1(VALU_DEP_1)
	v_and_b32_e32 v4, v10, v4
	v_mul_lo_u32 v6, 0, v4
	v_mul_hi_u32 v16, 24, v4
	v_mul_lo_u32 v4, 24, v4
	s_wait_loadcnt 0x0
	s_delay_alu instid0(VALU_DEP_1) | instskip(SKIP_2) | instid1(VALU_DEP_1)
	v_add_co_u32 v4, vcc_lo, v12, v4
	v_mov_b32_e32 v12, v14
	v_mul_lo_u32 v5, 24, v5
	v_add_nc_u32_e32 v5, v5, v6
	s_delay_alu instid0(VALU_DEP_1) | instskip(SKIP_1) | instid1(VALU_DEP_1)
	v_add_nc_u32_e32 v5, v5, v16
	s_wait_alu 0xfffd
	v_add_co_ci_u32_e32 v5, vcc_lo, v13, v5, vcc_lo
	v_mov_b32_e32 v13, v15
	global_store_b64 v[4:5], v[14:15], off
	global_wb scope:SCOPE_SYS
	s_wait_storecnt 0x0
	global_atomic_cmpswap_b64 v[12:13], v7, v[10:13], s[2:3] offset:24 th:TH_ATOMIC_RETURN scope:SCOPE_SYS
	s_wait_loadcnt 0x0
	v_cmp_ne_u64_e32 vcc_lo, v[12:13], v[14:15]
	s_and_b32 exec_lo, exec_lo, vcc_lo
	s_cbranch_execz .LBB0_161
; %bb.242:                              ;   in Loop: Header=BB0_162 Depth=1
	s_mov_b32 s0, 0
.LBB0_243:                              ;   Parent Loop BB0_162 Depth=1
                                        ; =>  This Inner Loop Header: Depth=2
	s_sleep 1
	global_store_b64 v[4:5], v[12:13], off
	global_wb scope:SCOPE_SYS
	s_wait_storecnt 0x0
	global_atomic_cmpswap_b64 v[14:15], v7, v[10:13], s[2:3] offset:24 th:TH_ATOMIC_RETURN scope:SCOPE_SYS
	s_wait_loadcnt 0x0
	v_cmp_eq_u64_e32 vcc_lo, v[14:15], v[12:13]
	v_dual_mov_b32 v12, v14 :: v_dual_mov_b32 v13, v15
	s_wait_alu 0xfffe
	s_or_b32 s0, vcc_lo, s0
	s_wait_alu 0xfffe
	s_and_not1_b32 exec_lo, exec_lo, s0
	s_cbranch_execnz .LBB0_243
	s_branch .LBB0_161
.LBB0_244:
	s_and_saveexec_b32 s6, s0
	s_cbranch_execz .LBB0_248
; %bb.245:
	v_mov_b32_e32 v6, 0
	s_clause 0x2
	global_load_b64 v[2:3], v6, s[2:3] offset:40
	global_load_b64 v[7:8], v6, s[2:3] offset:24 scope:SCOPE_SYS
	global_load_b64 v[4:5], v6, s[2:3]
	s_wait_loadcnt 0x2
	v_add_co_u32 v9, vcc_lo, v2, 1
	s_wait_alu 0xfffd
	v_add_co_ci_u32_e32 v10, vcc_lo, 0, v3, vcc_lo
	s_delay_alu instid0(VALU_DEP_2) | instskip(SKIP_1) | instid1(VALU_DEP_2)
	v_add_co_u32 v0, vcc_lo, v9, s5
	s_wait_alu 0xfffd
	v_add_co_ci_u32_e32 v1, vcc_lo, s4, v10, vcc_lo
	s_delay_alu instid0(VALU_DEP_1) | instskip(SKIP_2) | instid1(VALU_DEP_1)
	v_cmp_eq_u64_e32 vcc_lo, 0, v[0:1]
	s_wait_alu 0xfffd
	v_dual_cndmask_b32 v1, v1, v10 :: v_dual_cndmask_b32 v0, v0, v9
	v_and_b32_e32 v3, v1, v3
	s_delay_alu instid0(VALU_DEP_2) | instskip(NEXT) | instid1(VALU_DEP_2)
	v_and_b32_e32 v2, v0, v2
	v_mul_lo_u32 v3, 24, v3
	s_delay_alu instid0(VALU_DEP_2) | instskip(SKIP_2) | instid1(VALU_DEP_3)
	v_mul_lo_u32 v9, 0, v2
	v_mul_hi_u32 v10, 24, v2
	v_mul_lo_u32 v2, 24, v2
	v_add_nc_u32_e32 v3, v3, v9
	s_wait_loadcnt 0x0
	s_delay_alu instid0(VALU_DEP_2) | instskip(SKIP_1) | instid1(VALU_DEP_3)
	v_add_co_u32 v4, vcc_lo, v4, v2
	v_mov_b32_e32 v2, v7
	v_add_nc_u32_e32 v3, v3, v10
	s_wait_alu 0xfffd
	s_delay_alu instid0(VALU_DEP_1)
	v_add_co_ci_u32_e32 v5, vcc_lo, v5, v3, vcc_lo
	v_mov_b32_e32 v3, v8
	global_store_b64 v[4:5], v[7:8], off
	global_wb scope:SCOPE_SYS
	s_wait_storecnt 0x0
	global_atomic_cmpswap_b64 v[2:3], v6, v[0:3], s[2:3] offset:24 th:TH_ATOMIC_RETURN scope:SCOPE_SYS
	s_wait_loadcnt 0x0
	v_cmp_ne_u64_e32 vcc_lo, v[2:3], v[7:8]
	s_and_b32 exec_lo, exec_lo, vcc_lo
	s_cbranch_execz .LBB0_248
; %bb.246:
	s_mov_b32 s0, 0
.LBB0_247:                              ; =>This Inner Loop Header: Depth=1
	s_sleep 1
	global_store_b64 v[4:5], v[2:3], off
	global_wb scope:SCOPE_SYS
	s_wait_storecnt 0x0
	global_atomic_cmpswap_b64 v[7:8], v6, v[0:3], s[2:3] offset:24 th:TH_ATOMIC_RETURN scope:SCOPE_SYS
	s_wait_loadcnt 0x0
	v_cmp_eq_u64_e32 vcc_lo, v[7:8], v[2:3]
	v_dual_mov_b32 v2, v7 :: v_dual_mov_b32 v3, v8
	s_wait_alu 0xfffe
	s_or_b32 s0, vcc_lo, s0
	s_wait_alu 0xfffe
	s_and_not1_b32 exec_lo, exec_lo, s0
	s_cbranch_execnz .LBB0_247
.LBB0_248:
	s_wait_alu 0xfffe
	s_or_b32 exec_lo, exec_lo, s6
	s_delay_alu instid0(SALU_CYCLE_1)
	s_or_b32 exec_lo, exec_lo, s1
	s_wait_kmcnt 0x0
	s_wait_alu 0xfffd
	s_setpc_b64 s[30:31]
.LBB0_249:
	s_or_b32 exec_lo, exec_lo, s7
                                        ; implicit-def: $vgpr2_vgpr3
                                        ; implicit-def: $vgpr34
                                        ; implicit-def: $vgpr35
	s_and_not1_saveexec_b32 s1, s6
	s_cbranch_execnz .LBB0_136
.LBB0_250:
	s_wait_alu 0xfffe
	s_or_b32 exec_lo, exec_lo, s1
	s_wait_loadcnt 0x0
	s_wait_kmcnt 0x0
	s_setpc_b64 s[30:31]
.Lfunc_end0:
	.size	_ZNK8migraphx13basic_printerIZNS_4coutEvEUlT_E_ElsEPKc, .Lfunc_end0-_ZNK8migraphx13basic_printerIZNS_4coutEvEUlT_E_ElsEPKc
                                        ; -- End function
	.section	.AMDGPU.csdata,"",@progbits
; Function info:
; codeLenInByte = 12044
; NumSgprs: 34
; NumVgprs: 37
; ScratchSize: 0
; MemoryBound: 0
	.text
	.p2align	2                               ; -- Begin function _ZN8migraphx4testlsIKNS_13basic_printerIZNS_4coutEvEUlT_E_EEEERS3_S7_RKNS0_14lhs_expressionIbNS0_3nopEEE
	.type	_ZN8migraphx4testlsIKNS_13basic_printerIZNS_4coutEvEUlT_E_EEEERS3_S7_RKNS0_14lhs_expressionIbNS0_3nopEEE,@function
_ZN8migraphx4testlsIKNS_13basic_printerIZNS_4coutEvEUlT_E_EEEERS3_S7_RKNS0_14lhs_expressionIbNS0_3nopEEE: ; @_ZN8migraphx4testlsIKNS_13basic_printerIZNS_4coutEvEUlT_E_EEEERS3_S7_RKNS0_14lhs_expressionIbNS0_3nopEEE
; %bb.0:
	s_wait_loadcnt_dscnt 0x0
	s_wait_expcnt 0x0
	s_wait_samplecnt 0x0
	s_wait_bvhcnt 0x0
	s_wait_kmcnt 0x0
	s_load_b64 s[2:3], s[8:9], 0x50
	v_and_b32_e32 v0, 1, v0
	v_mbcnt_lo_u32_b32 v30, -1, 0
	s_delay_alu instid0(VALU_DEP_2)
	v_cmp_eq_u32_e32 vcc_lo, 1, v0
	s_xor_b32 s0, vcc_lo, -1
	s_wait_alu 0xfffe
	s_and_saveexec_b32 s1, s0
	s_wait_alu 0xfffe
	s_xor_b32 s14, exec_lo, s1
	s_cbranch_execz .LBB1_106
; %bb.1:
	v_readfirstlane_b32 s0, v30
	v_mov_b32_e32 v6, 0
	v_mov_b32_e32 v7, 0
	s_wait_alu 0xf1ff
	s_delay_alu instid0(VALU_DEP_3) | instskip(NEXT) | instid1(VALU_DEP_1)
	v_cmp_eq_u32_e64 s0, s0, v30
	s_and_saveexec_b32 s1, s0
	s_cbranch_execz .LBB1_7
; %bb.2:
	v_mov_b32_e32 v0, 0
	s_mov_b32 s4, exec_lo
	s_wait_kmcnt 0x0
	global_load_b64 v[3:4], v0, s[2:3] offset:24 scope:SCOPE_SYS
	s_wait_loadcnt 0x0
	global_inv scope:SCOPE_SYS
	s_clause 0x1
	global_load_b64 v[1:2], v0, s[2:3] offset:40
	global_load_b64 v[5:6], v0, s[2:3]
	s_wait_loadcnt 0x1
	v_and_b32_e32 v1, v1, v3
	v_and_b32_e32 v2, v2, v4
	s_delay_alu instid0(VALU_DEP_2) | instskip(NEXT) | instid1(VALU_DEP_2)
	v_mul_lo_u32 v7, 0, v1
	v_mul_lo_u32 v2, 24, v2
	v_mul_hi_u32 v8, 24, v1
	v_mul_lo_u32 v1, 24, v1
	s_delay_alu instid0(VALU_DEP_3) | instskip(SKIP_1) | instid1(VALU_DEP_2)
	v_add_nc_u32_e32 v2, v2, v7
	s_wait_loadcnt 0x0
	v_add_co_u32 v1, vcc_lo, v5, v1
	s_delay_alu instid0(VALU_DEP_2) | instskip(SKIP_1) | instid1(VALU_DEP_1)
	v_add_nc_u32_e32 v2, v2, v8
	s_wait_alu 0xfffd
	v_add_co_ci_u32_e32 v2, vcc_lo, v6, v2, vcc_lo
	global_load_b64 v[1:2], v[1:2], off scope:SCOPE_SYS
	s_wait_loadcnt 0x0
	global_atomic_cmpswap_b64 v[6:7], v0, v[1:4], s[2:3] offset:24 th:TH_ATOMIC_RETURN scope:SCOPE_SYS
	s_wait_loadcnt 0x0
	global_inv scope:SCOPE_SYS
	v_cmpx_ne_u64_e64 v[6:7], v[3:4]
	s_cbranch_execz .LBB1_6
; %bb.3:
	s_mov_b32 s5, 0
.LBB1_4:                                ; =>This Inner Loop Header: Depth=1
	s_sleep 1
	s_clause 0x1
	global_load_b64 v[1:2], v0, s[2:3] offset:40
	global_load_b64 v[8:9], v0, s[2:3]
	v_dual_mov_b32 v3, v6 :: v_dual_mov_b32 v4, v7
	s_wait_loadcnt 0x1
	s_delay_alu instid0(VALU_DEP_1) | instskip(NEXT) | instid1(VALU_DEP_2)
	v_and_b32_e32 v1, v1, v3
	v_and_b32_e32 v2, v2, v4
	s_wait_loadcnt 0x0
	s_delay_alu instid0(VALU_DEP_2) | instskip(NEXT) | instid1(VALU_DEP_1)
	v_mad_co_u64_u32 v[5:6], null, v1, 24, v[8:9]
	v_mov_b32_e32 v1, v6
	s_delay_alu instid0(VALU_DEP_1) | instskip(NEXT) | instid1(VALU_DEP_1)
	v_mad_co_u64_u32 v[1:2], null, v2, 24, v[1:2]
	v_mov_b32_e32 v6, v1
	global_load_b64 v[1:2], v[5:6], off scope:SCOPE_SYS
	s_wait_loadcnt 0x0
	global_atomic_cmpswap_b64 v[6:7], v0, v[1:4], s[2:3] offset:24 th:TH_ATOMIC_RETURN scope:SCOPE_SYS
	s_wait_loadcnt 0x0
	global_inv scope:SCOPE_SYS
	v_cmp_eq_u64_e32 vcc_lo, v[6:7], v[3:4]
	s_wait_alu 0xfffe
	s_or_b32 s5, vcc_lo, s5
	s_wait_alu 0xfffe
	s_and_not1_b32 exec_lo, exec_lo, s5
	s_cbranch_execnz .LBB1_4
; %bb.5:
	s_or_b32 exec_lo, exec_lo, s5
.LBB1_6:
	s_wait_alu 0xfffe
	s_or_b32 exec_lo, exec_lo, s4
.LBB1_7:
	s_wait_alu 0xfffe
	s_or_b32 exec_lo, exec_lo, s1
	v_readfirstlane_b32 s4, v6
	v_mov_b32_e32 v5, 0
	v_readfirstlane_b32 s1, v7
	s_mov_b32 s5, exec_lo
	s_wait_kmcnt 0x0
	s_clause 0x1
	global_load_b64 v[8:9], v5, s[2:3] offset:40
	global_load_b128 v[0:3], v5, s[2:3]
	s_wait_loadcnt 0x1
	s_wait_alu 0xf1ff
	v_and_b32_e32 v10, s4, v8
	v_and_b32_e32 v11, s1, v9
	s_delay_alu instid0(VALU_DEP_2) | instskip(NEXT) | instid1(VALU_DEP_2)
	v_mul_lo_u32 v6, 0, v10
	v_mul_lo_u32 v4, 24, v11
	v_mul_hi_u32 v7, 24, v10
	v_mul_lo_u32 v8, 24, v10
	s_delay_alu instid0(VALU_DEP_3) | instskip(SKIP_1) | instid1(VALU_DEP_2)
	v_add_nc_u32_e32 v4, v4, v6
	s_wait_loadcnt 0x0
	v_add_co_u32 v8, vcc_lo, v0, v8
	s_delay_alu instid0(VALU_DEP_2) | instskip(SKIP_1) | instid1(VALU_DEP_1)
	v_add_nc_u32_e32 v4, v4, v7
	s_wait_alu 0xfffd
	v_add_co_ci_u32_e32 v9, vcc_lo, v1, v4, vcc_lo
	s_and_saveexec_b32 s6, s0
	s_cbranch_execz .LBB1_9
; %bb.8:
	s_wait_alu 0xfffe
	v_dual_mov_b32 v4, s5 :: v_dual_mov_b32 v7, 1
	v_mov_b32_e32 v6, 2
	global_store_b128 v[8:9], v[4:7], off offset:8
.LBB1_9:
	s_wait_alu 0xfffe
	s_or_b32 exec_lo, exec_lo, s6
	v_lshlrev_b64_e32 v[10:11], 12, v[10:11]
	v_dual_mov_b32 v4, 33 :: v_dual_lshlrev_b32 v31, 6, v30
	s_mov_b32 s8, 0
	v_dual_mov_b32 v6, v5 :: v_dual_mov_b32 v7, v5
	s_delay_alu instid0(VALU_DEP_3)
	v_add_co_u32 v2, vcc_lo, v2, v10
	s_wait_alu 0xfffd
	v_add_co_ci_u32_e32 v3, vcc_lo, v3, v11, vcc_lo
	s_wait_alu 0xfffe
	s_mov_b32 s11, s8
	v_add_co_u32 v10, vcc_lo, v2, v31
	s_mov_b32 s9, s8
	s_mov_b32 s10, s8
	v_readfirstlane_b32 s6, v2
	v_readfirstlane_b32 s7, v3
	s_wait_alu 0xfffe
	v_dual_mov_b32 v15, s11 :: v_dual_mov_b32 v14, s10
	s_wait_alu 0xfffd
	v_add_co_ci_u32_e32 v11, vcc_lo, 0, v3, vcc_lo
	v_dual_mov_b32 v13, s9 :: v_dual_mov_b32 v12, s8
	s_clause 0x3
	global_store_b128 v31, v[4:7], s[6:7]
	global_store_b128 v31, v[12:15], s[6:7] offset:16
	global_store_b128 v31, v[12:15], s[6:7] offset:32
	;; [unrolled: 1-line block ×3, first 2 shown]
	s_and_saveexec_b32 s5, s0
	s_cbranch_execz .LBB1_17
; %bb.10:
	v_mov_b32_e32 v6, 0
	s_mov_b32 s6, exec_lo
	s_clause 0x1
	global_load_b64 v[14:15], v6, s[2:3] offset:32 scope:SCOPE_SYS
	global_load_b64 v[2:3], v6, s[2:3] offset:40
	v_dual_mov_b32 v13, s1 :: v_dual_mov_b32 v12, s4
	s_wait_loadcnt 0x0
	v_and_b32_e32 v3, s1, v3
	v_and_b32_e32 v2, s4, v2
	s_delay_alu instid0(VALU_DEP_2) | instskip(NEXT) | instid1(VALU_DEP_2)
	v_mul_lo_u32 v3, 24, v3
	v_mul_lo_u32 v4, 0, v2
	v_mul_hi_u32 v5, 24, v2
	v_mul_lo_u32 v2, 24, v2
	s_delay_alu instid0(VALU_DEP_3) | instskip(NEXT) | instid1(VALU_DEP_2)
	v_add_nc_u32_e32 v3, v3, v4
	v_add_co_u32 v4, vcc_lo, v0, v2
	s_delay_alu instid0(VALU_DEP_2) | instskip(SKIP_1) | instid1(VALU_DEP_1)
	v_add_nc_u32_e32 v3, v3, v5
	s_wait_alu 0xfffd
	v_add_co_ci_u32_e32 v5, vcc_lo, v1, v3, vcc_lo
	global_store_b64 v[4:5], v[14:15], off
	global_wb scope:SCOPE_SYS
	s_wait_storecnt 0x0
	global_atomic_cmpswap_b64 v[2:3], v6, v[12:15], s[2:3] offset:32 th:TH_ATOMIC_RETURN scope:SCOPE_SYS
	s_wait_loadcnt 0x0
	v_cmpx_ne_u64_e64 v[2:3], v[14:15]
	s_cbranch_execz .LBB1_13
; %bb.11:
	s_mov_b32 s7, 0
.LBB1_12:                               ; =>This Inner Loop Header: Depth=1
	v_dual_mov_b32 v0, s4 :: v_dual_mov_b32 v1, s1
	s_sleep 1
	global_store_b64 v[4:5], v[2:3], off
	global_wb scope:SCOPE_SYS
	s_wait_storecnt 0x0
	global_atomic_cmpswap_b64 v[0:1], v6, v[0:3], s[2:3] offset:32 th:TH_ATOMIC_RETURN scope:SCOPE_SYS
	s_wait_loadcnt 0x0
	v_cmp_eq_u64_e32 vcc_lo, v[0:1], v[2:3]
	v_dual_mov_b32 v3, v1 :: v_dual_mov_b32 v2, v0
	s_wait_alu 0xfffe
	s_or_b32 s7, vcc_lo, s7
	s_wait_alu 0xfffe
	s_and_not1_b32 exec_lo, exec_lo, s7
	s_cbranch_execnz .LBB1_12
.LBB1_13:
	s_wait_alu 0xfffe
	s_or_b32 exec_lo, exec_lo, s6
	v_mov_b32_e32 v3, 0
	s_mov_b32 s7, exec_lo
	s_mov_b32 s6, exec_lo
	s_wait_alu 0xfffe
	v_mbcnt_lo_u32_b32 v2, s7, 0
	global_load_b64 v[0:1], v3, s[2:3] offset:16
	v_cmpx_eq_u32_e32 0, v2
	s_cbranch_execz .LBB1_15
; %bb.14:
	s_bcnt1_i32_b32 s7, s7
	s_wait_alu 0xfffe
	v_mov_b32_e32 v2, s7
	global_wb scope:SCOPE_SYS
	s_wait_loadcnt 0x0
	global_atomic_add_u64 v[0:1], v[2:3], off offset:8 scope:SCOPE_SYS
.LBB1_15:
	s_or_b32 exec_lo, exec_lo, s6
	s_wait_loadcnt 0x0
	global_load_b64 v[2:3], v[0:1], off offset:16
	s_wait_loadcnt 0x0
	v_cmp_eq_u64_e32 vcc_lo, 0, v[2:3]
	s_cbranch_vccnz .LBB1_17
; %bb.16:
	global_load_b32 v0, v[0:1], off offset:24
	s_wait_loadcnt 0x0
	v_dual_mov_b32 v1, 0 :: v_dual_and_b32 v4, 0xffffff, v0
	global_wb scope:SCOPE_SYS
	s_wait_storecnt 0x0
	global_store_b64 v[2:3], v[0:1], off scope:SCOPE_SYS
	v_readfirstlane_b32 m0, v4
	s_sendmsg sendmsg(MSG_INTERRUPT)
.LBB1_17:
	s_wait_alu 0xfffe
	s_or_b32 exec_lo, exec_lo, s5
	s_branch .LBB1_21
.LBB1_18:                               ;   in Loop: Header=BB1_21 Depth=1
	s_wait_alu 0xfffe
	s_or_b32 exec_lo, exec_lo, s5
	s_delay_alu instid0(VALU_DEP_1) | instskip(NEXT) | instid1(VALU_DEP_1)
	v_readfirstlane_b32 s5, v0
	s_cmp_eq_u32 s5, 0
	s_cbranch_scc1 .LBB1_20
; %bb.19:                               ;   in Loop: Header=BB1_21 Depth=1
	s_sleep 1
	s_cbranch_execnz .LBB1_21
	s_branch .LBB1_23
.LBB1_20:
	s_branch .LBB1_23
.LBB1_21:                               ; =>This Inner Loop Header: Depth=1
	v_mov_b32_e32 v0, 1
	s_and_saveexec_b32 s5, s0
	s_cbranch_execz .LBB1_18
; %bb.22:                               ;   in Loop: Header=BB1_21 Depth=1
	global_load_b32 v0, v[8:9], off offset:20 scope:SCOPE_SYS
	s_wait_loadcnt 0x0
	global_inv scope:SCOPE_SYS
	v_and_b32_e32 v0, 1, v0
	s_branch .LBB1_18
.LBB1_23:
	global_load_b64 v[0:1], v[10:11], off
	s_and_saveexec_b32 s5, s0
	s_cbranch_execz .LBB1_27
; %bb.24:
	v_mov_b32_e32 v8, 0
	s_clause 0x2
	global_load_b64 v[4:5], v8, s[2:3] offset:40
	global_load_b64 v[9:10], v8, s[2:3] offset:24 scope:SCOPE_SYS
	global_load_b64 v[6:7], v8, s[2:3]
	s_wait_loadcnt 0x2
	v_add_co_u32 v11, vcc_lo, v4, 1
	s_wait_alu 0xfffd
	v_add_co_ci_u32_e32 v12, vcc_lo, 0, v5, vcc_lo
	s_delay_alu instid0(VALU_DEP_2) | instskip(SKIP_1) | instid1(VALU_DEP_2)
	v_add_co_u32 v2, vcc_lo, v11, s4
	s_wait_alu 0xfffd
	v_add_co_ci_u32_e32 v3, vcc_lo, s1, v12, vcc_lo
	s_delay_alu instid0(VALU_DEP_1) | instskip(SKIP_2) | instid1(VALU_DEP_1)
	v_cmp_eq_u64_e32 vcc_lo, 0, v[2:3]
	s_wait_alu 0xfffd
	v_dual_cndmask_b32 v3, v3, v12 :: v_dual_cndmask_b32 v2, v2, v11
	v_and_b32_e32 v5, v3, v5
	s_delay_alu instid0(VALU_DEP_2) | instskip(NEXT) | instid1(VALU_DEP_2)
	v_and_b32_e32 v4, v2, v4
	v_mul_lo_u32 v5, 24, v5
	s_delay_alu instid0(VALU_DEP_2) | instskip(SKIP_2) | instid1(VALU_DEP_3)
	v_mul_lo_u32 v11, 0, v4
	v_mul_hi_u32 v12, 24, v4
	v_mul_lo_u32 v4, 24, v4
	v_add_nc_u32_e32 v5, v5, v11
	s_wait_loadcnt 0x0
	s_delay_alu instid0(VALU_DEP_2) | instskip(SKIP_1) | instid1(VALU_DEP_3)
	v_add_co_u32 v6, vcc_lo, v6, v4
	v_mov_b32_e32 v4, v9
	v_add_nc_u32_e32 v5, v5, v12
	s_wait_alu 0xfffd
	s_delay_alu instid0(VALU_DEP_1)
	v_add_co_ci_u32_e32 v7, vcc_lo, v7, v5, vcc_lo
	v_mov_b32_e32 v5, v10
	global_store_b64 v[6:7], v[9:10], off
	global_wb scope:SCOPE_SYS
	s_wait_storecnt 0x0
	global_atomic_cmpswap_b64 v[4:5], v8, v[2:5], s[2:3] offset:24 th:TH_ATOMIC_RETURN scope:SCOPE_SYS
	s_wait_loadcnt 0x0
	v_cmp_ne_u64_e32 vcc_lo, v[4:5], v[9:10]
	s_and_b32 exec_lo, exec_lo, vcc_lo
	s_cbranch_execz .LBB1_27
; %bb.25:
	s_mov_b32 s0, 0
.LBB1_26:                               ; =>This Inner Loop Header: Depth=1
	s_sleep 1
	global_store_b64 v[6:7], v[4:5], off
	global_wb scope:SCOPE_SYS
	s_wait_storecnt 0x0
	global_atomic_cmpswap_b64 v[9:10], v8, v[2:5], s[2:3] offset:24 th:TH_ATOMIC_RETURN scope:SCOPE_SYS
	s_wait_loadcnt 0x0
	v_cmp_eq_u64_e32 vcc_lo, v[9:10], v[4:5]
	v_dual_mov_b32 v4, v9 :: v_dual_mov_b32 v5, v10
	s_wait_alu 0xfffe
	s_or_b32 s0, vcc_lo, s0
	s_wait_alu 0xfffe
	s_and_not1_b32 exec_lo, exec_lo, s0
	s_cbranch_execnz .LBB1_26
.LBB1_27:
	s_wait_alu 0xfffe
	s_or_b32 exec_lo, exec_lo, s5
	s_getpc_b64 s[4:5]
	s_wait_alu 0xfffe
	s_sext_i32_i16 s5, s5
	s_add_co_u32 s4, s4, .str.15@rel32@lo+12
	s_wait_alu 0xfffe
	s_add_co_ci_u32 s5, s5, .str.15@rel32@hi+24
	s_wait_alu 0xfffe
	s_cmp_lg_u64 s[4:5], 0
	s_cbranch_scc0 .LBB1_212
; %bb.28:
	s_wait_loadcnt 0x0
	v_dual_mov_b32 v7, v1 :: v_dual_and_b32 v6, -3, v0
	v_dual_mov_b32 v3, 0 :: v_dual_mov_b32 v4, 2
	v_mov_b32_e32 v5, 1
	s_mov_b64 s[6:7], 6
	s_branch .LBB1_30
.LBB1_29:                               ;   in Loop: Header=BB1_30 Depth=1
	s_wait_alu 0xfffe
	s_or_b32 exec_lo, exec_lo, s11
	s_sub_nc_u64 s[6:7], s[6:7], s[8:9]
	s_add_nc_u64 s[4:5], s[4:5], s[8:9]
	s_wait_alu 0xfffe
	s_cmp_lg_u64 s[6:7], 0
	s_cbranch_scc0 .LBB1_105
.LBB1_30:                               ; =>This Loop Header: Depth=1
                                        ;     Child Loop BB1_39 Depth 2
                                        ;     Child Loop BB1_35 Depth 2
	;; [unrolled: 1-line block ×11, first 2 shown]
	s_wait_alu 0xfffe
	v_cmp_lt_u64_e64 s0, s[6:7], 56
	v_cmp_gt_u64_e64 s1, s[6:7], 7
                                        ; implicit-def: $sgpr15
	s_delay_alu instid0(VALU_DEP_2) | instskip(SKIP_2) | instid1(VALU_DEP_1)
	s_and_b32 s0, s0, exec_lo
	s_cselect_b32 s9, s7, 0
	s_cselect_b32 s8, s6, 56
	s_and_b32 vcc_lo, exec_lo, s1
	s_mov_b32 s0, -1
	s_wait_alu 0xfffe
	s_cbranch_vccz .LBB1_37
; %bb.31:                               ;   in Loop: Header=BB1_30 Depth=1
	s_and_not1_b32 vcc_lo, exec_lo, s0
	s_mov_b64 s[0:1], s[4:5]
	s_wait_alu 0xfffe
	s_cbranch_vccz .LBB1_41
.LBB1_32:                               ;   in Loop: Header=BB1_30 Depth=1
	s_wait_alu 0xfffe
	s_cmp_gt_u32 s15, 7
	s_cbranch_scc1 .LBB1_42
.LBB1_33:                               ;   in Loop: Header=BB1_30 Depth=1
	v_mov_b32_e32 v10, 0
	v_mov_b32_e32 v11, 0
	s_cmp_eq_u32 s15, 0
	s_cbranch_scc1 .LBB1_36
; %bb.34:                               ;   in Loop: Header=BB1_30 Depth=1
	s_mov_b64 s[10:11], 0
	s_mov_b64 s[12:13], 0
.LBB1_35:                               ;   Parent Loop BB1_30 Depth=1
                                        ; =>  This Inner Loop Header: Depth=2
	s_wait_alu 0xfffe
	s_add_nc_u64 s[16:17], s[0:1], s[12:13]
	s_add_nc_u64 s[12:13], s[12:13], 1
	global_load_u8 v2, v3, s[16:17]
	s_wait_alu 0xfffe
	s_cmp_lg_u32 s15, s12
	s_wait_loadcnt 0x0
	v_and_b32_e32 v2, 0xffff, v2
	s_delay_alu instid0(VALU_DEP_1) | instskip(SKIP_1) | instid1(VALU_DEP_1)
	v_lshlrev_b64_e32 v[12:13], s10, v[2:3]
	s_add_nc_u64 s[10:11], s[10:11], 8
	v_or_b32_e32 v10, v12, v10
	s_delay_alu instid0(VALU_DEP_2)
	v_or_b32_e32 v11, v13, v11
	s_cbranch_scc1 .LBB1_35
.LBB1_36:                               ;   in Loop: Header=BB1_30 Depth=1
	s_mov_b32 s16, 0
	s_cbranch_execz .LBB1_43
	s_branch .LBB1_44
.LBB1_37:                               ;   in Loop: Header=BB1_30 Depth=1
	s_wait_loadcnt 0x0
	v_mov_b32_e32 v8, 0
	v_mov_b32_e32 v9, 0
	s_cmp_eq_u64 s[6:7], 0
	s_mov_b64 s[0:1], 0
	s_cbranch_scc1 .LBB1_40
; %bb.38:                               ;   in Loop: Header=BB1_30 Depth=1
	v_mov_b32_e32 v8, 0
	v_mov_b32_e32 v9, 0
	s_mov_b64 s[10:11], 0
.LBB1_39:                               ;   Parent Loop BB1_30 Depth=1
                                        ; =>  This Inner Loop Header: Depth=2
	s_wait_alu 0xfffe
	s_add_nc_u64 s[12:13], s[4:5], s[10:11]
	s_add_nc_u64 s[10:11], s[10:11], 1
	global_load_u8 v2, v3, s[12:13]
	s_wait_alu 0xfffe
	s_cmp_lg_u32 s8, s10
	s_wait_loadcnt 0x0
	v_and_b32_e32 v2, 0xffff, v2
	s_delay_alu instid0(VALU_DEP_1) | instskip(SKIP_1) | instid1(VALU_DEP_1)
	v_lshlrev_b64_e32 v[10:11], s0, v[2:3]
	s_add_nc_u64 s[0:1], s[0:1], 8
	v_or_b32_e32 v8, v10, v8
	s_delay_alu instid0(VALU_DEP_2)
	v_or_b32_e32 v9, v11, v9
	s_cbranch_scc1 .LBB1_39
.LBB1_40:                               ;   in Loop: Header=BB1_30 Depth=1
	s_mov_b32 s15, 0
	s_mov_b64 s[0:1], s[4:5]
	s_cbranch_execnz .LBB1_32
.LBB1_41:                               ;   in Loop: Header=BB1_30 Depth=1
	global_load_b64 v[8:9], v3, s[4:5]
	s_add_co_i32 s15, s8, -8
	s_add_nc_u64 s[0:1], s[4:5], 8
	s_wait_alu 0xfffe
	s_cmp_gt_u32 s15, 7
	s_cbranch_scc0 .LBB1_33
.LBB1_42:                               ;   in Loop: Header=BB1_30 Depth=1
                                        ; implicit-def: $vgpr10_vgpr11
                                        ; implicit-def: $sgpr16
.LBB1_43:                               ;   in Loop: Header=BB1_30 Depth=1
	global_load_b64 v[10:11], v3, s[0:1]
	s_add_co_i32 s16, s15, -8
	s_add_nc_u64 s[0:1], s[0:1], 8
.LBB1_44:                               ;   in Loop: Header=BB1_30 Depth=1
	s_wait_alu 0xfffe
	s_cmp_gt_u32 s16, 7
	s_cbranch_scc1 .LBB1_49
; %bb.45:                               ;   in Loop: Header=BB1_30 Depth=1
	v_mov_b32_e32 v12, 0
	v_mov_b32_e32 v13, 0
	s_cmp_eq_u32 s16, 0
	s_cbranch_scc1 .LBB1_48
; %bb.46:                               ;   in Loop: Header=BB1_30 Depth=1
	s_mov_b64 s[10:11], 0
	s_mov_b64 s[12:13], 0
.LBB1_47:                               ;   Parent Loop BB1_30 Depth=1
                                        ; =>  This Inner Loop Header: Depth=2
	s_wait_alu 0xfffe
	s_add_nc_u64 s[18:19], s[0:1], s[12:13]
	s_add_nc_u64 s[12:13], s[12:13], 1
	global_load_u8 v2, v3, s[18:19]
	s_wait_alu 0xfffe
	s_cmp_lg_u32 s16, s12
	s_wait_loadcnt 0x0
	v_and_b32_e32 v2, 0xffff, v2
	s_delay_alu instid0(VALU_DEP_1) | instskip(SKIP_1) | instid1(VALU_DEP_1)
	v_lshlrev_b64_e32 v[14:15], s10, v[2:3]
	s_add_nc_u64 s[10:11], s[10:11], 8
	v_or_b32_e32 v12, v14, v12
	s_delay_alu instid0(VALU_DEP_2)
	v_or_b32_e32 v13, v15, v13
	s_cbranch_scc1 .LBB1_47
.LBB1_48:                               ;   in Loop: Header=BB1_30 Depth=1
	s_mov_b32 s15, 0
	s_cbranch_execz .LBB1_50
	s_branch .LBB1_51
.LBB1_49:                               ;   in Loop: Header=BB1_30 Depth=1
                                        ; implicit-def: $sgpr15
.LBB1_50:                               ;   in Loop: Header=BB1_30 Depth=1
	global_load_b64 v[12:13], v3, s[0:1]
	s_add_co_i32 s15, s16, -8
	s_add_nc_u64 s[0:1], s[0:1], 8
.LBB1_51:                               ;   in Loop: Header=BB1_30 Depth=1
	s_wait_alu 0xfffe
	s_cmp_gt_u32 s15, 7
	s_cbranch_scc1 .LBB1_56
; %bb.52:                               ;   in Loop: Header=BB1_30 Depth=1
	v_mov_b32_e32 v14, 0
	v_mov_b32_e32 v15, 0
	s_cmp_eq_u32 s15, 0
	s_cbranch_scc1 .LBB1_55
; %bb.53:                               ;   in Loop: Header=BB1_30 Depth=1
	s_mov_b64 s[10:11], 0
	s_mov_b64 s[12:13], 0
.LBB1_54:                               ;   Parent Loop BB1_30 Depth=1
                                        ; =>  This Inner Loop Header: Depth=2
	s_wait_alu 0xfffe
	s_add_nc_u64 s[16:17], s[0:1], s[12:13]
	s_add_nc_u64 s[12:13], s[12:13], 1
	global_load_u8 v2, v3, s[16:17]
	s_wait_alu 0xfffe
	s_cmp_lg_u32 s15, s12
	s_wait_loadcnt 0x0
	v_and_b32_e32 v2, 0xffff, v2
	s_delay_alu instid0(VALU_DEP_1) | instskip(SKIP_1) | instid1(VALU_DEP_1)
	v_lshlrev_b64_e32 v[16:17], s10, v[2:3]
	s_add_nc_u64 s[10:11], s[10:11], 8
	v_or_b32_e32 v14, v16, v14
	s_delay_alu instid0(VALU_DEP_2)
	v_or_b32_e32 v15, v17, v15
	s_cbranch_scc1 .LBB1_54
.LBB1_55:                               ;   in Loop: Header=BB1_30 Depth=1
	s_mov_b32 s16, 0
	s_cbranch_execz .LBB1_57
	s_branch .LBB1_58
.LBB1_56:                               ;   in Loop: Header=BB1_30 Depth=1
                                        ; implicit-def: $vgpr14_vgpr15
                                        ; implicit-def: $sgpr16
.LBB1_57:                               ;   in Loop: Header=BB1_30 Depth=1
	global_load_b64 v[14:15], v3, s[0:1]
	s_add_co_i32 s16, s15, -8
	s_add_nc_u64 s[0:1], s[0:1], 8
.LBB1_58:                               ;   in Loop: Header=BB1_30 Depth=1
	s_wait_alu 0xfffe
	s_cmp_gt_u32 s16, 7
	s_cbranch_scc1 .LBB1_63
; %bb.59:                               ;   in Loop: Header=BB1_30 Depth=1
	v_mov_b32_e32 v16, 0
	v_mov_b32_e32 v17, 0
	s_cmp_eq_u32 s16, 0
	s_cbranch_scc1 .LBB1_62
; %bb.60:                               ;   in Loop: Header=BB1_30 Depth=1
	s_mov_b64 s[10:11], 0
	s_mov_b64 s[12:13], 0
.LBB1_61:                               ;   Parent Loop BB1_30 Depth=1
                                        ; =>  This Inner Loop Header: Depth=2
	s_wait_alu 0xfffe
	s_add_nc_u64 s[18:19], s[0:1], s[12:13]
	s_add_nc_u64 s[12:13], s[12:13], 1
	global_load_u8 v2, v3, s[18:19]
	s_wait_alu 0xfffe
	s_cmp_lg_u32 s16, s12
	s_wait_loadcnt 0x0
	v_and_b32_e32 v2, 0xffff, v2
	s_delay_alu instid0(VALU_DEP_1) | instskip(SKIP_1) | instid1(VALU_DEP_1)
	v_lshlrev_b64_e32 v[18:19], s10, v[2:3]
	s_add_nc_u64 s[10:11], s[10:11], 8
	v_or_b32_e32 v16, v18, v16
	s_delay_alu instid0(VALU_DEP_2)
	v_or_b32_e32 v17, v19, v17
	s_cbranch_scc1 .LBB1_61
.LBB1_62:                               ;   in Loop: Header=BB1_30 Depth=1
	s_mov_b32 s15, 0
	s_cbranch_execz .LBB1_64
	s_branch .LBB1_65
.LBB1_63:                               ;   in Loop: Header=BB1_30 Depth=1
                                        ; implicit-def: $sgpr15
.LBB1_64:                               ;   in Loop: Header=BB1_30 Depth=1
	global_load_b64 v[16:17], v3, s[0:1]
	s_add_co_i32 s15, s16, -8
	s_add_nc_u64 s[0:1], s[0:1], 8
.LBB1_65:                               ;   in Loop: Header=BB1_30 Depth=1
	s_wait_alu 0xfffe
	s_cmp_gt_u32 s15, 7
	s_cbranch_scc1 .LBB1_70
; %bb.66:                               ;   in Loop: Header=BB1_30 Depth=1
	v_mov_b32_e32 v18, 0
	v_mov_b32_e32 v19, 0
	s_cmp_eq_u32 s15, 0
	s_cbranch_scc1 .LBB1_69
; %bb.67:                               ;   in Loop: Header=BB1_30 Depth=1
	s_mov_b64 s[10:11], 0
	s_mov_b64 s[12:13], 0
.LBB1_68:                               ;   Parent Loop BB1_30 Depth=1
                                        ; =>  This Inner Loop Header: Depth=2
	s_wait_alu 0xfffe
	s_add_nc_u64 s[16:17], s[0:1], s[12:13]
	s_add_nc_u64 s[12:13], s[12:13], 1
	global_load_u8 v2, v3, s[16:17]
	s_wait_alu 0xfffe
	s_cmp_lg_u32 s15, s12
	s_wait_loadcnt 0x0
	v_and_b32_e32 v2, 0xffff, v2
	s_delay_alu instid0(VALU_DEP_1) | instskip(SKIP_1) | instid1(VALU_DEP_1)
	v_lshlrev_b64_e32 v[20:21], s10, v[2:3]
	s_add_nc_u64 s[10:11], s[10:11], 8
	v_or_b32_e32 v18, v20, v18
	s_delay_alu instid0(VALU_DEP_2)
	v_or_b32_e32 v19, v21, v19
	s_cbranch_scc1 .LBB1_68
.LBB1_69:                               ;   in Loop: Header=BB1_30 Depth=1
	s_mov_b32 s16, 0
	s_cbranch_execz .LBB1_71
	s_branch .LBB1_72
.LBB1_70:                               ;   in Loop: Header=BB1_30 Depth=1
                                        ; implicit-def: $vgpr18_vgpr19
                                        ; implicit-def: $sgpr16
.LBB1_71:                               ;   in Loop: Header=BB1_30 Depth=1
	global_load_b64 v[18:19], v3, s[0:1]
	s_add_co_i32 s16, s15, -8
	s_add_nc_u64 s[0:1], s[0:1], 8
.LBB1_72:                               ;   in Loop: Header=BB1_30 Depth=1
	s_wait_alu 0xfffe
	s_cmp_gt_u32 s16, 7
	s_cbranch_scc1 .LBB1_77
; %bb.73:                               ;   in Loop: Header=BB1_30 Depth=1
	v_mov_b32_e32 v20, 0
	v_mov_b32_e32 v21, 0
	s_cmp_eq_u32 s16, 0
	s_cbranch_scc1 .LBB1_76
; %bb.74:                               ;   in Loop: Header=BB1_30 Depth=1
	s_mov_b64 s[10:11], 0
	s_mov_b64 s[12:13], s[0:1]
.LBB1_75:                               ;   Parent Loop BB1_30 Depth=1
                                        ; =>  This Inner Loop Header: Depth=2
	global_load_u8 v2, v3, s[12:13]
	s_add_co_i32 s16, s16, -1
	s_wait_alu 0xfffe
	s_add_nc_u64 s[12:13], s[12:13], 1
	s_cmp_lg_u32 s16, 0
	s_wait_loadcnt 0x0
	v_and_b32_e32 v2, 0xffff, v2
	s_delay_alu instid0(VALU_DEP_1) | instskip(SKIP_1) | instid1(VALU_DEP_1)
	v_lshlrev_b64_e32 v[22:23], s10, v[2:3]
	s_add_nc_u64 s[10:11], s[10:11], 8
	v_or_b32_e32 v20, v22, v20
	s_delay_alu instid0(VALU_DEP_2)
	v_or_b32_e32 v21, v23, v21
	s_cbranch_scc1 .LBB1_75
.LBB1_76:                               ;   in Loop: Header=BB1_30 Depth=1
	s_cbranch_execz .LBB1_78
	s_branch .LBB1_79
.LBB1_77:                               ;   in Loop: Header=BB1_30 Depth=1
.LBB1_78:                               ;   in Loop: Header=BB1_30 Depth=1
	global_load_b64 v[20:21], v3, s[0:1]
.LBB1_79:                               ;   in Loop: Header=BB1_30 Depth=1
	v_readfirstlane_b32 s0, v30
	v_mov_b32_e32 v26, 0
	v_mov_b32_e32 v27, 0
	s_wait_alu 0xf1ff
	s_delay_alu instid0(VALU_DEP_3) | instskip(NEXT) | instid1(VALU_DEP_1)
	v_cmp_eq_u32_e64 s0, s0, v30
	s_and_saveexec_b32 s1, s0
	s_cbranch_execz .LBB1_85
; %bb.80:                               ;   in Loop: Header=BB1_30 Depth=1
	global_load_b64 v[24:25], v3, s[2:3] offset:24 scope:SCOPE_SYS
	s_wait_loadcnt 0x0
	global_inv scope:SCOPE_SYS
	s_clause 0x1
	global_load_b64 v[22:23], v3, s[2:3] offset:40
	global_load_b64 v[26:27], v3, s[2:3]
	s_mov_b32 s10, exec_lo
	s_wait_loadcnt 0x1
	v_and_b32_e32 v2, v23, v25
	v_and_b32_e32 v22, v22, v24
	s_delay_alu instid0(VALU_DEP_2) | instskip(NEXT) | instid1(VALU_DEP_2)
	v_mul_lo_u32 v2, 24, v2
	v_mul_lo_u32 v23, 0, v22
	v_mul_hi_u32 v28, 24, v22
	v_mul_lo_u32 v22, 24, v22
	s_delay_alu instid0(VALU_DEP_3) | instskip(SKIP_1) | instid1(VALU_DEP_2)
	v_add_nc_u32_e32 v2, v2, v23
	s_wait_loadcnt 0x0
	v_add_co_u32 v22, vcc_lo, v26, v22
	s_delay_alu instid0(VALU_DEP_2) | instskip(SKIP_1) | instid1(VALU_DEP_1)
	v_add_nc_u32_e32 v2, v2, v28
	s_wait_alu 0xfffd
	v_add_co_ci_u32_e32 v23, vcc_lo, v27, v2, vcc_lo
	global_load_b64 v[22:23], v[22:23], off scope:SCOPE_SYS
	s_wait_loadcnt 0x0
	global_atomic_cmpswap_b64 v[26:27], v3, v[22:25], s[2:3] offset:24 th:TH_ATOMIC_RETURN scope:SCOPE_SYS
	s_wait_loadcnt 0x0
	global_inv scope:SCOPE_SYS
	v_cmpx_ne_u64_e64 v[26:27], v[24:25]
	s_cbranch_execz .LBB1_84
; %bb.81:                               ;   in Loop: Header=BB1_30 Depth=1
	s_mov_b32 s11, 0
.LBB1_82:                               ;   Parent Loop BB1_30 Depth=1
                                        ; =>  This Inner Loop Header: Depth=2
	s_sleep 1
	s_clause 0x1
	global_load_b64 v[22:23], v3, s[2:3] offset:40
	global_load_b64 v[28:29], v3, s[2:3]
	v_dual_mov_b32 v24, v26 :: v_dual_mov_b32 v25, v27
	s_wait_loadcnt 0x1
	s_delay_alu instid0(VALU_DEP_1) | instskip(NEXT) | instid1(VALU_DEP_2)
	v_and_b32_e32 v2, v22, v24
	v_and_b32_e32 v22, v23, v25
	s_wait_loadcnt 0x0
	s_delay_alu instid0(VALU_DEP_2) | instskip(NEXT) | instid1(VALU_DEP_1)
	v_mad_co_u64_u32 v[26:27], null, v2, 24, v[28:29]
	v_mov_b32_e32 v2, v27
	s_delay_alu instid0(VALU_DEP_1) | instskip(NEXT) | instid1(VALU_DEP_1)
	v_mad_co_u64_u32 v[22:23], null, v22, 24, v[2:3]
	v_mov_b32_e32 v27, v22
	global_load_b64 v[22:23], v[26:27], off scope:SCOPE_SYS
	s_wait_loadcnt 0x0
	global_atomic_cmpswap_b64 v[26:27], v3, v[22:25], s[2:3] offset:24 th:TH_ATOMIC_RETURN scope:SCOPE_SYS
	s_wait_loadcnt 0x0
	global_inv scope:SCOPE_SYS
	v_cmp_eq_u64_e32 vcc_lo, v[26:27], v[24:25]
	s_wait_alu 0xfffe
	s_or_b32 s11, vcc_lo, s11
	s_wait_alu 0xfffe
	s_and_not1_b32 exec_lo, exec_lo, s11
	s_cbranch_execnz .LBB1_82
; %bb.83:                               ;   in Loop: Header=BB1_30 Depth=1
	s_or_b32 exec_lo, exec_lo, s11
.LBB1_84:                               ;   in Loop: Header=BB1_30 Depth=1
	s_wait_alu 0xfffe
	s_or_b32 exec_lo, exec_lo, s10
.LBB1_85:                               ;   in Loop: Header=BB1_30 Depth=1
	s_wait_alu 0xfffe
	s_or_b32 exec_lo, exec_lo, s1
	s_clause 0x1
	global_load_b64 v[28:29], v3, s[2:3] offset:40
	global_load_b128 v[22:25], v3, s[2:3]
	v_readfirstlane_b32 s1, v27
	v_readfirstlane_b32 s10, v26
	s_mov_b32 s11, exec_lo
	s_wait_loadcnt 0x1
	s_wait_alu 0xf1ff
	v_and_b32_e32 v29, s1, v29
	v_and_b32_e32 v28, s10, v28
	s_delay_alu instid0(VALU_DEP_2) | instskip(NEXT) | instid1(VALU_DEP_2)
	v_mul_lo_u32 v2, 24, v29
	v_mul_lo_u32 v26, 0, v28
	v_mul_hi_u32 v27, 24, v28
	v_mul_lo_u32 v32, 24, v28
	s_delay_alu instid0(VALU_DEP_3) | instskip(SKIP_1) | instid1(VALU_DEP_2)
	v_add_nc_u32_e32 v2, v2, v26
	s_wait_loadcnt 0x0
	v_add_co_u32 v26, vcc_lo, v22, v32
	s_delay_alu instid0(VALU_DEP_2) | instskip(SKIP_1) | instid1(VALU_DEP_1)
	v_add_nc_u32_e32 v2, v2, v27
	s_wait_alu 0xfffd
	v_add_co_ci_u32_e32 v27, vcc_lo, v23, v2, vcc_lo
	s_and_saveexec_b32 s12, s0
	s_cbranch_execz .LBB1_87
; %bb.86:                               ;   in Loop: Header=BB1_30 Depth=1
	s_wait_alu 0xfffe
	v_mov_b32_e32 v2, s11
	global_store_b128 v[26:27], v[2:5], off offset:8
.LBB1_87:                               ;   in Loop: Header=BB1_30 Depth=1
	s_wait_alu 0xfffe
	s_or_b32 exec_lo, exec_lo, s12
	v_lshlrev_b64_e32 v[28:29], 12, v[28:29]
	v_cmp_gt_u64_e64 vcc_lo, s[6:7], 56
	v_or_b32_e32 v2, 2, v6
	s_lshl_b32 s11, s8, 2
	s_wait_alu 0xfffe
	s_add_co_i32 s11, s11, 28
	s_wait_alu 0xfffd
	v_cndmask_b32_e32 v2, v2, v6, vcc_lo
	v_add_co_u32 v24, vcc_lo, v24, v28
	s_wait_alu 0xfffd
	v_add_co_ci_u32_e32 v25, vcc_lo, v25, v29, vcc_lo
	s_wait_alu 0xfffe
	s_and_b32 s11, s11, 0x1e0
	v_readfirstlane_b32 s12, v24
	s_wait_alu 0xfffe
	v_and_or_b32 v6, 0xffffff1f, v2, s11
	v_readfirstlane_b32 s13, v25
	s_clause 0x3
	global_store_b128 v31, v[6:9], s[12:13]
	global_store_b128 v31, v[10:13], s[12:13] offset:16
	global_store_b128 v31, v[14:17], s[12:13] offset:32
	;; [unrolled: 1-line block ×3, first 2 shown]
	s_and_saveexec_b32 s11, s0
	s_cbranch_execz .LBB1_95
; %bb.88:                               ;   in Loop: Header=BB1_30 Depth=1
	s_clause 0x1
	global_load_b64 v[14:15], v3, s[2:3] offset:32 scope:SCOPE_SYS
	global_load_b64 v[6:7], v3, s[2:3] offset:40
	v_mov_b32_e32 v12, s10
	s_mov_b32 s12, exec_lo
	s_wait_loadcnt 0x0
	v_dual_mov_b32 v13, s1 :: v_dual_and_b32 v2, s1, v7
	v_and_b32_e32 v6, s10, v6
	s_delay_alu instid0(VALU_DEP_2) | instskip(NEXT) | instid1(VALU_DEP_2)
	v_mul_lo_u32 v2, 24, v2
	v_mul_lo_u32 v7, 0, v6
	v_mul_hi_u32 v8, 24, v6
	v_mul_lo_u32 v6, 24, v6
	s_delay_alu instid0(VALU_DEP_3) | instskip(NEXT) | instid1(VALU_DEP_2)
	v_add_nc_u32_e32 v2, v2, v7
	v_add_co_u32 v10, vcc_lo, v22, v6
	s_delay_alu instid0(VALU_DEP_2) | instskip(SKIP_1) | instid1(VALU_DEP_1)
	v_add_nc_u32_e32 v2, v2, v8
	s_wait_alu 0xfffd
	v_add_co_ci_u32_e32 v11, vcc_lo, v23, v2, vcc_lo
	global_store_b64 v[10:11], v[14:15], off
	global_wb scope:SCOPE_SYS
	s_wait_storecnt 0x0
	global_atomic_cmpswap_b64 v[8:9], v3, v[12:15], s[2:3] offset:32 th:TH_ATOMIC_RETURN scope:SCOPE_SYS
	s_wait_loadcnt 0x0
	v_cmpx_ne_u64_e64 v[8:9], v[14:15]
	s_cbranch_execz .LBB1_91
; %bb.89:                               ;   in Loop: Header=BB1_30 Depth=1
	s_mov_b32 s13, 0
.LBB1_90:                               ;   Parent Loop BB1_30 Depth=1
                                        ; =>  This Inner Loop Header: Depth=2
	v_dual_mov_b32 v6, s10 :: v_dual_mov_b32 v7, s1
	s_sleep 1
	global_store_b64 v[10:11], v[8:9], off
	global_wb scope:SCOPE_SYS
	s_wait_storecnt 0x0
	global_atomic_cmpswap_b64 v[6:7], v3, v[6:9], s[2:3] offset:32 th:TH_ATOMIC_RETURN scope:SCOPE_SYS
	s_wait_loadcnt 0x0
	v_cmp_eq_u64_e32 vcc_lo, v[6:7], v[8:9]
	v_dual_mov_b32 v9, v7 :: v_dual_mov_b32 v8, v6
	s_wait_alu 0xfffe
	s_or_b32 s13, vcc_lo, s13
	s_wait_alu 0xfffe
	s_and_not1_b32 exec_lo, exec_lo, s13
	s_cbranch_execnz .LBB1_90
.LBB1_91:                               ;   in Loop: Header=BB1_30 Depth=1
	s_wait_alu 0xfffe
	s_or_b32 exec_lo, exec_lo, s12
	global_load_b64 v[6:7], v3, s[2:3] offset:16
	s_mov_b32 s13, exec_lo
	s_mov_b32 s12, exec_lo
	s_wait_alu 0xfffe
	v_mbcnt_lo_u32_b32 v2, s13, 0
	s_delay_alu instid0(VALU_DEP_1)
	v_cmpx_eq_u32_e32 0, v2
	s_cbranch_execz .LBB1_93
; %bb.92:                               ;   in Loop: Header=BB1_30 Depth=1
	s_bcnt1_i32_b32 s13, s13
	s_wait_alu 0xfffe
	v_mov_b32_e32 v2, s13
	global_wb scope:SCOPE_SYS
	s_wait_loadcnt 0x0
	global_atomic_add_u64 v[6:7], v[2:3], off offset:8 scope:SCOPE_SYS
.LBB1_93:                               ;   in Loop: Header=BB1_30 Depth=1
	s_or_b32 exec_lo, exec_lo, s12
	s_wait_loadcnt 0x0
	global_load_b64 v[8:9], v[6:7], off offset:16
	s_wait_loadcnt 0x0
	v_cmp_eq_u64_e32 vcc_lo, 0, v[8:9]
	s_cbranch_vccnz .LBB1_95
; %bb.94:                               ;   in Loop: Header=BB1_30 Depth=1
	global_load_b32 v2, v[6:7], off offset:24
	s_wait_loadcnt 0x0
	v_and_b32_e32 v6, 0xffffff, v2
	global_wb scope:SCOPE_SYS
	s_wait_storecnt 0x0
	global_store_b64 v[8:9], v[2:3], off scope:SCOPE_SYS
	v_readfirstlane_b32 m0, v6
	s_sendmsg sendmsg(MSG_INTERRUPT)
.LBB1_95:                               ;   in Loop: Header=BB1_30 Depth=1
	s_wait_alu 0xfffe
	s_or_b32 exec_lo, exec_lo, s11
	v_add_co_u32 v6, vcc_lo, v24, v31
	s_wait_alu 0xfffd
	v_add_co_ci_u32_e32 v7, vcc_lo, 0, v25, vcc_lo
	s_branch .LBB1_99
.LBB1_96:                               ;   in Loop: Header=BB1_99 Depth=2
	s_wait_alu 0xfffe
	s_or_b32 exec_lo, exec_lo, s11
	s_delay_alu instid0(VALU_DEP_1) | instskip(NEXT) | instid1(VALU_DEP_1)
	v_readfirstlane_b32 s11, v2
	s_cmp_eq_u32 s11, 0
	s_cbranch_scc1 .LBB1_98
; %bb.97:                               ;   in Loop: Header=BB1_99 Depth=2
	s_sleep 1
	s_cbranch_execnz .LBB1_99
	s_branch .LBB1_101
.LBB1_98:                               ;   in Loop: Header=BB1_30 Depth=1
	s_branch .LBB1_101
.LBB1_99:                               ;   Parent Loop BB1_30 Depth=1
                                        ; =>  This Inner Loop Header: Depth=2
	v_mov_b32_e32 v2, 1
	s_and_saveexec_b32 s11, s0
	s_cbranch_execz .LBB1_96
; %bb.100:                              ;   in Loop: Header=BB1_99 Depth=2
	global_load_b32 v2, v[26:27], off offset:20 scope:SCOPE_SYS
	s_wait_loadcnt 0x0
	global_inv scope:SCOPE_SYS
	v_and_b32_e32 v2, 1, v2
	s_branch .LBB1_96
.LBB1_101:                              ;   in Loop: Header=BB1_30 Depth=1
	global_load_b128 v[6:9], v[6:7], off
	s_and_saveexec_b32 s11, s0
	s_cbranch_execz .LBB1_29
; %bb.102:                              ;   in Loop: Header=BB1_30 Depth=1
	s_clause 0x2
	global_load_b64 v[10:11], v3, s[2:3] offset:40
	global_load_b64 v[14:15], v3, s[2:3] offset:24 scope:SCOPE_SYS
	global_load_b64 v[12:13], v3, s[2:3]
	s_wait_loadcnt 0x2
	v_add_co_u32 v2, vcc_lo, v10, 1
	s_wait_alu 0xfffd
	v_add_co_ci_u32_e32 v16, vcc_lo, 0, v11, vcc_lo
	s_delay_alu instid0(VALU_DEP_2) | instskip(SKIP_1) | instid1(VALU_DEP_2)
	v_add_co_u32 v8, vcc_lo, v2, s10
	s_wait_alu 0xfffd
	v_add_co_ci_u32_e32 v9, vcc_lo, s1, v16, vcc_lo
	s_delay_alu instid0(VALU_DEP_1) | instskip(SKIP_2) | instid1(VALU_DEP_1)
	v_cmp_eq_u64_e32 vcc_lo, 0, v[8:9]
	s_wait_alu 0xfffd
	v_dual_cndmask_b32 v9, v9, v16 :: v_dual_cndmask_b32 v8, v8, v2
	v_and_b32_e32 v2, v9, v11
	s_delay_alu instid0(VALU_DEP_2) | instskip(NEXT) | instid1(VALU_DEP_2)
	v_and_b32_e32 v10, v8, v10
	v_mul_lo_u32 v2, 24, v2
	s_delay_alu instid0(VALU_DEP_2) | instskip(SKIP_3) | instid1(VALU_DEP_3)
	v_mul_lo_u32 v11, 0, v10
	v_mul_hi_u32 v16, 24, v10
	v_mul_lo_u32 v10, 24, v10
	s_wait_loadcnt 0x1
	v_dual_mov_b32 v11, v15 :: v_dual_add_nc_u32 v2, v2, v11
	s_wait_loadcnt 0x0
	s_delay_alu instid0(VALU_DEP_2) | instskip(SKIP_1) | instid1(VALU_DEP_3)
	v_add_co_u32 v12, vcc_lo, v12, v10
	v_mov_b32_e32 v10, v14
	v_add_nc_u32_e32 v2, v2, v16
	s_wait_alu 0xfffd
	s_delay_alu instid0(VALU_DEP_1)
	v_add_co_ci_u32_e32 v13, vcc_lo, v13, v2, vcc_lo
	global_store_b64 v[12:13], v[14:15], off
	global_wb scope:SCOPE_SYS
	s_wait_storecnt 0x0
	global_atomic_cmpswap_b64 v[10:11], v3, v[8:11], s[2:3] offset:24 th:TH_ATOMIC_RETURN scope:SCOPE_SYS
	s_wait_loadcnt 0x0
	v_cmp_ne_u64_e32 vcc_lo, v[10:11], v[14:15]
	s_and_b32 exec_lo, exec_lo, vcc_lo
	s_cbranch_execz .LBB1_29
; %bb.103:                              ;   in Loop: Header=BB1_30 Depth=1
	s_mov_b32 s0, 0
.LBB1_104:                              ;   Parent Loop BB1_30 Depth=1
                                        ; =>  This Inner Loop Header: Depth=2
	s_sleep 1
	global_store_b64 v[12:13], v[10:11], off
	global_wb scope:SCOPE_SYS
	s_wait_storecnt 0x0
	global_atomic_cmpswap_b64 v[14:15], v3, v[8:11], s[2:3] offset:24 th:TH_ATOMIC_RETURN scope:SCOPE_SYS
	s_wait_loadcnt 0x0
	v_cmp_eq_u64_e32 vcc_lo, v[14:15], v[10:11]
	v_dual_mov_b32 v10, v14 :: v_dual_mov_b32 v11, v15
	s_wait_alu 0xfffe
	s_or_b32 s0, vcc_lo, s0
	s_wait_alu 0xfffe
	s_and_not1_b32 exec_lo, exec_lo, s0
	s_cbranch_execnz .LBB1_104
	s_branch .LBB1_29
.LBB1_105:
.LBB1_106:
	s_wait_alu 0xfffe
	s_and_not1_saveexec_b32 s14, s14
	s_cbranch_execz .LBB1_263
.LBB1_107:
	v_readfirstlane_b32 s0, v30
	s_wait_loadcnt 0x0
	v_mov_b32_e32 v6, 0
	v_mov_b32_e32 v7, 0
	s_wait_alu 0xf1ff
	v_cmp_eq_u32_e64 s0, s0, v30
	s_delay_alu instid0(VALU_DEP_1)
	s_and_saveexec_b32 s1, s0
	s_cbranch_execz .LBB1_113
; %bb.108:
	v_mov_b32_e32 v0, 0
	s_mov_b32 s4, exec_lo
	s_wait_kmcnt 0x0
	global_load_b64 v[3:4], v0, s[2:3] offset:24 scope:SCOPE_SYS
	s_wait_loadcnt 0x0
	global_inv scope:SCOPE_SYS
	s_clause 0x1
	global_load_b64 v[1:2], v0, s[2:3] offset:40
	global_load_b64 v[5:6], v0, s[2:3]
	s_wait_loadcnt 0x1
	v_and_b32_e32 v1, v1, v3
	v_and_b32_e32 v2, v2, v4
	s_delay_alu instid0(VALU_DEP_2) | instskip(NEXT) | instid1(VALU_DEP_2)
	v_mul_lo_u32 v7, 0, v1
	v_mul_lo_u32 v2, 24, v2
	v_mul_hi_u32 v8, 24, v1
	v_mul_lo_u32 v1, 24, v1
	s_delay_alu instid0(VALU_DEP_3) | instskip(SKIP_1) | instid1(VALU_DEP_2)
	v_add_nc_u32_e32 v2, v2, v7
	s_wait_loadcnt 0x0
	v_add_co_u32 v1, vcc_lo, v5, v1
	s_delay_alu instid0(VALU_DEP_2) | instskip(SKIP_1) | instid1(VALU_DEP_1)
	v_add_nc_u32_e32 v2, v2, v8
	s_wait_alu 0xfffd
	v_add_co_ci_u32_e32 v2, vcc_lo, v6, v2, vcc_lo
	global_load_b64 v[1:2], v[1:2], off scope:SCOPE_SYS
	s_wait_loadcnt 0x0
	global_atomic_cmpswap_b64 v[6:7], v0, v[1:4], s[2:3] offset:24 th:TH_ATOMIC_RETURN scope:SCOPE_SYS
	s_wait_loadcnt 0x0
	global_inv scope:SCOPE_SYS
	v_cmpx_ne_u64_e64 v[6:7], v[3:4]
	s_cbranch_execz .LBB1_112
; %bb.109:
	s_mov_b32 s5, 0
.LBB1_110:                              ; =>This Inner Loop Header: Depth=1
	s_sleep 1
	s_clause 0x1
	global_load_b64 v[1:2], v0, s[2:3] offset:40
	global_load_b64 v[8:9], v0, s[2:3]
	v_dual_mov_b32 v3, v6 :: v_dual_mov_b32 v4, v7
	s_wait_loadcnt 0x1
	s_delay_alu instid0(VALU_DEP_1) | instskip(NEXT) | instid1(VALU_DEP_2)
	v_and_b32_e32 v1, v1, v3
	v_and_b32_e32 v2, v2, v4
	s_wait_loadcnt 0x0
	s_delay_alu instid0(VALU_DEP_2) | instskip(NEXT) | instid1(VALU_DEP_1)
	v_mad_co_u64_u32 v[5:6], null, v1, 24, v[8:9]
	v_mov_b32_e32 v1, v6
	s_delay_alu instid0(VALU_DEP_1) | instskip(NEXT) | instid1(VALU_DEP_1)
	v_mad_co_u64_u32 v[1:2], null, v2, 24, v[1:2]
	v_mov_b32_e32 v6, v1
	global_load_b64 v[1:2], v[5:6], off scope:SCOPE_SYS
	s_wait_loadcnt 0x0
	global_atomic_cmpswap_b64 v[6:7], v0, v[1:4], s[2:3] offset:24 th:TH_ATOMIC_RETURN scope:SCOPE_SYS
	s_wait_loadcnt 0x0
	global_inv scope:SCOPE_SYS
	v_cmp_eq_u64_e32 vcc_lo, v[6:7], v[3:4]
	s_wait_alu 0xfffe
	s_or_b32 s5, vcc_lo, s5
	s_wait_alu 0xfffe
	s_and_not1_b32 exec_lo, exec_lo, s5
	s_cbranch_execnz .LBB1_110
; %bb.111:
	s_or_b32 exec_lo, exec_lo, s5
.LBB1_112:
	s_wait_alu 0xfffe
	s_or_b32 exec_lo, exec_lo, s4
.LBB1_113:
	s_wait_alu 0xfffe
	s_or_b32 exec_lo, exec_lo, s1
	v_readfirstlane_b32 s4, v6
	v_mov_b32_e32 v5, 0
	v_readfirstlane_b32 s1, v7
	s_mov_b32 s5, exec_lo
	s_wait_kmcnt 0x0
	s_clause 0x1
	global_load_b64 v[8:9], v5, s[2:3] offset:40
	global_load_b128 v[0:3], v5, s[2:3]
	s_wait_loadcnt 0x1
	s_wait_alu 0xf1ff
	v_and_b32_e32 v10, s4, v8
	v_and_b32_e32 v11, s1, v9
	s_delay_alu instid0(VALU_DEP_2) | instskip(NEXT) | instid1(VALU_DEP_2)
	v_mul_lo_u32 v6, 0, v10
	v_mul_lo_u32 v4, 24, v11
	v_mul_hi_u32 v7, 24, v10
	v_mul_lo_u32 v8, 24, v10
	s_delay_alu instid0(VALU_DEP_3) | instskip(SKIP_1) | instid1(VALU_DEP_2)
	v_add_nc_u32_e32 v4, v4, v6
	s_wait_loadcnt 0x0
	v_add_co_u32 v8, vcc_lo, v0, v8
	s_delay_alu instid0(VALU_DEP_2) | instskip(SKIP_1) | instid1(VALU_DEP_1)
	v_add_nc_u32_e32 v4, v4, v7
	s_wait_alu 0xfffd
	v_add_co_ci_u32_e32 v9, vcc_lo, v1, v4, vcc_lo
	s_and_saveexec_b32 s6, s0
	s_cbranch_execz .LBB1_115
; %bb.114:
	s_wait_alu 0xfffe
	v_dual_mov_b32 v4, s5 :: v_dual_mov_b32 v7, 1
	v_mov_b32_e32 v6, 2
	global_store_b128 v[8:9], v[4:7], off offset:8
.LBB1_115:
	s_wait_alu 0xfffe
	s_or_b32 exec_lo, exec_lo, s6
	v_lshlrev_b64_e32 v[10:11], 12, v[10:11]
	v_dual_mov_b32 v4, 33 :: v_dual_lshlrev_b32 v31, 6, v30
	s_mov_b32 s8, 0
	v_dual_mov_b32 v6, v5 :: v_dual_mov_b32 v7, v5
	s_delay_alu instid0(VALU_DEP_3)
	v_add_co_u32 v2, vcc_lo, v2, v10
	s_wait_alu 0xfffd
	v_add_co_ci_u32_e32 v3, vcc_lo, v3, v11, vcc_lo
	s_wait_alu 0xfffe
	s_mov_b32 s11, s8
	v_add_co_u32 v10, vcc_lo, v2, v31
	s_mov_b32 s9, s8
	s_mov_b32 s10, s8
	v_readfirstlane_b32 s6, v2
	v_readfirstlane_b32 s7, v3
	s_wait_alu 0xfffe
	v_dual_mov_b32 v15, s11 :: v_dual_mov_b32 v14, s10
	s_wait_alu 0xfffd
	v_add_co_ci_u32_e32 v11, vcc_lo, 0, v3, vcc_lo
	v_dual_mov_b32 v13, s9 :: v_dual_mov_b32 v12, s8
	s_clause 0x3
	global_store_b128 v31, v[4:7], s[6:7]
	global_store_b128 v31, v[12:15], s[6:7] offset:16
	global_store_b128 v31, v[12:15], s[6:7] offset:32
	global_store_b128 v31, v[12:15], s[6:7] offset:48
	s_and_saveexec_b32 s5, s0
	s_cbranch_execz .LBB1_123
; %bb.116:
	v_mov_b32_e32 v6, 0
	s_mov_b32 s6, exec_lo
	s_clause 0x1
	global_load_b64 v[14:15], v6, s[2:3] offset:32 scope:SCOPE_SYS
	global_load_b64 v[2:3], v6, s[2:3] offset:40
	v_dual_mov_b32 v13, s1 :: v_dual_mov_b32 v12, s4
	s_wait_loadcnt 0x0
	v_and_b32_e32 v3, s1, v3
	v_and_b32_e32 v2, s4, v2
	s_delay_alu instid0(VALU_DEP_2) | instskip(NEXT) | instid1(VALU_DEP_2)
	v_mul_lo_u32 v3, 24, v3
	v_mul_lo_u32 v4, 0, v2
	v_mul_hi_u32 v5, 24, v2
	v_mul_lo_u32 v2, 24, v2
	s_delay_alu instid0(VALU_DEP_3) | instskip(NEXT) | instid1(VALU_DEP_2)
	v_add_nc_u32_e32 v3, v3, v4
	v_add_co_u32 v4, vcc_lo, v0, v2
	s_delay_alu instid0(VALU_DEP_2) | instskip(SKIP_1) | instid1(VALU_DEP_1)
	v_add_nc_u32_e32 v3, v3, v5
	s_wait_alu 0xfffd
	v_add_co_ci_u32_e32 v5, vcc_lo, v1, v3, vcc_lo
	global_store_b64 v[4:5], v[14:15], off
	global_wb scope:SCOPE_SYS
	s_wait_storecnt 0x0
	global_atomic_cmpswap_b64 v[2:3], v6, v[12:15], s[2:3] offset:32 th:TH_ATOMIC_RETURN scope:SCOPE_SYS
	s_wait_loadcnt 0x0
	v_cmpx_ne_u64_e64 v[2:3], v[14:15]
	s_cbranch_execz .LBB1_119
; %bb.117:
	s_mov_b32 s7, 0
.LBB1_118:                              ; =>This Inner Loop Header: Depth=1
	v_dual_mov_b32 v0, s4 :: v_dual_mov_b32 v1, s1
	s_sleep 1
	global_store_b64 v[4:5], v[2:3], off
	global_wb scope:SCOPE_SYS
	s_wait_storecnt 0x0
	global_atomic_cmpswap_b64 v[0:1], v6, v[0:3], s[2:3] offset:32 th:TH_ATOMIC_RETURN scope:SCOPE_SYS
	s_wait_loadcnt 0x0
	v_cmp_eq_u64_e32 vcc_lo, v[0:1], v[2:3]
	v_dual_mov_b32 v3, v1 :: v_dual_mov_b32 v2, v0
	s_wait_alu 0xfffe
	s_or_b32 s7, vcc_lo, s7
	s_wait_alu 0xfffe
	s_and_not1_b32 exec_lo, exec_lo, s7
	s_cbranch_execnz .LBB1_118
.LBB1_119:
	s_wait_alu 0xfffe
	s_or_b32 exec_lo, exec_lo, s6
	v_mov_b32_e32 v3, 0
	s_mov_b32 s7, exec_lo
	s_mov_b32 s6, exec_lo
	s_wait_alu 0xfffe
	v_mbcnt_lo_u32_b32 v2, s7, 0
	global_load_b64 v[0:1], v3, s[2:3] offset:16
	v_cmpx_eq_u32_e32 0, v2
	s_cbranch_execz .LBB1_121
; %bb.120:
	s_bcnt1_i32_b32 s7, s7
	s_wait_alu 0xfffe
	v_mov_b32_e32 v2, s7
	global_wb scope:SCOPE_SYS
	s_wait_loadcnt 0x0
	global_atomic_add_u64 v[0:1], v[2:3], off offset:8 scope:SCOPE_SYS
.LBB1_121:
	s_or_b32 exec_lo, exec_lo, s6
	s_wait_loadcnt 0x0
	global_load_b64 v[2:3], v[0:1], off offset:16
	s_wait_loadcnt 0x0
	v_cmp_eq_u64_e32 vcc_lo, 0, v[2:3]
	s_cbranch_vccnz .LBB1_123
; %bb.122:
	global_load_b32 v0, v[0:1], off offset:24
	s_wait_loadcnt 0x0
	v_dual_mov_b32 v1, 0 :: v_dual_and_b32 v4, 0xffffff, v0
	global_wb scope:SCOPE_SYS
	s_wait_storecnt 0x0
	global_store_b64 v[2:3], v[0:1], off scope:SCOPE_SYS
	v_readfirstlane_b32 m0, v4
	s_sendmsg sendmsg(MSG_INTERRUPT)
.LBB1_123:
	s_wait_alu 0xfffe
	s_or_b32 exec_lo, exec_lo, s5
	s_branch .LBB1_127
.LBB1_124:                              ;   in Loop: Header=BB1_127 Depth=1
	s_wait_alu 0xfffe
	s_or_b32 exec_lo, exec_lo, s5
	s_delay_alu instid0(VALU_DEP_1) | instskip(NEXT) | instid1(VALU_DEP_1)
	v_readfirstlane_b32 s5, v0
	s_cmp_eq_u32 s5, 0
	s_cbranch_scc1 .LBB1_126
; %bb.125:                              ;   in Loop: Header=BB1_127 Depth=1
	s_sleep 1
	s_cbranch_execnz .LBB1_127
	s_branch .LBB1_129
.LBB1_126:
	s_branch .LBB1_129
.LBB1_127:                              ; =>This Inner Loop Header: Depth=1
	v_mov_b32_e32 v0, 1
	s_and_saveexec_b32 s5, s0
	s_cbranch_execz .LBB1_124
; %bb.128:                              ;   in Loop: Header=BB1_127 Depth=1
	global_load_b32 v0, v[8:9], off offset:20 scope:SCOPE_SYS
	s_wait_loadcnt 0x0
	global_inv scope:SCOPE_SYS
	v_and_b32_e32 v0, 1, v0
	s_branch .LBB1_124
.LBB1_129:
	global_load_b64 v[0:1], v[10:11], off
	s_and_saveexec_b32 s5, s0
	s_cbranch_execz .LBB1_133
; %bb.130:
	v_mov_b32_e32 v8, 0
	s_clause 0x2
	global_load_b64 v[4:5], v8, s[2:3] offset:40
	global_load_b64 v[9:10], v8, s[2:3] offset:24 scope:SCOPE_SYS
	global_load_b64 v[6:7], v8, s[2:3]
	s_wait_loadcnt 0x2
	v_add_co_u32 v11, vcc_lo, v4, 1
	s_wait_alu 0xfffd
	v_add_co_ci_u32_e32 v12, vcc_lo, 0, v5, vcc_lo
	s_delay_alu instid0(VALU_DEP_2) | instskip(SKIP_1) | instid1(VALU_DEP_2)
	v_add_co_u32 v2, vcc_lo, v11, s4
	s_wait_alu 0xfffd
	v_add_co_ci_u32_e32 v3, vcc_lo, s1, v12, vcc_lo
	s_delay_alu instid0(VALU_DEP_1) | instskip(SKIP_2) | instid1(VALU_DEP_1)
	v_cmp_eq_u64_e32 vcc_lo, 0, v[2:3]
	s_wait_alu 0xfffd
	v_dual_cndmask_b32 v3, v3, v12 :: v_dual_cndmask_b32 v2, v2, v11
	v_and_b32_e32 v5, v3, v5
	s_delay_alu instid0(VALU_DEP_2) | instskip(NEXT) | instid1(VALU_DEP_2)
	v_and_b32_e32 v4, v2, v4
	v_mul_lo_u32 v5, 24, v5
	s_delay_alu instid0(VALU_DEP_2) | instskip(SKIP_2) | instid1(VALU_DEP_3)
	v_mul_lo_u32 v11, 0, v4
	v_mul_hi_u32 v12, 24, v4
	v_mul_lo_u32 v4, 24, v4
	v_add_nc_u32_e32 v5, v5, v11
	s_wait_loadcnt 0x0
	s_delay_alu instid0(VALU_DEP_2) | instskip(SKIP_1) | instid1(VALU_DEP_3)
	v_add_co_u32 v6, vcc_lo, v6, v4
	v_mov_b32_e32 v4, v9
	v_add_nc_u32_e32 v5, v5, v12
	s_wait_alu 0xfffd
	s_delay_alu instid0(VALU_DEP_1)
	v_add_co_ci_u32_e32 v7, vcc_lo, v7, v5, vcc_lo
	v_mov_b32_e32 v5, v10
	global_store_b64 v[6:7], v[9:10], off
	global_wb scope:SCOPE_SYS
	s_wait_storecnt 0x0
	global_atomic_cmpswap_b64 v[4:5], v8, v[2:5], s[2:3] offset:24 th:TH_ATOMIC_RETURN scope:SCOPE_SYS
	s_wait_loadcnt 0x0
	v_cmp_ne_u64_e32 vcc_lo, v[4:5], v[9:10]
	s_and_b32 exec_lo, exec_lo, vcc_lo
	s_cbranch_execz .LBB1_133
; %bb.131:
	s_mov_b32 s0, 0
.LBB1_132:                              ; =>This Inner Loop Header: Depth=1
	s_sleep 1
	global_store_b64 v[6:7], v[4:5], off
	global_wb scope:SCOPE_SYS
	s_wait_storecnt 0x0
	global_atomic_cmpswap_b64 v[9:10], v8, v[2:5], s[2:3] offset:24 th:TH_ATOMIC_RETURN scope:SCOPE_SYS
	s_wait_loadcnt 0x0
	v_cmp_eq_u64_e32 vcc_lo, v[9:10], v[4:5]
	v_dual_mov_b32 v4, v9 :: v_dual_mov_b32 v5, v10
	s_wait_alu 0xfffe
	s_or_b32 s0, vcc_lo, s0
	s_wait_alu 0xfffe
	s_and_not1_b32 exec_lo, exec_lo, s0
	s_cbranch_execnz .LBB1_132
.LBB1_133:
	s_wait_alu 0xfffe
	s_or_b32 exec_lo, exec_lo, s5
	s_getpc_b64 s[4:5]
	s_wait_alu 0xfffe
	s_sext_i32_i16 s5, s5
	s_add_co_u32 s4, s4, .str.14@rel32@lo+12
	s_wait_alu 0xfffe
	s_add_co_ci_u32 s5, s5, .str.14@rel32@hi+24
	s_wait_alu 0xfffe
	s_cmp_lg_u64 s[4:5], 0
	s_cbranch_scc0 .LBB1_240
; %bb.134:
	s_wait_loadcnt 0x0
	v_dual_mov_b32 v7, v1 :: v_dual_and_b32 v6, -3, v0
	v_dual_mov_b32 v3, 0 :: v_dual_mov_b32 v4, 2
	v_mov_b32_e32 v5, 1
	s_mov_b64 s[6:7], 5
	s_branch .LBB1_136
.LBB1_135:                              ;   in Loop: Header=BB1_136 Depth=1
	s_wait_alu 0xfffe
	s_or_b32 exec_lo, exec_lo, s11
	s_sub_nc_u64 s[6:7], s[6:7], s[8:9]
	s_add_nc_u64 s[4:5], s[4:5], s[8:9]
	s_wait_alu 0xfffe
	s_cmp_eq_u64 s[6:7], 0
	s_cbranch_scc1 .LBB1_211
.LBB1_136:                              ; =>This Loop Header: Depth=1
                                        ;     Child Loop BB1_145 Depth 2
                                        ;     Child Loop BB1_141 Depth 2
	;; [unrolled: 1-line block ×11, first 2 shown]
	s_wait_alu 0xfffe
	v_cmp_lt_u64_e64 s0, s[6:7], 56
	v_cmp_gt_u64_e64 s1, s[6:7], 7
                                        ; implicit-def: $sgpr15
	s_delay_alu instid0(VALU_DEP_2) | instskip(SKIP_2) | instid1(VALU_DEP_1)
	s_and_b32 s0, s0, exec_lo
	s_cselect_b32 s9, s7, 0
	s_cselect_b32 s8, s6, 56
	s_and_b32 vcc_lo, exec_lo, s1
	s_mov_b32 s0, -1
	s_wait_alu 0xfffe
	s_cbranch_vccz .LBB1_143
; %bb.137:                              ;   in Loop: Header=BB1_136 Depth=1
	s_and_not1_b32 vcc_lo, exec_lo, s0
	s_mov_b64 s[0:1], s[4:5]
	s_wait_alu 0xfffe
	s_cbranch_vccz .LBB1_147
.LBB1_138:                              ;   in Loop: Header=BB1_136 Depth=1
	s_wait_alu 0xfffe
	s_cmp_gt_u32 s15, 7
	s_cbranch_scc1 .LBB1_148
.LBB1_139:                              ;   in Loop: Header=BB1_136 Depth=1
	v_mov_b32_e32 v10, 0
	v_mov_b32_e32 v11, 0
	s_cmp_eq_u32 s15, 0
	s_cbranch_scc1 .LBB1_142
; %bb.140:                              ;   in Loop: Header=BB1_136 Depth=1
	s_mov_b64 s[10:11], 0
	s_mov_b64 s[12:13], 0
.LBB1_141:                              ;   Parent Loop BB1_136 Depth=1
                                        ; =>  This Inner Loop Header: Depth=2
	s_wait_alu 0xfffe
	s_add_nc_u64 s[16:17], s[0:1], s[12:13]
	s_add_nc_u64 s[12:13], s[12:13], 1
	global_load_u8 v2, v3, s[16:17]
	s_wait_alu 0xfffe
	s_cmp_lg_u32 s15, s12
	s_wait_loadcnt 0x0
	v_and_b32_e32 v2, 0xffff, v2
	s_delay_alu instid0(VALU_DEP_1) | instskip(SKIP_1) | instid1(VALU_DEP_1)
	v_lshlrev_b64_e32 v[12:13], s10, v[2:3]
	s_add_nc_u64 s[10:11], s[10:11], 8
	v_or_b32_e32 v10, v12, v10
	s_delay_alu instid0(VALU_DEP_2)
	v_or_b32_e32 v11, v13, v11
	s_cbranch_scc1 .LBB1_141
.LBB1_142:                              ;   in Loop: Header=BB1_136 Depth=1
	s_mov_b32 s16, 0
	s_cbranch_execz .LBB1_149
	s_branch .LBB1_150
.LBB1_143:                              ;   in Loop: Header=BB1_136 Depth=1
	s_wait_loadcnt 0x0
	v_mov_b32_e32 v8, 0
	v_mov_b32_e32 v9, 0
	s_cmp_eq_u64 s[6:7], 0
	s_mov_b64 s[0:1], 0
	s_cbranch_scc1 .LBB1_146
; %bb.144:                              ;   in Loop: Header=BB1_136 Depth=1
	v_mov_b32_e32 v8, 0
	v_mov_b32_e32 v9, 0
	s_mov_b64 s[10:11], 0
.LBB1_145:                              ;   Parent Loop BB1_136 Depth=1
                                        ; =>  This Inner Loop Header: Depth=2
	s_wait_alu 0xfffe
	s_add_nc_u64 s[12:13], s[4:5], s[10:11]
	s_add_nc_u64 s[10:11], s[10:11], 1
	global_load_u8 v2, v3, s[12:13]
	s_wait_alu 0xfffe
	s_cmp_lg_u32 s8, s10
	s_wait_loadcnt 0x0
	v_and_b32_e32 v2, 0xffff, v2
	s_delay_alu instid0(VALU_DEP_1) | instskip(SKIP_1) | instid1(VALU_DEP_1)
	v_lshlrev_b64_e32 v[10:11], s0, v[2:3]
	s_add_nc_u64 s[0:1], s[0:1], 8
	v_or_b32_e32 v8, v10, v8
	s_delay_alu instid0(VALU_DEP_2)
	v_or_b32_e32 v9, v11, v9
	s_cbranch_scc1 .LBB1_145
.LBB1_146:                              ;   in Loop: Header=BB1_136 Depth=1
	s_mov_b32 s15, 0
	s_mov_b64 s[0:1], s[4:5]
	s_cbranch_execnz .LBB1_138
.LBB1_147:                              ;   in Loop: Header=BB1_136 Depth=1
	global_load_b64 v[8:9], v3, s[4:5]
	s_add_co_i32 s15, s8, -8
	s_add_nc_u64 s[0:1], s[4:5], 8
	s_wait_alu 0xfffe
	s_cmp_gt_u32 s15, 7
	s_cbranch_scc0 .LBB1_139
.LBB1_148:                              ;   in Loop: Header=BB1_136 Depth=1
                                        ; implicit-def: $vgpr10_vgpr11
                                        ; implicit-def: $sgpr16
.LBB1_149:                              ;   in Loop: Header=BB1_136 Depth=1
	global_load_b64 v[10:11], v3, s[0:1]
	s_add_co_i32 s16, s15, -8
	s_add_nc_u64 s[0:1], s[0:1], 8
.LBB1_150:                              ;   in Loop: Header=BB1_136 Depth=1
	s_wait_alu 0xfffe
	s_cmp_gt_u32 s16, 7
	s_cbranch_scc1 .LBB1_155
; %bb.151:                              ;   in Loop: Header=BB1_136 Depth=1
	v_mov_b32_e32 v12, 0
	v_mov_b32_e32 v13, 0
	s_cmp_eq_u32 s16, 0
	s_cbranch_scc1 .LBB1_154
; %bb.152:                              ;   in Loop: Header=BB1_136 Depth=1
	s_mov_b64 s[10:11], 0
	s_mov_b64 s[12:13], 0
.LBB1_153:                              ;   Parent Loop BB1_136 Depth=1
                                        ; =>  This Inner Loop Header: Depth=2
	s_wait_alu 0xfffe
	s_add_nc_u64 s[18:19], s[0:1], s[12:13]
	s_add_nc_u64 s[12:13], s[12:13], 1
	global_load_u8 v2, v3, s[18:19]
	s_wait_alu 0xfffe
	s_cmp_lg_u32 s16, s12
	s_wait_loadcnt 0x0
	v_and_b32_e32 v2, 0xffff, v2
	s_delay_alu instid0(VALU_DEP_1) | instskip(SKIP_1) | instid1(VALU_DEP_1)
	v_lshlrev_b64_e32 v[14:15], s10, v[2:3]
	s_add_nc_u64 s[10:11], s[10:11], 8
	v_or_b32_e32 v12, v14, v12
	s_delay_alu instid0(VALU_DEP_2)
	v_or_b32_e32 v13, v15, v13
	s_cbranch_scc1 .LBB1_153
.LBB1_154:                              ;   in Loop: Header=BB1_136 Depth=1
	s_mov_b32 s15, 0
	s_cbranch_execz .LBB1_156
	s_branch .LBB1_157
.LBB1_155:                              ;   in Loop: Header=BB1_136 Depth=1
                                        ; implicit-def: $sgpr15
.LBB1_156:                              ;   in Loop: Header=BB1_136 Depth=1
	global_load_b64 v[12:13], v3, s[0:1]
	s_add_co_i32 s15, s16, -8
	s_add_nc_u64 s[0:1], s[0:1], 8
.LBB1_157:                              ;   in Loop: Header=BB1_136 Depth=1
	s_wait_alu 0xfffe
	s_cmp_gt_u32 s15, 7
	s_cbranch_scc1 .LBB1_162
; %bb.158:                              ;   in Loop: Header=BB1_136 Depth=1
	v_mov_b32_e32 v14, 0
	v_mov_b32_e32 v15, 0
	s_cmp_eq_u32 s15, 0
	s_cbranch_scc1 .LBB1_161
; %bb.159:                              ;   in Loop: Header=BB1_136 Depth=1
	s_mov_b64 s[10:11], 0
	s_mov_b64 s[12:13], 0
.LBB1_160:                              ;   Parent Loop BB1_136 Depth=1
                                        ; =>  This Inner Loop Header: Depth=2
	s_wait_alu 0xfffe
	s_add_nc_u64 s[16:17], s[0:1], s[12:13]
	s_add_nc_u64 s[12:13], s[12:13], 1
	global_load_u8 v2, v3, s[16:17]
	s_wait_alu 0xfffe
	s_cmp_lg_u32 s15, s12
	s_wait_loadcnt 0x0
	v_and_b32_e32 v2, 0xffff, v2
	s_delay_alu instid0(VALU_DEP_1) | instskip(SKIP_1) | instid1(VALU_DEP_1)
	v_lshlrev_b64_e32 v[16:17], s10, v[2:3]
	s_add_nc_u64 s[10:11], s[10:11], 8
	v_or_b32_e32 v14, v16, v14
	s_delay_alu instid0(VALU_DEP_2)
	v_or_b32_e32 v15, v17, v15
	s_cbranch_scc1 .LBB1_160
.LBB1_161:                              ;   in Loop: Header=BB1_136 Depth=1
	s_mov_b32 s16, 0
	s_cbranch_execz .LBB1_163
	s_branch .LBB1_164
.LBB1_162:                              ;   in Loop: Header=BB1_136 Depth=1
                                        ; implicit-def: $vgpr14_vgpr15
                                        ; implicit-def: $sgpr16
.LBB1_163:                              ;   in Loop: Header=BB1_136 Depth=1
	global_load_b64 v[14:15], v3, s[0:1]
	s_add_co_i32 s16, s15, -8
	s_add_nc_u64 s[0:1], s[0:1], 8
.LBB1_164:                              ;   in Loop: Header=BB1_136 Depth=1
	s_wait_alu 0xfffe
	s_cmp_gt_u32 s16, 7
	s_cbranch_scc1 .LBB1_169
; %bb.165:                              ;   in Loop: Header=BB1_136 Depth=1
	v_mov_b32_e32 v16, 0
	v_mov_b32_e32 v17, 0
	s_cmp_eq_u32 s16, 0
	s_cbranch_scc1 .LBB1_168
; %bb.166:                              ;   in Loop: Header=BB1_136 Depth=1
	s_mov_b64 s[10:11], 0
	s_mov_b64 s[12:13], 0
.LBB1_167:                              ;   Parent Loop BB1_136 Depth=1
                                        ; =>  This Inner Loop Header: Depth=2
	s_wait_alu 0xfffe
	s_add_nc_u64 s[18:19], s[0:1], s[12:13]
	s_add_nc_u64 s[12:13], s[12:13], 1
	global_load_u8 v2, v3, s[18:19]
	s_wait_alu 0xfffe
	s_cmp_lg_u32 s16, s12
	s_wait_loadcnt 0x0
	v_and_b32_e32 v2, 0xffff, v2
	s_delay_alu instid0(VALU_DEP_1) | instskip(SKIP_1) | instid1(VALU_DEP_1)
	v_lshlrev_b64_e32 v[18:19], s10, v[2:3]
	s_add_nc_u64 s[10:11], s[10:11], 8
	v_or_b32_e32 v16, v18, v16
	s_delay_alu instid0(VALU_DEP_2)
	v_or_b32_e32 v17, v19, v17
	s_cbranch_scc1 .LBB1_167
.LBB1_168:                              ;   in Loop: Header=BB1_136 Depth=1
	s_mov_b32 s15, 0
	s_cbranch_execz .LBB1_170
	s_branch .LBB1_171
.LBB1_169:                              ;   in Loop: Header=BB1_136 Depth=1
                                        ; implicit-def: $sgpr15
.LBB1_170:                              ;   in Loop: Header=BB1_136 Depth=1
	global_load_b64 v[16:17], v3, s[0:1]
	s_add_co_i32 s15, s16, -8
	s_add_nc_u64 s[0:1], s[0:1], 8
.LBB1_171:                              ;   in Loop: Header=BB1_136 Depth=1
	s_wait_alu 0xfffe
	s_cmp_gt_u32 s15, 7
	s_cbranch_scc1 .LBB1_176
; %bb.172:                              ;   in Loop: Header=BB1_136 Depth=1
	v_mov_b32_e32 v18, 0
	v_mov_b32_e32 v19, 0
	s_cmp_eq_u32 s15, 0
	s_cbranch_scc1 .LBB1_175
; %bb.173:                              ;   in Loop: Header=BB1_136 Depth=1
	s_mov_b64 s[10:11], 0
	s_mov_b64 s[12:13], 0
.LBB1_174:                              ;   Parent Loop BB1_136 Depth=1
                                        ; =>  This Inner Loop Header: Depth=2
	s_wait_alu 0xfffe
	s_add_nc_u64 s[16:17], s[0:1], s[12:13]
	s_add_nc_u64 s[12:13], s[12:13], 1
	global_load_u8 v2, v3, s[16:17]
	s_wait_alu 0xfffe
	s_cmp_lg_u32 s15, s12
	s_wait_loadcnt 0x0
	v_and_b32_e32 v2, 0xffff, v2
	s_delay_alu instid0(VALU_DEP_1) | instskip(SKIP_1) | instid1(VALU_DEP_1)
	v_lshlrev_b64_e32 v[20:21], s10, v[2:3]
	s_add_nc_u64 s[10:11], s[10:11], 8
	v_or_b32_e32 v18, v20, v18
	s_delay_alu instid0(VALU_DEP_2)
	v_or_b32_e32 v19, v21, v19
	s_cbranch_scc1 .LBB1_174
.LBB1_175:                              ;   in Loop: Header=BB1_136 Depth=1
	s_mov_b32 s16, 0
	s_cbranch_execz .LBB1_177
	s_branch .LBB1_178
.LBB1_176:                              ;   in Loop: Header=BB1_136 Depth=1
                                        ; implicit-def: $vgpr18_vgpr19
                                        ; implicit-def: $sgpr16
.LBB1_177:                              ;   in Loop: Header=BB1_136 Depth=1
	global_load_b64 v[18:19], v3, s[0:1]
	s_add_co_i32 s16, s15, -8
	s_add_nc_u64 s[0:1], s[0:1], 8
.LBB1_178:                              ;   in Loop: Header=BB1_136 Depth=1
	s_wait_alu 0xfffe
	s_cmp_gt_u32 s16, 7
	s_cbranch_scc1 .LBB1_183
; %bb.179:                              ;   in Loop: Header=BB1_136 Depth=1
	v_mov_b32_e32 v20, 0
	v_mov_b32_e32 v21, 0
	s_cmp_eq_u32 s16, 0
	s_cbranch_scc1 .LBB1_182
; %bb.180:                              ;   in Loop: Header=BB1_136 Depth=1
	s_mov_b64 s[10:11], 0
	s_mov_b64 s[12:13], s[0:1]
.LBB1_181:                              ;   Parent Loop BB1_136 Depth=1
                                        ; =>  This Inner Loop Header: Depth=2
	global_load_u8 v2, v3, s[12:13]
	s_add_co_i32 s16, s16, -1
	s_wait_alu 0xfffe
	s_add_nc_u64 s[12:13], s[12:13], 1
	s_cmp_lg_u32 s16, 0
	s_wait_loadcnt 0x0
	v_and_b32_e32 v2, 0xffff, v2
	s_delay_alu instid0(VALU_DEP_1) | instskip(SKIP_1) | instid1(VALU_DEP_1)
	v_lshlrev_b64_e32 v[22:23], s10, v[2:3]
	s_add_nc_u64 s[10:11], s[10:11], 8
	v_or_b32_e32 v20, v22, v20
	s_delay_alu instid0(VALU_DEP_2)
	v_or_b32_e32 v21, v23, v21
	s_cbranch_scc1 .LBB1_181
.LBB1_182:                              ;   in Loop: Header=BB1_136 Depth=1
	s_cbranch_execz .LBB1_184
	s_branch .LBB1_185
.LBB1_183:                              ;   in Loop: Header=BB1_136 Depth=1
.LBB1_184:                              ;   in Loop: Header=BB1_136 Depth=1
	global_load_b64 v[20:21], v3, s[0:1]
.LBB1_185:                              ;   in Loop: Header=BB1_136 Depth=1
	v_readfirstlane_b32 s0, v30
	v_mov_b32_e32 v26, 0
	v_mov_b32_e32 v27, 0
	s_wait_alu 0xf1ff
	s_delay_alu instid0(VALU_DEP_3) | instskip(NEXT) | instid1(VALU_DEP_1)
	v_cmp_eq_u32_e64 s0, s0, v30
	s_and_saveexec_b32 s1, s0
	s_cbranch_execz .LBB1_191
; %bb.186:                              ;   in Loop: Header=BB1_136 Depth=1
	global_load_b64 v[24:25], v3, s[2:3] offset:24 scope:SCOPE_SYS
	s_wait_loadcnt 0x0
	global_inv scope:SCOPE_SYS
	s_clause 0x1
	global_load_b64 v[22:23], v3, s[2:3] offset:40
	global_load_b64 v[26:27], v3, s[2:3]
	s_mov_b32 s10, exec_lo
	s_wait_loadcnt 0x1
	v_and_b32_e32 v2, v23, v25
	v_and_b32_e32 v22, v22, v24
	s_delay_alu instid0(VALU_DEP_2) | instskip(NEXT) | instid1(VALU_DEP_2)
	v_mul_lo_u32 v2, 24, v2
	v_mul_lo_u32 v23, 0, v22
	v_mul_hi_u32 v28, 24, v22
	v_mul_lo_u32 v22, 24, v22
	s_delay_alu instid0(VALU_DEP_3) | instskip(SKIP_1) | instid1(VALU_DEP_2)
	v_add_nc_u32_e32 v2, v2, v23
	s_wait_loadcnt 0x0
	v_add_co_u32 v22, vcc_lo, v26, v22
	s_delay_alu instid0(VALU_DEP_2) | instskip(SKIP_1) | instid1(VALU_DEP_1)
	v_add_nc_u32_e32 v2, v2, v28
	s_wait_alu 0xfffd
	v_add_co_ci_u32_e32 v23, vcc_lo, v27, v2, vcc_lo
	global_load_b64 v[22:23], v[22:23], off scope:SCOPE_SYS
	s_wait_loadcnt 0x0
	global_atomic_cmpswap_b64 v[26:27], v3, v[22:25], s[2:3] offset:24 th:TH_ATOMIC_RETURN scope:SCOPE_SYS
	s_wait_loadcnt 0x0
	global_inv scope:SCOPE_SYS
	v_cmpx_ne_u64_e64 v[26:27], v[24:25]
	s_cbranch_execz .LBB1_190
; %bb.187:                              ;   in Loop: Header=BB1_136 Depth=1
	s_mov_b32 s11, 0
.LBB1_188:                              ;   Parent Loop BB1_136 Depth=1
                                        ; =>  This Inner Loop Header: Depth=2
	s_sleep 1
	s_clause 0x1
	global_load_b64 v[22:23], v3, s[2:3] offset:40
	global_load_b64 v[28:29], v3, s[2:3]
	v_dual_mov_b32 v24, v26 :: v_dual_mov_b32 v25, v27
	s_wait_loadcnt 0x1
	s_delay_alu instid0(VALU_DEP_1) | instskip(NEXT) | instid1(VALU_DEP_2)
	v_and_b32_e32 v2, v22, v24
	v_and_b32_e32 v22, v23, v25
	s_wait_loadcnt 0x0
	s_delay_alu instid0(VALU_DEP_2) | instskip(NEXT) | instid1(VALU_DEP_1)
	v_mad_co_u64_u32 v[26:27], null, v2, 24, v[28:29]
	v_mov_b32_e32 v2, v27
	s_delay_alu instid0(VALU_DEP_1) | instskip(NEXT) | instid1(VALU_DEP_1)
	v_mad_co_u64_u32 v[22:23], null, v22, 24, v[2:3]
	v_mov_b32_e32 v27, v22
	global_load_b64 v[22:23], v[26:27], off scope:SCOPE_SYS
	s_wait_loadcnt 0x0
	global_atomic_cmpswap_b64 v[26:27], v3, v[22:25], s[2:3] offset:24 th:TH_ATOMIC_RETURN scope:SCOPE_SYS
	s_wait_loadcnt 0x0
	global_inv scope:SCOPE_SYS
	v_cmp_eq_u64_e32 vcc_lo, v[26:27], v[24:25]
	s_wait_alu 0xfffe
	s_or_b32 s11, vcc_lo, s11
	s_wait_alu 0xfffe
	s_and_not1_b32 exec_lo, exec_lo, s11
	s_cbranch_execnz .LBB1_188
; %bb.189:                              ;   in Loop: Header=BB1_136 Depth=1
	s_or_b32 exec_lo, exec_lo, s11
.LBB1_190:                              ;   in Loop: Header=BB1_136 Depth=1
	s_wait_alu 0xfffe
	s_or_b32 exec_lo, exec_lo, s10
.LBB1_191:                              ;   in Loop: Header=BB1_136 Depth=1
	s_wait_alu 0xfffe
	s_or_b32 exec_lo, exec_lo, s1
	s_clause 0x1
	global_load_b64 v[28:29], v3, s[2:3] offset:40
	global_load_b128 v[22:25], v3, s[2:3]
	v_readfirstlane_b32 s1, v27
	v_readfirstlane_b32 s10, v26
	s_mov_b32 s11, exec_lo
	s_wait_loadcnt 0x1
	s_wait_alu 0xf1ff
	v_and_b32_e32 v29, s1, v29
	v_and_b32_e32 v28, s10, v28
	s_delay_alu instid0(VALU_DEP_2) | instskip(NEXT) | instid1(VALU_DEP_2)
	v_mul_lo_u32 v2, 24, v29
	v_mul_lo_u32 v26, 0, v28
	v_mul_hi_u32 v27, 24, v28
	v_mul_lo_u32 v32, 24, v28
	s_delay_alu instid0(VALU_DEP_3) | instskip(SKIP_1) | instid1(VALU_DEP_2)
	v_add_nc_u32_e32 v2, v2, v26
	s_wait_loadcnt 0x0
	v_add_co_u32 v26, vcc_lo, v22, v32
	s_delay_alu instid0(VALU_DEP_2) | instskip(SKIP_1) | instid1(VALU_DEP_1)
	v_add_nc_u32_e32 v2, v2, v27
	s_wait_alu 0xfffd
	v_add_co_ci_u32_e32 v27, vcc_lo, v23, v2, vcc_lo
	s_and_saveexec_b32 s12, s0
	s_cbranch_execz .LBB1_193
; %bb.192:                              ;   in Loop: Header=BB1_136 Depth=1
	s_wait_alu 0xfffe
	v_mov_b32_e32 v2, s11
	global_store_b128 v[26:27], v[2:5], off offset:8
.LBB1_193:                              ;   in Loop: Header=BB1_136 Depth=1
	s_wait_alu 0xfffe
	s_or_b32 exec_lo, exec_lo, s12
	v_lshlrev_b64_e32 v[28:29], 12, v[28:29]
	v_cmp_gt_u64_e64 vcc_lo, s[6:7], 56
	v_or_b32_e32 v2, 2, v6
	s_lshl_b32 s11, s8, 2
	s_wait_alu 0xfffe
	s_add_co_i32 s11, s11, 28
	s_wait_alu 0xfffd
	v_cndmask_b32_e32 v2, v2, v6, vcc_lo
	v_add_co_u32 v24, vcc_lo, v24, v28
	s_wait_alu 0xfffd
	v_add_co_ci_u32_e32 v25, vcc_lo, v25, v29, vcc_lo
	s_wait_alu 0xfffe
	s_and_b32 s11, s11, 0x1e0
	v_readfirstlane_b32 s12, v24
	s_wait_alu 0xfffe
	v_and_or_b32 v6, 0xffffff1f, v2, s11
	v_readfirstlane_b32 s13, v25
	s_clause 0x3
	global_store_b128 v31, v[6:9], s[12:13]
	global_store_b128 v31, v[10:13], s[12:13] offset:16
	global_store_b128 v31, v[14:17], s[12:13] offset:32
	;; [unrolled: 1-line block ×3, first 2 shown]
	s_and_saveexec_b32 s11, s0
	s_cbranch_execz .LBB1_201
; %bb.194:                              ;   in Loop: Header=BB1_136 Depth=1
	s_clause 0x1
	global_load_b64 v[14:15], v3, s[2:3] offset:32 scope:SCOPE_SYS
	global_load_b64 v[6:7], v3, s[2:3] offset:40
	v_mov_b32_e32 v12, s10
	s_mov_b32 s12, exec_lo
	s_wait_loadcnt 0x0
	v_dual_mov_b32 v13, s1 :: v_dual_and_b32 v2, s1, v7
	v_and_b32_e32 v6, s10, v6
	s_delay_alu instid0(VALU_DEP_2) | instskip(NEXT) | instid1(VALU_DEP_2)
	v_mul_lo_u32 v2, 24, v2
	v_mul_lo_u32 v7, 0, v6
	v_mul_hi_u32 v8, 24, v6
	v_mul_lo_u32 v6, 24, v6
	s_delay_alu instid0(VALU_DEP_3) | instskip(NEXT) | instid1(VALU_DEP_2)
	v_add_nc_u32_e32 v2, v2, v7
	v_add_co_u32 v10, vcc_lo, v22, v6
	s_delay_alu instid0(VALU_DEP_2) | instskip(SKIP_1) | instid1(VALU_DEP_1)
	v_add_nc_u32_e32 v2, v2, v8
	s_wait_alu 0xfffd
	v_add_co_ci_u32_e32 v11, vcc_lo, v23, v2, vcc_lo
	global_store_b64 v[10:11], v[14:15], off
	global_wb scope:SCOPE_SYS
	s_wait_storecnt 0x0
	global_atomic_cmpswap_b64 v[8:9], v3, v[12:15], s[2:3] offset:32 th:TH_ATOMIC_RETURN scope:SCOPE_SYS
	s_wait_loadcnt 0x0
	v_cmpx_ne_u64_e64 v[8:9], v[14:15]
	s_cbranch_execz .LBB1_197
; %bb.195:                              ;   in Loop: Header=BB1_136 Depth=1
	s_mov_b32 s13, 0
.LBB1_196:                              ;   Parent Loop BB1_136 Depth=1
                                        ; =>  This Inner Loop Header: Depth=2
	v_dual_mov_b32 v6, s10 :: v_dual_mov_b32 v7, s1
	s_sleep 1
	global_store_b64 v[10:11], v[8:9], off
	global_wb scope:SCOPE_SYS
	s_wait_storecnt 0x0
	global_atomic_cmpswap_b64 v[6:7], v3, v[6:9], s[2:3] offset:32 th:TH_ATOMIC_RETURN scope:SCOPE_SYS
	s_wait_loadcnt 0x0
	v_cmp_eq_u64_e32 vcc_lo, v[6:7], v[8:9]
	v_dual_mov_b32 v9, v7 :: v_dual_mov_b32 v8, v6
	s_wait_alu 0xfffe
	s_or_b32 s13, vcc_lo, s13
	s_wait_alu 0xfffe
	s_and_not1_b32 exec_lo, exec_lo, s13
	s_cbranch_execnz .LBB1_196
.LBB1_197:                              ;   in Loop: Header=BB1_136 Depth=1
	s_wait_alu 0xfffe
	s_or_b32 exec_lo, exec_lo, s12
	global_load_b64 v[6:7], v3, s[2:3] offset:16
	s_mov_b32 s13, exec_lo
	s_mov_b32 s12, exec_lo
	s_wait_alu 0xfffe
	v_mbcnt_lo_u32_b32 v2, s13, 0
	s_delay_alu instid0(VALU_DEP_1)
	v_cmpx_eq_u32_e32 0, v2
	s_cbranch_execz .LBB1_199
; %bb.198:                              ;   in Loop: Header=BB1_136 Depth=1
	s_bcnt1_i32_b32 s13, s13
	s_wait_alu 0xfffe
	v_mov_b32_e32 v2, s13
	global_wb scope:SCOPE_SYS
	s_wait_loadcnt 0x0
	global_atomic_add_u64 v[6:7], v[2:3], off offset:8 scope:SCOPE_SYS
.LBB1_199:                              ;   in Loop: Header=BB1_136 Depth=1
	s_or_b32 exec_lo, exec_lo, s12
	s_wait_loadcnt 0x0
	global_load_b64 v[8:9], v[6:7], off offset:16
	s_wait_loadcnt 0x0
	v_cmp_eq_u64_e32 vcc_lo, 0, v[8:9]
	s_cbranch_vccnz .LBB1_201
; %bb.200:                              ;   in Loop: Header=BB1_136 Depth=1
	global_load_b32 v2, v[6:7], off offset:24
	s_wait_loadcnt 0x0
	v_and_b32_e32 v6, 0xffffff, v2
	global_wb scope:SCOPE_SYS
	s_wait_storecnt 0x0
	global_store_b64 v[8:9], v[2:3], off scope:SCOPE_SYS
	v_readfirstlane_b32 m0, v6
	s_sendmsg sendmsg(MSG_INTERRUPT)
.LBB1_201:                              ;   in Loop: Header=BB1_136 Depth=1
	s_wait_alu 0xfffe
	s_or_b32 exec_lo, exec_lo, s11
	v_add_co_u32 v6, vcc_lo, v24, v31
	s_wait_alu 0xfffd
	v_add_co_ci_u32_e32 v7, vcc_lo, 0, v25, vcc_lo
	s_branch .LBB1_205
.LBB1_202:                              ;   in Loop: Header=BB1_205 Depth=2
	s_wait_alu 0xfffe
	s_or_b32 exec_lo, exec_lo, s11
	s_delay_alu instid0(VALU_DEP_1) | instskip(NEXT) | instid1(VALU_DEP_1)
	v_readfirstlane_b32 s11, v2
	s_cmp_eq_u32 s11, 0
	s_cbranch_scc1 .LBB1_204
; %bb.203:                              ;   in Loop: Header=BB1_205 Depth=2
	s_sleep 1
	s_cbranch_execnz .LBB1_205
	s_branch .LBB1_207
.LBB1_204:                              ;   in Loop: Header=BB1_136 Depth=1
	s_branch .LBB1_207
.LBB1_205:                              ;   Parent Loop BB1_136 Depth=1
                                        ; =>  This Inner Loop Header: Depth=2
	v_mov_b32_e32 v2, 1
	s_and_saveexec_b32 s11, s0
	s_cbranch_execz .LBB1_202
; %bb.206:                              ;   in Loop: Header=BB1_205 Depth=2
	global_load_b32 v2, v[26:27], off offset:20 scope:SCOPE_SYS
	s_wait_loadcnt 0x0
	global_inv scope:SCOPE_SYS
	v_and_b32_e32 v2, 1, v2
	s_branch .LBB1_202
.LBB1_207:                              ;   in Loop: Header=BB1_136 Depth=1
	global_load_b128 v[6:9], v[6:7], off
	s_and_saveexec_b32 s11, s0
	s_cbranch_execz .LBB1_135
; %bb.208:                              ;   in Loop: Header=BB1_136 Depth=1
	s_clause 0x2
	global_load_b64 v[10:11], v3, s[2:3] offset:40
	global_load_b64 v[14:15], v3, s[2:3] offset:24 scope:SCOPE_SYS
	global_load_b64 v[12:13], v3, s[2:3]
	s_wait_loadcnt 0x2
	v_add_co_u32 v2, vcc_lo, v10, 1
	s_wait_alu 0xfffd
	v_add_co_ci_u32_e32 v16, vcc_lo, 0, v11, vcc_lo
	s_delay_alu instid0(VALU_DEP_2) | instskip(SKIP_1) | instid1(VALU_DEP_2)
	v_add_co_u32 v8, vcc_lo, v2, s10
	s_wait_alu 0xfffd
	v_add_co_ci_u32_e32 v9, vcc_lo, s1, v16, vcc_lo
	s_delay_alu instid0(VALU_DEP_1) | instskip(SKIP_2) | instid1(VALU_DEP_1)
	v_cmp_eq_u64_e32 vcc_lo, 0, v[8:9]
	s_wait_alu 0xfffd
	v_dual_cndmask_b32 v9, v9, v16 :: v_dual_cndmask_b32 v8, v8, v2
	v_and_b32_e32 v2, v9, v11
	s_delay_alu instid0(VALU_DEP_2) | instskip(NEXT) | instid1(VALU_DEP_2)
	v_and_b32_e32 v10, v8, v10
	v_mul_lo_u32 v2, 24, v2
	s_delay_alu instid0(VALU_DEP_2) | instskip(SKIP_3) | instid1(VALU_DEP_3)
	v_mul_lo_u32 v11, 0, v10
	v_mul_hi_u32 v16, 24, v10
	v_mul_lo_u32 v10, 24, v10
	s_wait_loadcnt 0x1
	v_dual_mov_b32 v11, v15 :: v_dual_add_nc_u32 v2, v2, v11
	s_wait_loadcnt 0x0
	s_delay_alu instid0(VALU_DEP_2) | instskip(SKIP_1) | instid1(VALU_DEP_3)
	v_add_co_u32 v12, vcc_lo, v12, v10
	v_mov_b32_e32 v10, v14
	v_add_nc_u32_e32 v2, v2, v16
	s_wait_alu 0xfffd
	s_delay_alu instid0(VALU_DEP_1)
	v_add_co_ci_u32_e32 v13, vcc_lo, v13, v2, vcc_lo
	global_store_b64 v[12:13], v[14:15], off
	global_wb scope:SCOPE_SYS
	s_wait_storecnt 0x0
	global_atomic_cmpswap_b64 v[10:11], v3, v[8:11], s[2:3] offset:24 th:TH_ATOMIC_RETURN scope:SCOPE_SYS
	s_wait_loadcnt 0x0
	v_cmp_ne_u64_e32 vcc_lo, v[10:11], v[14:15]
	s_and_b32 exec_lo, exec_lo, vcc_lo
	s_cbranch_execz .LBB1_135
; %bb.209:                              ;   in Loop: Header=BB1_136 Depth=1
	s_mov_b32 s0, 0
.LBB1_210:                              ;   Parent Loop BB1_136 Depth=1
                                        ; =>  This Inner Loop Header: Depth=2
	s_sleep 1
	global_store_b64 v[12:13], v[10:11], off
	global_wb scope:SCOPE_SYS
	s_wait_storecnt 0x0
	global_atomic_cmpswap_b64 v[14:15], v3, v[8:11], s[2:3] offset:24 th:TH_ATOMIC_RETURN scope:SCOPE_SYS
	s_wait_loadcnt 0x0
	v_cmp_eq_u64_e32 vcc_lo, v[14:15], v[10:11]
	v_dual_mov_b32 v10, v14 :: v_dual_mov_b32 v11, v15
	s_wait_alu 0xfffe
	s_or_b32 s0, vcc_lo, s0
	s_wait_alu 0xfffe
	s_and_not1_b32 exec_lo, exec_lo, s0
	s_cbranch_execnz .LBB1_210
	s_branch .LBB1_135
.LBB1_211:
	s_branch .LBB1_263
.LBB1_212:
	s_cbranch_execz .LBB1_106
; %bb.213:
	v_readfirstlane_b32 s0, v30
	s_wait_loadcnt 0x0
	v_mov_b32_e32 v8, 0
	v_mov_b32_e32 v9, 0
	s_wait_alu 0xf1ff
	v_cmp_eq_u32_e64 s0, s0, v30
	s_delay_alu instid0(VALU_DEP_1)
	s_and_saveexec_b32 s1, s0
	s_cbranch_execz .LBB1_219
; %bb.214:
	v_mov_b32_e32 v2, 0
	s_mov_b32 s4, exec_lo
	global_load_b64 v[5:6], v2, s[2:3] offset:24 scope:SCOPE_SYS
	s_wait_loadcnt 0x0
	global_inv scope:SCOPE_SYS
	s_clause 0x1
	global_load_b64 v[3:4], v2, s[2:3] offset:40
	global_load_b64 v[7:8], v2, s[2:3]
	s_wait_loadcnt 0x1
	v_and_b32_e32 v3, v3, v5
	v_and_b32_e32 v4, v4, v6
	s_delay_alu instid0(VALU_DEP_2) | instskip(NEXT) | instid1(VALU_DEP_2)
	v_mul_lo_u32 v9, 0, v3
	v_mul_lo_u32 v4, 24, v4
	v_mul_hi_u32 v10, 24, v3
	v_mul_lo_u32 v3, 24, v3
	s_delay_alu instid0(VALU_DEP_3) | instskip(SKIP_1) | instid1(VALU_DEP_2)
	v_add_nc_u32_e32 v4, v4, v9
	s_wait_loadcnt 0x0
	v_add_co_u32 v3, vcc_lo, v7, v3
	s_delay_alu instid0(VALU_DEP_2) | instskip(SKIP_1) | instid1(VALU_DEP_1)
	v_add_nc_u32_e32 v4, v4, v10
	s_wait_alu 0xfffd
	v_add_co_ci_u32_e32 v4, vcc_lo, v8, v4, vcc_lo
	global_load_b64 v[3:4], v[3:4], off scope:SCOPE_SYS
	s_wait_loadcnt 0x0
	global_atomic_cmpswap_b64 v[8:9], v2, v[3:6], s[2:3] offset:24 th:TH_ATOMIC_RETURN scope:SCOPE_SYS
	s_wait_loadcnt 0x0
	global_inv scope:SCOPE_SYS
	v_cmpx_ne_u64_e64 v[8:9], v[5:6]
	s_cbranch_execz .LBB1_218
; %bb.215:
	s_mov_b32 s5, 0
.LBB1_216:                              ; =>This Inner Loop Header: Depth=1
	s_sleep 1
	s_clause 0x1
	global_load_b64 v[3:4], v2, s[2:3] offset:40
	global_load_b64 v[10:11], v2, s[2:3]
	v_dual_mov_b32 v5, v8 :: v_dual_mov_b32 v6, v9
	s_wait_loadcnt 0x1
	s_delay_alu instid0(VALU_DEP_1) | instskip(NEXT) | instid1(VALU_DEP_2)
	v_and_b32_e32 v3, v3, v5
	v_and_b32_e32 v4, v4, v6
	s_wait_loadcnt 0x0
	s_delay_alu instid0(VALU_DEP_2) | instskip(NEXT) | instid1(VALU_DEP_1)
	v_mad_co_u64_u32 v[7:8], null, v3, 24, v[10:11]
	v_mov_b32_e32 v3, v8
	s_delay_alu instid0(VALU_DEP_1) | instskip(NEXT) | instid1(VALU_DEP_1)
	v_mad_co_u64_u32 v[3:4], null, v4, 24, v[3:4]
	v_mov_b32_e32 v8, v3
	global_load_b64 v[3:4], v[7:8], off scope:SCOPE_SYS
	s_wait_loadcnt 0x0
	global_atomic_cmpswap_b64 v[8:9], v2, v[3:6], s[2:3] offset:24 th:TH_ATOMIC_RETURN scope:SCOPE_SYS
	s_wait_loadcnt 0x0
	global_inv scope:SCOPE_SYS
	v_cmp_eq_u64_e32 vcc_lo, v[8:9], v[5:6]
	s_wait_alu 0xfffe
	s_or_b32 s5, vcc_lo, s5
	s_wait_alu 0xfffe
	s_and_not1_b32 exec_lo, exec_lo, s5
	s_cbranch_execnz .LBB1_216
; %bb.217:
	s_or_b32 exec_lo, exec_lo, s5
.LBB1_218:
	s_wait_alu 0xfffe
	s_or_b32 exec_lo, exec_lo, s4
.LBB1_219:
	s_wait_alu 0xfffe
	s_or_b32 exec_lo, exec_lo, s1
	v_readfirstlane_b32 s1, v9
	v_mov_b32_e32 v2, 0
	v_readfirstlane_b32 s4, v8
	s_mov_b32 s5, exec_lo
	s_clause 0x1
	global_load_b64 v[10:11], v2, s[2:3] offset:40
	global_load_b128 v[4:7], v2, s[2:3]
	s_wait_loadcnt 0x1
	s_wait_alu 0xf1ff
	v_and_b32_e32 v11, s1, v11
	v_and_b32_e32 v10, s4, v10
	s_delay_alu instid0(VALU_DEP_2) | instskip(NEXT) | instid1(VALU_DEP_2)
	v_mul_lo_u32 v3, 24, v11
	v_mul_lo_u32 v8, 0, v10
	v_mul_hi_u32 v9, 24, v10
	v_mul_lo_u32 v12, 24, v10
	s_delay_alu instid0(VALU_DEP_3) | instskip(SKIP_1) | instid1(VALU_DEP_2)
	v_add_nc_u32_e32 v3, v3, v8
	s_wait_loadcnt 0x0
	v_add_co_u32 v8, vcc_lo, v4, v12
	s_delay_alu instid0(VALU_DEP_2) | instskip(SKIP_1) | instid1(VALU_DEP_1)
	v_add_nc_u32_e32 v3, v3, v9
	s_wait_alu 0xfffd
	v_add_co_ci_u32_e32 v9, vcc_lo, v5, v3, vcc_lo
	s_and_saveexec_b32 s6, s0
	s_cbranch_execz .LBB1_221
; %bb.220:
	s_wait_alu 0xfffe
	v_dual_mov_b32 v12, s5 :: v_dual_mov_b32 v13, v2
	v_dual_mov_b32 v14, 2 :: v_dual_mov_b32 v15, 1
	global_store_b128 v[8:9], v[12:15], off offset:8
.LBB1_221:
	s_wait_alu 0xfffe
	s_or_b32 exec_lo, exec_lo, s6
	v_lshlrev_b64_e32 v[10:11], 12, v[10:11]
	s_mov_b32 s8, 0
	v_and_or_b32 v0, 0xffffff1d, v0, 34
	s_wait_alu 0xfffe
	s_mov_b32 s11, s8
	s_mov_b32 s9, s8
	;; [unrolled: 1-line block ×3, first 2 shown]
	v_add_co_u32 v6, vcc_lo, v6, v10
	s_wait_alu 0xfffd
	v_add_co_ci_u32_e32 v7, vcc_lo, v7, v11, vcc_lo
	v_mov_b32_e32 v3, v2
	s_delay_alu instid0(VALU_DEP_3)
	v_readfirstlane_b32 s6, v6
	s_wait_alu 0xfffe
	v_dual_mov_b32 v13, s11 :: v_dual_mov_b32 v10, s8
	v_readfirstlane_b32 s7, v7
	v_dual_mov_b32 v12, s10 :: v_dual_mov_b32 v11, s9
	s_clause 0x3
	global_store_b128 v31, v[0:3], s[6:7]
	global_store_b128 v31, v[10:13], s[6:7] offset:16
	global_store_b128 v31, v[10:13], s[6:7] offset:32
	;; [unrolled: 1-line block ×3, first 2 shown]
	s_and_saveexec_b32 s5, s0
	s_cbranch_execz .LBB1_229
; %bb.222:
	v_mov_b32_e32 v6, 0
	s_mov_b32 s6, exec_lo
	s_clause 0x1
	global_load_b64 v[12:13], v6, s[2:3] offset:32 scope:SCOPE_SYS
	global_load_b64 v[0:1], v6, s[2:3] offset:40
	v_dual_mov_b32 v11, s1 :: v_dual_mov_b32 v10, s4
	s_wait_loadcnt 0x0
	v_and_b32_e32 v1, s1, v1
	v_and_b32_e32 v0, s4, v0
	s_delay_alu instid0(VALU_DEP_2) | instskip(NEXT) | instid1(VALU_DEP_2)
	v_mul_lo_u32 v1, 24, v1
	v_mul_lo_u32 v2, 0, v0
	v_mul_hi_u32 v3, 24, v0
	v_mul_lo_u32 v0, 24, v0
	s_delay_alu instid0(VALU_DEP_3) | instskip(NEXT) | instid1(VALU_DEP_2)
	v_add_nc_u32_e32 v1, v1, v2
	v_add_co_u32 v4, vcc_lo, v4, v0
	s_delay_alu instid0(VALU_DEP_2) | instskip(SKIP_1) | instid1(VALU_DEP_1)
	v_add_nc_u32_e32 v1, v1, v3
	s_wait_alu 0xfffd
	v_add_co_ci_u32_e32 v5, vcc_lo, v5, v1, vcc_lo
	global_store_b64 v[4:5], v[12:13], off
	global_wb scope:SCOPE_SYS
	s_wait_storecnt 0x0
	global_atomic_cmpswap_b64 v[2:3], v6, v[10:13], s[2:3] offset:32 th:TH_ATOMIC_RETURN scope:SCOPE_SYS
	s_wait_loadcnt 0x0
	v_cmpx_ne_u64_e64 v[2:3], v[12:13]
	s_cbranch_execz .LBB1_225
; %bb.223:
	s_mov_b32 s7, 0
.LBB1_224:                              ; =>This Inner Loop Header: Depth=1
	v_dual_mov_b32 v0, s4 :: v_dual_mov_b32 v1, s1
	s_sleep 1
	global_store_b64 v[4:5], v[2:3], off
	global_wb scope:SCOPE_SYS
	s_wait_storecnt 0x0
	global_atomic_cmpswap_b64 v[0:1], v6, v[0:3], s[2:3] offset:32 th:TH_ATOMIC_RETURN scope:SCOPE_SYS
	s_wait_loadcnt 0x0
	v_cmp_eq_u64_e32 vcc_lo, v[0:1], v[2:3]
	v_dual_mov_b32 v3, v1 :: v_dual_mov_b32 v2, v0
	s_wait_alu 0xfffe
	s_or_b32 s7, vcc_lo, s7
	s_wait_alu 0xfffe
	s_and_not1_b32 exec_lo, exec_lo, s7
	s_cbranch_execnz .LBB1_224
.LBB1_225:
	s_wait_alu 0xfffe
	s_or_b32 exec_lo, exec_lo, s6
	v_mov_b32_e32 v3, 0
	s_mov_b32 s7, exec_lo
	s_mov_b32 s6, exec_lo
	s_wait_alu 0xfffe
	v_mbcnt_lo_u32_b32 v2, s7, 0
	global_load_b64 v[0:1], v3, s[2:3] offset:16
	v_cmpx_eq_u32_e32 0, v2
	s_cbranch_execz .LBB1_227
; %bb.226:
	s_bcnt1_i32_b32 s7, s7
	s_wait_alu 0xfffe
	v_mov_b32_e32 v2, s7
	global_wb scope:SCOPE_SYS
	s_wait_loadcnt 0x0
	global_atomic_add_u64 v[0:1], v[2:3], off offset:8 scope:SCOPE_SYS
.LBB1_227:
	s_or_b32 exec_lo, exec_lo, s6
	s_wait_loadcnt 0x0
	global_load_b64 v[2:3], v[0:1], off offset:16
	s_wait_loadcnt 0x0
	v_cmp_eq_u64_e32 vcc_lo, 0, v[2:3]
	s_cbranch_vccnz .LBB1_229
; %bb.228:
	global_load_b32 v0, v[0:1], off offset:24
	s_wait_loadcnt 0x0
	v_dual_mov_b32 v1, 0 :: v_dual_and_b32 v4, 0xffffff, v0
	global_wb scope:SCOPE_SYS
	s_wait_storecnt 0x0
	global_store_b64 v[2:3], v[0:1], off scope:SCOPE_SYS
	v_readfirstlane_b32 m0, v4
	s_sendmsg sendmsg(MSG_INTERRUPT)
.LBB1_229:
	s_wait_alu 0xfffe
	s_or_b32 exec_lo, exec_lo, s5
	s_branch .LBB1_233
.LBB1_230:                              ;   in Loop: Header=BB1_233 Depth=1
	s_wait_alu 0xfffe
	s_or_b32 exec_lo, exec_lo, s5
	s_delay_alu instid0(VALU_DEP_1) | instskip(NEXT) | instid1(VALU_DEP_1)
	v_readfirstlane_b32 s5, v0
	s_cmp_eq_u32 s5, 0
	s_cbranch_scc1 .LBB1_232
; %bb.231:                              ;   in Loop: Header=BB1_233 Depth=1
	s_sleep 1
	s_cbranch_execnz .LBB1_233
	s_branch .LBB1_235
.LBB1_232:
	s_branch .LBB1_235
.LBB1_233:                              ; =>This Inner Loop Header: Depth=1
	v_mov_b32_e32 v0, 1
	s_and_saveexec_b32 s5, s0
	s_cbranch_execz .LBB1_230
; %bb.234:                              ;   in Loop: Header=BB1_233 Depth=1
	global_load_b32 v0, v[8:9], off offset:20 scope:SCOPE_SYS
	s_wait_loadcnt 0x0
	global_inv scope:SCOPE_SYS
	v_and_b32_e32 v0, 1, v0
	s_branch .LBB1_230
.LBB1_235:
	s_and_saveexec_b32 s5, s0
	s_cbranch_execz .LBB1_239
; %bb.236:
	v_mov_b32_e32 v6, 0
	s_clause 0x2
	global_load_b64 v[2:3], v6, s[2:3] offset:40
	global_load_b64 v[7:8], v6, s[2:3] offset:24 scope:SCOPE_SYS
	global_load_b64 v[4:5], v6, s[2:3]
	s_wait_loadcnt 0x2
	v_add_co_u32 v9, vcc_lo, v2, 1
	s_wait_alu 0xfffd
	v_add_co_ci_u32_e32 v10, vcc_lo, 0, v3, vcc_lo
	s_delay_alu instid0(VALU_DEP_2) | instskip(SKIP_1) | instid1(VALU_DEP_2)
	v_add_co_u32 v0, vcc_lo, v9, s4
	s_wait_alu 0xfffd
	v_add_co_ci_u32_e32 v1, vcc_lo, s1, v10, vcc_lo
	s_delay_alu instid0(VALU_DEP_1) | instskip(SKIP_2) | instid1(VALU_DEP_1)
	v_cmp_eq_u64_e32 vcc_lo, 0, v[0:1]
	s_wait_alu 0xfffd
	v_dual_cndmask_b32 v1, v1, v10 :: v_dual_cndmask_b32 v0, v0, v9
	v_and_b32_e32 v3, v1, v3
	s_delay_alu instid0(VALU_DEP_2) | instskip(NEXT) | instid1(VALU_DEP_2)
	v_and_b32_e32 v2, v0, v2
	v_mul_lo_u32 v3, 24, v3
	s_delay_alu instid0(VALU_DEP_2) | instskip(SKIP_2) | instid1(VALU_DEP_3)
	v_mul_lo_u32 v9, 0, v2
	v_mul_hi_u32 v10, 24, v2
	v_mul_lo_u32 v2, 24, v2
	v_add_nc_u32_e32 v3, v3, v9
	s_wait_loadcnt 0x0
	s_delay_alu instid0(VALU_DEP_2) | instskip(SKIP_1) | instid1(VALU_DEP_3)
	v_add_co_u32 v4, vcc_lo, v4, v2
	v_mov_b32_e32 v2, v7
	v_add_nc_u32_e32 v3, v3, v10
	s_wait_alu 0xfffd
	s_delay_alu instid0(VALU_DEP_1)
	v_add_co_ci_u32_e32 v5, vcc_lo, v5, v3, vcc_lo
	v_mov_b32_e32 v3, v8
	global_store_b64 v[4:5], v[7:8], off
	global_wb scope:SCOPE_SYS
	s_wait_storecnt 0x0
	global_atomic_cmpswap_b64 v[2:3], v6, v[0:3], s[2:3] offset:24 th:TH_ATOMIC_RETURN scope:SCOPE_SYS
	s_wait_loadcnt 0x0
	v_cmp_ne_u64_e32 vcc_lo, v[2:3], v[7:8]
	s_and_b32 exec_lo, exec_lo, vcc_lo
	s_cbranch_execz .LBB1_239
; %bb.237:
	s_mov_b32 s0, 0
.LBB1_238:                              ; =>This Inner Loop Header: Depth=1
	s_sleep 1
	global_store_b64 v[4:5], v[2:3], off
	global_wb scope:SCOPE_SYS
	s_wait_storecnt 0x0
	global_atomic_cmpswap_b64 v[7:8], v6, v[0:3], s[2:3] offset:24 th:TH_ATOMIC_RETURN scope:SCOPE_SYS
	s_wait_loadcnt 0x0
	v_cmp_eq_u64_e32 vcc_lo, v[7:8], v[2:3]
	v_dual_mov_b32 v2, v7 :: v_dual_mov_b32 v3, v8
	s_wait_alu 0xfffe
	s_or_b32 s0, vcc_lo, s0
	s_wait_alu 0xfffe
	s_and_not1_b32 exec_lo, exec_lo, s0
	s_cbranch_execnz .LBB1_238
.LBB1_239:
	s_wait_alu 0xfffe
	s_or_b32 exec_lo, exec_lo, s5
                                        ; implicit-def: $vgpr30
	s_and_not1_saveexec_b32 s14, s14
	s_cbranch_execnz .LBB1_107
	s_branch .LBB1_263
.LBB1_240:
	s_cbranch_execz .LBB1_263
; %bb.241:
	v_readfirstlane_b32 s0, v30
	s_wait_loadcnt 0x0
	v_mov_b32_e32 v8, 0
	v_mov_b32_e32 v9, 0
	s_wait_alu 0xf1ff
	v_cmp_eq_u32_e64 s0, s0, v30
	s_delay_alu instid0(VALU_DEP_1)
	s_and_saveexec_b32 s1, s0
	s_cbranch_execz .LBB1_247
; %bb.242:
	v_mov_b32_e32 v2, 0
	s_mov_b32 s4, exec_lo
	global_load_b64 v[5:6], v2, s[2:3] offset:24 scope:SCOPE_SYS
	s_wait_loadcnt 0x0
	global_inv scope:SCOPE_SYS
	s_clause 0x1
	global_load_b64 v[3:4], v2, s[2:3] offset:40
	global_load_b64 v[7:8], v2, s[2:3]
	s_wait_loadcnt 0x1
	v_and_b32_e32 v3, v3, v5
	v_and_b32_e32 v4, v4, v6
	s_delay_alu instid0(VALU_DEP_2) | instskip(NEXT) | instid1(VALU_DEP_2)
	v_mul_lo_u32 v9, 0, v3
	v_mul_lo_u32 v4, 24, v4
	v_mul_hi_u32 v10, 24, v3
	v_mul_lo_u32 v3, 24, v3
	s_delay_alu instid0(VALU_DEP_3) | instskip(SKIP_1) | instid1(VALU_DEP_2)
	v_add_nc_u32_e32 v4, v4, v9
	s_wait_loadcnt 0x0
	v_add_co_u32 v3, vcc_lo, v7, v3
	s_delay_alu instid0(VALU_DEP_2) | instskip(SKIP_1) | instid1(VALU_DEP_1)
	v_add_nc_u32_e32 v4, v4, v10
	s_wait_alu 0xfffd
	v_add_co_ci_u32_e32 v4, vcc_lo, v8, v4, vcc_lo
	global_load_b64 v[3:4], v[3:4], off scope:SCOPE_SYS
	s_wait_loadcnt 0x0
	global_atomic_cmpswap_b64 v[8:9], v2, v[3:6], s[2:3] offset:24 th:TH_ATOMIC_RETURN scope:SCOPE_SYS
	s_wait_loadcnt 0x0
	global_inv scope:SCOPE_SYS
	v_cmpx_ne_u64_e64 v[8:9], v[5:6]
	s_cbranch_execz .LBB1_246
; %bb.243:
	s_mov_b32 s5, 0
.LBB1_244:                              ; =>This Inner Loop Header: Depth=1
	s_sleep 1
	s_clause 0x1
	global_load_b64 v[3:4], v2, s[2:3] offset:40
	global_load_b64 v[10:11], v2, s[2:3]
	v_dual_mov_b32 v5, v8 :: v_dual_mov_b32 v6, v9
	s_wait_loadcnt 0x1
	s_delay_alu instid0(VALU_DEP_1) | instskip(NEXT) | instid1(VALU_DEP_2)
	v_and_b32_e32 v3, v3, v5
	v_and_b32_e32 v4, v4, v6
	s_wait_loadcnt 0x0
	s_delay_alu instid0(VALU_DEP_2) | instskip(NEXT) | instid1(VALU_DEP_1)
	v_mad_co_u64_u32 v[7:8], null, v3, 24, v[10:11]
	v_mov_b32_e32 v3, v8
	s_delay_alu instid0(VALU_DEP_1) | instskip(NEXT) | instid1(VALU_DEP_1)
	v_mad_co_u64_u32 v[3:4], null, v4, 24, v[3:4]
	v_mov_b32_e32 v8, v3
	global_load_b64 v[3:4], v[7:8], off scope:SCOPE_SYS
	s_wait_loadcnt 0x0
	global_atomic_cmpswap_b64 v[8:9], v2, v[3:6], s[2:3] offset:24 th:TH_ATOMIC_RETURN scope:SCOPE_SYS
	s_wait_loadcnt 0x0
	global_inv scope:SCOPE_SYS
	v_cmp_eq_u64_e32 vcc_lo, v[8:9], v[5:6]
	s_wait_alu 0xfffe
	s_or_b32 s5, vcc_lo, s5
	s_wait_alu 0xfffe
	s_and_not1_b32 exec_lo, exec_lo, s5
	s_cbranch_execnz .LBB1_244
; %bb.245:
	s_or_b32 exec_lo, exec_lo, s5
.LBB1_246:
	s_wait_alu 0xfffe
	s_or_b32 exec_lo, exec_lo, s4
.LBB1_247:
	s_wait_alu 0xfffe
	s_or_b32 exec_lo, exec_lo, s1
	v_readfirstlane_b32 s1, v9
	v_mov_b32_e32 v2, 0
	v_readfirstlane_b32 s4, v8
	s_mov_b32 s5, exec_lo
	s_clause 0x1
	global_load_b64 v[10:11], v2, s[2:3] offset:40
	global_load_b128 v[4:7], v2, s[2:3]
	s_wait_loadcnt 0x1
	s_wait_alu 0xf1ff
	v_and_b32_e32 v11, s1, v11
	v_and_b32_e32 v10, s4, v10
	s_delay_alu instid0(VALU_DEP_2) | instskip(NEXT) | instid1(VALU_DEP_2)
	v_mul_lo_u32 v3, 24, v11
	v_mul_lo_u32 v8, 0, v10
	v_mul_hi_u32 v9, 24, v10
	v_mul_lo_u32 v12, 24, v10
	s_delay_alu instid0(VALU_DEP_3) | instskip(SKIP_1) | instid1(VALU_DEP_2)
	v_add_nc_u32_e32 v3, v3, v8
	s_wait_loadcnt 0x0
	v_add_co_u32 v8, vcc_lo, v4, v12
	s_delay_alu instid0(VALU_DEP_2) | instskip(SKIP_1) | instid1(VALU_DEP_1)
	v_add_nc_u32_e32 v3, v3, v9
	s_wait_alu 0xfffd
	v_add_co_ci_u32_e32 v9, vcc_lo, v5, v3, vcc_lo
	s_and_saveexec_b32 s6, s0
	s_cbranch_execz .LBB1_249
; %bb.248:
	s_wait_alu 0xfffe
	v_dual_mov_b32 v12, s5 :: v_dual_mov_b32 v13, v2
	v_dual_mov_b32 v14, 2 :: v_dual_mov_b32 v15, 1
	global_store_b128 v[8:9], v[12:15], off offset:8
.LBB1_249:
	s_wait_alu 0xfffe
	s_or_b32 exec_lo, exec_lo, s6
	v_lshlrev_b64_e32 v[10:11], 12, v[10:11]
	s_mov_b32 s8, 0
	v_and_or_b32 v0, 0xffffff1d, v0, 34
	s_wait_alu 0xfffe
	s_mov_b32 s11, s8
	s_mov_b32 s9, s8
	;; [unrolled: 1-line block ×3, first 2 shown]
	v_add_co_u32 v6, vcc_lo, v6, v10
	s_wait_alu 0xfffd
	v_add_co_ci_u32_e32 v7, vcc_lo, v7, v11, vcc_lo
	v_mov_b32_e32 v3, v2
	s_delay_alu instid0(VALU_DEP_3)
	v_readfirstlane_b32 s6, v6
	s_wait_alu 0xfffe
	v_dual_mov_b32 v13, s11 :: v_dual_mov_b32 v10, s8
	v_readfirstlane_b32 s7, v7
	v_dual_mov_b32 v12, s10 :: v_dual_mov_b32 v11, s9
	s_clause 0x3
	global_store_b128 v31, v[0:3], s[6:7]
	global_store_b128 v31, v[10:13], s[6:7] offset:16
	global_store_b128 v31, v[10:13], s[6:7] offset:32
	;; [unrolled: 1-line block ×3, first 2 shown]
	s_and_saveexec_b32 s5, s0
	s_cbranch_execz .LBB1_257
; %bb.250:
	v_mov_b32_e32 v6, 0
	s_mov_b32 s6, exec_lo
	s_clause 0x1
	global_load_b64 v[12:13], v6, s[2:3] offset:32 scope:SCOPE_SYS
	global_load_b64 v[0:1], v6, s[2:3] offset:40
	v_dual_mov_b32 v11, s1 :: v_dual_mov_b32 v10, s4
	s_wait_loadcnt 0x0
	v_and_b32_e32 v1, s1, v1
	v_and_b32_e32 v0, s4, v0
	s_delay_alu instid0(VALU_DEP_2) | instskip(NEXT) | instid1(VALU_DEP_2)
	v_mul_lo_u32 v1, 24, v1
	v_mul_lo_u32 v2, 0, v0
	v_mul_hi_u32 v3, 24, v0
	v_mul_lo_u32 v0, 24, v0
	s_delay_alu instid0(VALU_DEP_3) | instskip(NEXT) | instid1(VALU_DEP_2)
	v_add_nc_u32_e32 v1, v1, v2
	v_add_co_u32 v4, vcc_lo, v4, v0
	s_delay_alu instid0(VALU_DEP_2) | instskip(SKIP_1) | instid1(VALU_DEP_1)
	v_add_nc_u32_e32 v1, v1, v3
	s_wait_alu 0xfffd
	v_add_co_ci_u32_e32 v5, vcc_lo, v5, v1, vcc_lo
	global_store_b64 v[4:5], v[12:13], off
	global_wb scope:SCOPE_SYS
	s_wait_storecnt 0x0
	global_atomic_cmpswap_b64 v[2:3], v6, v[10:13], s[2:3] offset:32 th:TH_ATOMIC_RETURN scope:SCOPE_SYS
	s_wait_loadcnt 0x0
	v_cmpx_ne_u64_e64 v[2:3], v[12:13]
	s_cbranch_execz .LBB1_253
; %bb.251:
	s_mov_b32 s7, 0
.LBB1_252:                              ; =>This Inner Loop Header: Depth=1
	v_dual_mov_b32 v0, s4 :: v_dual_mov_b32 v1, s1
	s_sleep 1
	global_store_b64 v[4:5], v[2:3], off
	global_wb scope:SCOPE_SYS
	s_wait_storecnt 0x0
	global_atomic_cmpswap_b64 v[0:1], v6, v[0:3], s[2:3] offset:32 th:TH_ATOMIC_RETURN scope:SCOPE_SYS
	s_wait_loadcnt 0x0
	v_cmp_eq_u64_e32 vcc_lo, v[0:1], v[2:3]
	v_dual_mov_b32 v3, v1 :: v_dual_mov_b32 v2, v0
	s_wait_alu 0xfffe
	s_or_b32 s7, vcc_lo, s7
	s_wait_alu 0xfffe
	s_and_not1_b32 exec_lo, exec_lo, s7
	s_cbranch_execnz .LBB1_252
.LBB1_253:
	s_wait_alu 0xfffe
	s_or_b32 exec_lo, exec_lo, s6
	v_mov_b32_e32 v3, 0
	s_mov_b32 s7, exec_lo
	s_mov_b32 s6, exec_lo
	s_wait_alu 0xfffe
	v_mbcnt_lo_u32_b32 v2, s7, 0
	global_load_b64 v[0:1], v3, s[2:3] offset:16
	v_cmpx_eq_u32_e32 0, v2
	s_cbranch_execz .LBB1_255
; %bb.254:
	s_bcnt1_i32_b32 s7, s7
	s_wait_alu 0xfffe
	v_mov_b32_e32 v2, s7
	global_wb scope:SCOPE_SYS
	s_wait_loadcnt 0x0
	global_atomic_add_u64 v[0:1], v[2:3], off offset:8 scope:SCOPE_SYS
.LBB1_255:
	s_or_b32 exec_lo, exec_lo, s6
	s_wait_loadcnt 0x0
	global_load_b64 v[2:3], v[0:1], off offset:16
	s_wait_loadcnt 0x0
	v_cmp_eq_u64_e32 vcc_lo, 0, v[2:3]
	s_cbranch_vccnz .LBB1_257
; %bb.256:
	global_load_b32 v0, v[0:1], off offset:24
	s_wait_loadcnt 0x0
	v_dual_mov_b32 v1, 0 :: v_dual_and_b32 v4, 0xffffff, v0
	global_wb scope:SCOPE_SYS
	s_wait_storecnt 0x0
	global_store_b64 v[2:3], v[0:1], off scope:SCOPE_SYS
	v_readfirstlane_b32 m0, v4
	s_sendmsg sendmsg(MSG_INTERRUPT)
.LBB1_257:
	s_wait_alu 0xfffe
	s_or_b32 exec_lo, exec_lo, s5
	s_branch .LBB1_261
.LBB1_258:                              ;   in Loop: Header=BB1_261 Depth=1
	s_wait_alu 0xfffe
	s_or_b32 exec_lo, exec_lo, s5
	s_delay_alu instid0(VALU_DEP_1) | instskip(NEXT) | instid1(VALU_DEP_1)
	v_readfirstlane_b32 s5, v0
	s_cmp_eq_u32 s5, 0
	s_cbranch_scc1 .LBB1_260
; %bb.259:                              ;   in Loop: Header=BB1_261 Depth=1
	s_sleep 1
	s_cbranch_execnz .LBB1_261
	s_branch .LBB1_264
.LBB1_260:
	s_branch .LBB1_264
.LBB1_261:                              ; =>This Inner Loop Header: Depth=1
	v_mov_b32_e32 v0, 1
	s_and_saveexec_b32 s5, s0
	s_cbranch_execz .LBB1_258
; %bb.262:                              ;   in Loop: Header=BB1_261 Depth=1
	global_load_b32 v0, v[8:9], off offset:20 scope:SCOPE_SYS
	s_wait_loadcnt 0x0
	global_inv scope:SCOPE_SYS
	v_and_b32_e32 v0, 1, v0
	s_branch .LBB1_258
.LBB1_263:
	s_wait_alu 0xfffe
	s_or_b32 exec_lo, exec_lo, s14
	s_wait_loadcnt 0x0
	s_wait_kmcnt 0x0
	s_wait_alu 0xfffd
	s_setpc_b64 s[30:31]
.LBB1_264:
	s_and_saveexec_b32 s5, s0
	s_cbranch_execz .LBB1_268
; %bb.265:
	v_mov_b32_e32 v6, 0
	s_clause 0x2
	global_load_b64 v[2:3], v6, s[2:3] offset:40
	global_load_b64 v[7:8], v6, s[2:3] offset:24 scope:SCOPE_SYS
	global_load_b64 v[4:5], v6, s[2:3]
	s_wait_loadcnt 0x2
	v_add_co_u32 v9, vcc_lo, v2, 1
	s_wait_alu 0xfffd
	v_add_co_ci_u32_e32 v10, vcc_lo, 0, v3, vcc_lo
	s_delay_alu instid0(VALU_DEP_2) | instskip(SKIP_1) | instid1(VALU_DEP_2)
	v_add_co_u32 v0, vcc_lo, v9, s4
	s_wait_alu 0xfffd
	v_add_co_ci_u32_e32 v1, vcc_lo, s1, v10, vcc_lo
	s_delay_alu instid0(VALU_DEP_1) | instskip(SKIP_2) | instid1(VALU_DEP_1)
	v_cmp_eq_u64_e32 vcc_lo, 0, v[0:1]
	s_wait_alu 0xfffd
	v_dual_cndmask_b32 v1, v1, v10 :: v_dual_cndmask_b32 v0, v0, v9
	v_and_b32_e32 v3, v1, v3
	s_delay_alu instid0(VALU_DEP_2) | instskip(NEXT) | instid1(VALU_DEP_2)
	v_and_b32_e32 v2, v0, v2
	v_mul_lo_u32 v3, 24, v3
	s_delay_alu instid0(VALU_DEP_2) | instskip(SKIP_2) | instid1(VALU_DEP_3)
	v_mul_lo_u32 v9, 0, v2
	v_mul_hi_u32 v10, 24, v2
	v_mul_lo_u32 v2, 24, v2
	v_add_nc_u32_e32 v3, v3, v9
	s_wait_loadcnt 0x0
	s_delay_alu instid0(VALU_DEP_2) | instskip(SKIP_1) | instid1(VALU_DEP_3)
	v_add_co_u32 v4, vcc_lo, v4, v2
	v_mov_b32_e32 v2, v7
	v_add_nc_u32_e32 v3, v3, v10
	s_wait_alu 0xfffd
	s_delay_alu instid0(VALU_DEP_1)
	v_add_co_ci_u32_e32 v5, vcc_lo, v5, v3, vcc_lo
	v_mov_b32_e32 v3, v8
	global_store_b64 v[4:5], v[7:8], off
	global_wb scope:SCOPE_SYS
	s_wait_storecnt 0x0
	global_atomic_cmpswap_b64 v[2:3], v6, v[0:3], s[2:3] offset:24 th:TH_ATOMIC_RETURN scope:SCOPE_SYS
	s_wait_loadcnt 0x0
	v_cmp_ne_u64_e32 vcc_lo, v[2:3], v[7:8]
	s_and_b32 exec_lo, exec_lo, vcc_lo
	s_cbranch_execz .LBB1_268
; %bb.266:
	s_mov_b32 s0, 0
.LBB1_267:                              ; =>This Inner Loop Header: Depth=1
	s_sleep 1
	global_store_b64 v[4:5], v[2:3], off
	global_wb scope:SCOPE_SYS
	s_wait_storecnt 0x0
	global_atomic_cmpswap_b64 v[7:8], v6, v[0:3], s[2:3] offset:24 th:TH_ATOMIC_RETURN scope:SCOPE_SYS
	s_wait_loadcnt 0x0
	v_cmp_eq_u64_e32 vcc_lo, v[7:8], v[2:3]
	v_dual_mov_b32 v2, v7 :: v_dual_mov_b32 v3, v8
	s_wait_alu 0xfffe
	s_or_b32 s0, vcc_lo, s0
	s_wait_alu 0xfffe
	s_and_not1_b32 exec_lo, exec_lo, s0
	s_cbranch_execnz .LBB1_267
.LBB1_268:
	s_wait_alu 0xfffe
	s_or_b32 exec_lo, exec_lo, s5
	s_delay_alu instid0(SALU_CYCLE_1)
	s_or_b32 exec_lo, exec_lo, s14
	s_wait_kmcnt 0x0
	s_wait_alu 0xfffd
	s_setpc_b64 s[30:31]
.Lfunc_end1:
	.size	_ZN8migraphx4testlsIKNS_13basic_printerIZNS_4coutEvEUlT_E_EEEERS3_S7_RKNS0_14lhs_expressionIbNS0_3nopEEE, .Lfunc_end1-_ZN8migraphx4testlsIKNS_13basic_printerIZNS_4coutEvEUlT_E_EEEERS3_S7_RKNS0_14lhs_expressionIbNS0_3nopEEE
                                        ; -- End function
	.section	.AMDGPU.csdata,"",@progbits
; Function info:
; codeLenInByte = 12500
; NumSgprs: 34
; NumVgprs: 33
; ScratchSize: 0
; MemoryBound: 0
	.text
	.p2align	2                               ; -- Begin function _ZN8migraphx4test4failEv
	.type	_ZN8migraphx4test4failEv,@function
_ZN8migraphx4test4failEv:               ; @_ZN8migraphx4test4failEv
; %bb.0:
	s_wait_loadcnt_dscnt 0x0
	s_wait_expcnt 0x0
	s_wait_samplecnt 0x0
	s_wait_bvhcnt 0x0
	s_wait_kmcnt 0x0
	v_mov_b32_e32 v0, 0
	s_clause 0x1
	global_load_b32 v1, v0, s[8:9] offset:18
	global_load_u16 v0, v0, s[8:9] offset:22
	s_load_b96 s[4:6], s[8:9], 0x0
	s_wait_loadcnt 0x1
	v_lshrrev_b32_e32 v2, 16, v1
	v_cmp_ne_u16_e32 vcc_lo, 0, v1
	s_delay_alu instid0(VALU_DEP_2)
	v_cmp_ne_u16_e64 s0, 0, v2
	s_cmp_lg_u32 vcc_lo, 0
	s_wait_loadcnt 0x0
	v_cmp_ne_u16_e32 vcc_lo, 0, v0
	s_wait_kmcnt 0x0
	s_add_co_ci_u32 s1, s4, 0
	s_cmp_lg_u32 s0, 0
	s_add_co_ci_u32 s0, s5, 0
	s_cmp_lg_u32 vcc_lo, 0
	s_wait_alu 0xfffe
	s_mul_i32 s0, s0, s1
	s_add_co_ci_u32 s1, s6, 0
	s_wait_alu 0xfffe
	s_mul_i32 s0, s0, s1
	s_mov_b32 s1, 0
	s_wait_alu 0xfffe
	s_cmp_lg_u32 s0, 1
	s_cbranch_scc1 .LBB2_3
; %bb.1:
	s_lshr_b32 s0, ttmp7, 16
	s_wait_alu 0xfffe
	s_cmp_lt_u32 s0, s6
	s_cselect_b32 s0, 16, 22
	s_wait_alu 0xfffe
	s_and_b32 s2, ttmp7, 0xffff
	s_wait_alu 0xfffe
	s_cmp_lt_u32 s2, s5
	s_add_nc_u64 s[2:3], s[8:9], s[0:1]
	s_cselect_b32 s0, 14, 20
	s_wait_alu 0xfffe
	s_cmp_lt_u32 ttmp9, s4
	s_add_nc_u64 s[4:5], s[8:9], s[0:1]
	s_cselect_b32 s0, 12, 18
	s_wait_alu 0xfffe
	s_add_nc_u64 s[0:1], s[8:9], s[0:1]
	s_clause 0x2
	s_load_u16 s2, s[2:3], 0x0
	s_load_u16 s3, s[4:5], 0x0
	;; [unrolled: 1-line block ×3, first 2 shown]
	s_wait_kmcnt 0x0
	s_mul_i32 s1, s3, s2
	s_wait_alu 0xfffe
	s_mul_i32 s1, s1, s0
	s_wait_alu 0xfffe
	s_cmp_gt_u32 s1, 32
	s_cbranch_scc1 .LBB2_3
; %bb.2:
	s_endpgm
.LBB2_3:
	s_trap 2
.Lfunc_end2:
	.size	_ZN8migraphx4test4failEv, .Lfunc_end2-_ZN8migraphx4test4failEv
                                        ; -- End function
	.section	.AMDGPU.csdata,"",@progbits
; Function info:
; codeLenInByte = 284
; NumSgprs: 12
; NumVgprs: 3
; ScratchSize: 0
; MemoryBound: 0
	.text
	.p2align	2                               ; -- Begin function _ZN8migraphx4test12test_manager6failedINS0_14lhs_expressionIbNS0_3nopEEEPFvvEEEvRKT_PKcSC_SC_iT0_
	.type	_ZN8migraphx4test12test_manager6failedINS0_14lhs_expressionIbNS0_3nopEEEPFvvEEEvRKT_PKcSC_SC_iT0_,@function
_ZN8migraphx4test12test_manager6failedINS0_14lhs_expressionIbNS0_3nopEEEPFvvEEEvRKT_PKcSC_SC_iT0_: ; @_ZN8migraphx4test12test_manager6failedINS0_14lhs_expressionIbNS0_3nopEEEPFvvEEEvRKT_PKcSC_SC_iT0_
; %bb.0:
	s_wait_loadcnt_dscnt 0x0
	s_wait_expcnt 0x0
	s_wait_samplecnt 0x0
	s_wait_bvhcnt 0x0
	s_wait_kmcnt 0x0
	s_mov_b32 s0, s33
	s_mov_b32 s33, s32
	s_or_saveexec_b32 s1, -1
	scratch_store_b32 off, v40, s33         ; 4-byte Folded Spill
	s_wait_alu 0xfffe
	s_mov_b32 exec_lo, s1
	v_writelane_b32 v40, s0, 2
	v_writelane_b32 v40, s30, 0
	s_add_co_i32 s32, s32, 16
	v_writelane_b32 v40, s31, 1
	v_dual_mov_b32 v49, v3 :: v_dual_mov_b32 v48, v2
	v_dual_mov_b32 v38, v1 :: v_dual_mov_b32 v37, v0
	flat_load_u8 v0, v[48:49]
	s_wait_loadcnt_dscnt 0x0
	v_and_b32_e32 v0, 1, v0
	s_delay_alu instid0(VALU_DEP_1)
	v_cmp_eq_u32_e32 vcc_lo, 1, v0
	s_xor_b32 s0, vcc_lo, -1
	s_wait_alu 0xfffe
	s_and_saveexec_b32 s24, s0
	s_cbranch_execz .LBB3_1690
; %bb.1:
	v_and_b32_e32 v0, 0x3ff, v31
	s_mov_b32 s25, exec_lo
	s_delay_alu instid0(VALU_DEP_1)
	v_cmpx_eq_u32_e32 0, v0
	s_cbranch_execz .LBB3_1689
; %bb.2:
	s_load_b64 s[22:23], s[8:9], 0x50
	v_mbcnt_lo_u32_b32 v50, -1, 0
	v_mov_b32_e32 v11, 0
	v_mov_b32_e32 v12, 0
	s_delay_alu instid0(VALU_DEP_3) | instskip(SKIP_1) | instid1(VALU_DEP_1)
	v_readfirstlane_b32 s0, v50
	s_wait_alu 0xf1ff
	v_cmp_eq_u32_e64 s0, s0, v50
	s_delay_alu instid0(VALU_DEP_1)
	s_and_saveexec_b32 s1, s0
	s_cbranch_execz .LBB3_8
; %bb.3:
	v_mov_b32_e32 v0, 0
	s_mov_b32 s2, exec_lo
	s_wait_kmcnt 0x0
	global_load_b64 v[13:14], v0, s[22:23] offset:24 scope:SCOPE_SYS
	s_wait_loadcnt 0x0
	global_inv scope:SCOPE_SYS
	s_clause 0x1
	global_load_b64 v[1:2], v0, s[22:23] offset:40
	global_load_b64 v[9:10], v0, s[22:23]
	s_wait_loadcnt 0x1
	v_and_b32_e32 v1, v1, v13
	v_and_b32_e32 v2, v2, v14
	s_delay_alu instid0(VALU_DEP_2) | instskip(NEXT) | instid1(VALU_DEP_2)
	v_mul_lo_u32 v3, 0, v1
	v_mul_lo_u32 v2, 24, v2
	v_mul_hi_u32 v11, 24, v1
	v_mul_lo_u32 v1, 24, v1
	s_delay_alu instid0(VALU_DEP_3) | instskip(SKIP_1) | instid1(VALU_DEP_2)
	v_add_nc_u32_e32 v2, v2, v3
	s_wait_loadcnt 0x0
	v_add_co_u32 v1, vcc_lo, v9, v1
	s_delay_alu instid0(VALU_DEP_2) | instskip(SKIP_1) | instid1(VALU_DEP_1)
	v_add_nc_u32_e32 v2, v2, v11
	s_wait_alu 0xfffd
	v_add_co_ci_u32_e32 v2, vcc_lo, v10, v2, vcc_lo
	global_load_b64 v[11:12], v[1:2], off scope:SCOPE_SYS
	s_wait_loadcnt 0x0
	global_atomic_cmpswap_b64 v[11:12], v0, v[11:14], s[22:23] offset:24 th:TH_ATOMIC_RETURN scope:SCOPE_SYS
	s_wait_loadcnt 0x0
	global_inv scope:SCOPE_SYS
	v_cmpx_ne_u64_e64 v[11:12], v[13:14]
	s_cbranch_execz .LBB3_7
; %bb.4:
	s_mov_b32 s3, 0
.LBB3_5:                                ; =>This Inner Loop Header: Depth=1
	s_sleep 1
	s_clause 0x1
	global_load_b64 v[1:2], v0, s[22:23] offset:40
	global_load_b64 v[9:10], v0, s[22:23]
	v_dual_mov_b32 v14, v12 :: v_dual_mov_b32 v13, v11
	s_wait_loadcnt 0x1
	s_delay_alu instid0(VALU_DEP_1) | instskip(NEXT) | instid1(VALU_DEP_2)
	v_and_b32_e32 v1, v1, v13
	v_and_b32_e32 v2, v2, v14
	s_wait_loadcnt 0x0
	s_delay_alu instid0(VALU_DEP_2) | instskip(NEXT) | instid1(VALU_DEP_1)
	v_mad_co_u64_u32 v[9:10], null, v1, 24, v[9:10]
	v_mov_b32_e32 v1, v10
	s_delay_alu instid0(VALU_DEP_1) | instskip(NEXT) | instid1(VALU_DEP_1)
	v_mad_co_u64_u32 v[1:2], null, v2, 24, v[1:2]
	v_mov_b32_e32 v10, v1
	global_load_b64 v[11:12], v[9:10], off scope:SCOPE_SYS
	s_wait_loadcnt 0x0
	global_atomic_cmpswap_b64 v[11:12], v0, v[11:14], s[22:23] offset:24 th:TH_ATOMIC_RETURN scope:SCOPE_SYS
	s_wait_loadcnt 0x0
	global_inv scope:SCOPE_SYS
	v_cmp_eq_u64_e32 vcc_lo, v[11:12], v[13:14]
	s_wait_alu 0xfffe
	s_or_b32 s3, vcc_lo, s3
	s_wait_alu 0xfffe
	s_and_not1_b32 exec_lo, exec_lo, s3
	s_cbranch_execnz .LBB3_5
; %bb.6:
	s_or_b32 exec_lo, exec_lo, s3
.LBB3_7:
	s_wait_alu 0xfffe
	s_or_b32 exec_lo, exec_lo, s2
.LBB3_8:
	s_wait_alu 0xfffe
	s_or_b32 exec_lo, exec_lo, s1
	v_readfirstlane_b32 s2, v11
	v_mov_b32_e32 v10, 0
	v_readfirstlane_b32 s1, v12
	s_mov_b32 s3, exec_lo
	s_wait_kmcnt 0x0
	s_clause 0x1
	global_load_b64 v[13:14], v10, s[22:23] offset:40
	global_load_b128 v[0:3], v10, s[22:23]
	s_wait_loadcnt 0x1
	s_wait_alu 0xf1ff
	v_and_b32_e32 v15, s2, v13
	v_and_b32_e32 v16, s1, v14
	s_delay_alu instid0(VALU_DEP_2) | instskip(NEXT) | instid1(VALU_DEP_2)
	v_mul_lo_u32 v11, 0, v15
	v_mul_lo_u32 v9, 24, v16
	v_mul_hi_u32 v12, 24, v15
	v_mul_lo_u32 v13, 24, v15
	s_delay_alu instid0(VALU_DEP_3) | instskip(SKIP_1) | instid1(VALU_DEP_2)
	v_add_nc_u32_e32 v9, v9, v11
	s_wait_loadcnt 0x0
	v_add_co_u32 v13, vcc_lo, v0, v13
	s_delay_alu instid0(VALU_DEP_2) | instskip(SKIP_1) | instid1(VALU_DEP_1)
	v_add_nc_u32_e32 v9, v9, v12
	s_wait_alu 0xfffd
	v_add_co_ci_u32_e32 v14, vcc_lo, v1, v9, vcc_lo
	s_and_saveexec_b32 s4, s0
	s_cbranch_execz .LBB3_10
; %bb.9:
	s_wait_alu 0xfffe
	v_dual_mov_b32 v9, s3 :: v_dual_mov_b32 v12, 1
	v_mov_b32_e32 v11, 2
	global_store_b128 v[13:14], v[9:12], off offset:8
.LBB3_10:
	s_wait_alu 0xfffe
	s_or_b32 exec_lo, exec_lo, s4
	v_lshlrev_b64_e32 v[15:16], 12, v[15:16]
	v_dual_mov_b32 v12, v10 :: v_dual_lshlrev_b32 v39, 6, v50
	s_mov_b32 s4, 0
	s_wait_alu 0xfffe
	s_mov_b32 s7, s4
	s_delay_alu instid0(VALU_DEP_2) | instskip(SKIP_3) | instid1(VALU_DEP_2)
	v_add_co_u32 v2, vcc_lo, v2, v15
	s_wait_alu 0xfffd
	v_add_co_ci_u32_e32 v3, vcc_lo, v3, v16, vcc_lo
	s_mov_b32 s5, s4
	v_add_co_u32 v15, vcc_lo, v2, v39
	s_mov_b32 s6, s4
	s_wait_alu 0xfffe
	v_dual_mov_b32 v9, 33 :: v_dual_mov_b32 v20, s7
	v_dual_mov_b32 v11, v10 :: v_dual_mov_b32 v18, s5
	v_readfirstlane_b32 s10, v2
	v_readfirstlane_b32 s11, v3
	s_wait_alu 0xfffd
	v_add_co_ci_u32_e32 v16, vcc_lo, 0, v3, vcc_lo
	v_mov_b32_e32 v19, s6
	v_mov_b32_e32 v17, s4
	s_clause 0x3
	global_store_b128 v39, v[9:12], s[10:11]
	global_store_b128 v39, v[17:20], s[10:11] offset:16
	global_store_b128 v39, v[17:20], s[10:11] offset:32
	;; [unrolled: 1-line block ×3, first 2 shown]
	s_and_saveexec_b32 s3, s0
	s_cbranch_execz .LBB3_18
; %bb.11:
	v_mov_b32_e32 v11, 0
	v_mov_b32_e32 v17, s2
	s_mov_b32 s4, exec_lo
	s_clause 0x1
	global_load_b64 v[19:20], v11, s[22:23] offset:32 scope:SCOPE_SYS
	global_load_b64 v[2:3], v11, s[22:23] offset:40
	v_mov_b32_e32 v18, s1
	s_wait_loadcnt 0x0
	v_and_b32_e32 v2, s2, v2
	v_and_b32_e32 v3, s1, v3
	s_delay_alu instid0(VALU_DEP_2) | instskip(NEXT) | instid1(VALU_DEP_2)
	v_mul_lo_u32 v9, 0, v2
	v_mul_lo_u32 v3, 24, v3
	v_mul_hi_u32 v10, 24, v2
	v_mul_lo_u32 v2, 24, v2
	s_delay_alu instid0(VALU_DEP_3) | instskip(NEXT) | instid1(VALU_DEP_2)
	v_add_nc_u32_e32 v3, v3, v9
	v_add_co_u32 v9, vcc_lo, v0, v2
	s_delay_alu instid0(VALU_DEP_2) | instskip(SKIP_1) | instid1(VALU_DEP_1)
	v_add_nc_u32_e32 v3, v3, v10
	s_wait_alu 0xfffd
	v_add_co_ci_u32_e32 v10, vcc_lo, v1, v3, vcc_lo
	global_store_b64 v[9:10], v[19:20], off
	global_wb scope:SCOPE_SYS
	s_wait_storecnt 0x0
	global_atomic_cmpswap_b64 v[2:3], v11, v[17:20], s[22:23] offset:32 th:TH_ATOMIC_RETURN scope:SCOPE_SYS
	s_wait_loadcnt 0x0
	v_cmpx_ne_u64_e64 v[2:3], v[19:20]
	s_cbranch_execz .LBB3_14
; %bb.12:
	s_mov_b32 s5, 0
.LBB3_13:                               ; =>This Inner Loop Header: Depth=1
	v_dual_mov_b32 v0, s2 :: v_dual_mov_b32 v1, s1
	s_sleep 1
	global_store_b64 v[9:10], v[2:3], off
	global_wb scope:SCOPE_SYS
	s_wait_storecnt 0x0
	global_atomic_cmpswap_b64 v[0:1], v11, v[0:3], s[22:23] offset:32 th:TH_ATOMIC_RETURN scope:SCOPE_SYS
	s_wait_loadcnt 0x0
	v_cmp_eq_u64_e32 vcc_lo, v[0:1], v[2:3]
	v_dual_mov_b32 v3, v1 :: v_dual_mov_b32 v2, v0
	s_wait_alu 0xfffe
	s_or_b32 s5, vcc_lo, s5
	s_wait_alu 0xfffe
	s_and_not1_b32 exec_lo, exec_lo, s5
	s_cbranch_execnz .LBB3_13
.LBB3_14:
	s_wait_alu 0xfffe
	s_or_b32 exec_lo, exec_lo, s4
	v_mov_b32_e32 v3, 0
	s_mov_b32 s5, exec_lo
	s_mov_b32 s4, exec_lo
	s_wait_alu 0xfffe
	v_mbcnt_lo_u32_b32 v2, s5, 0
	global_load_b64 v[0:1], v3, s[22:23] offset:16
	v_cmpx_eq_u32_e32 0, v2
	s_cbranch_execz .LBB3_16
; %bb.15:
	s_bcnt1_i32_b32 s5, s5
	s_wait_alu 0xfffe
	v_mov_b32_e32 v2, s5
	global_wb scope:SCOPE_SYS
	s_wait_loadcnt 0x0
	global_atomic_add_u64 v[0:1], v[2:3], off offset:8 scope:SCOPE_SYS
.LBB3_16:
	s_or_b32 exec_lo, exec_lo, s4
	s_wait_loadcnt 0x0
	global_load_b64 v[2:3], v[0:1], off offset:16
	s_wait_loadcnt 0x0
	v_cmp_eq_u64_e32 vcc_lo, 0, v[2:3]
	s_cbranch_vccnz .LBB3_18
; %bb.17:
	global_load_b32 v0, v[0:1], off offset:24
	v_mov_b32_e32 v1, 0
	s_wait_loadcnt 0x0
	v_and_b32_e32 v9, 0xffffff, v0
	global_wb scope:SCOPE_SYS
	s_wait_storecnt 0x0
	global_store_b64 v[2:3], v[0:1], off scope:SCOPE_SYS
	v_readfirstlane_b32 m0, v9
	s_sendmsg sendmsg(MSG_INTERRUPT)
.LBB3_18:
	s_wait_alu 0xfffe
	s_or_b32 exec_lo, exec_lo, s3
	s_branch .LBB3_22
.LBB3_19:                               ;   in Loop: Header=BB3_22 Depth=1
	s_wait_alu 0xfffe
	s_or_b32 exec_lo, exec_lo, s3
	s_delay_alu instid0(VALU_DEP_1) | instskip(NEXT) | instid1(VALU_DEP_1)
	v_readfirstlane_b32 s3, v0
	s_cmp_eq_u32 s3, 0
	s_cbranch_scc1 .LBB3_21
; %bb.20:                               ;   in Loop: Header=BB3_22 Depth=1
	s_sleep 1
	s_cbranch_execnz .LBB3_22
	s_branch .LBB3_24
.LBB3_21:
	s_branch .LBB3_24
.LBB3_22:                               ; =>This Inner Loop Header: Depth=1
	v_mov_b32_e32 v0, 1
	s_and_saveexec_b32 s3, s0
	s_cbranch_execz .LBB3_19
; %bb.23:                               ;   in Loop: Header=BB3_22 Depth=1
	global_load_b32 v0, v[13:14], off offset:20 scope:SCOPE_SYS
	s_wait_loadcnt 0x0
	global_inv scope:SCOPE_SYS
	v_and_b32_e32 v0, 1, v0
	s_branch .LBB3_19
.LBB3_24:
	global_load_b64 v[9:10], v[15:16], off
	s_and_saveexec_b32 s3, s0
	s_cbranch_execz .LBB3_28
; %bb.25:
	v_mov_b32_e32 v13, 0
	s_clause 0x2
	global_load_b64 v[2:3], v13, s[22:23] offset:40
	global_load_b64 v[14:15], v13, s[22:23] offset:24 scope:SCOPE_SYS
	global_load_b64 v[11:12], v13, s[22:23]
	s_wait_loadcnt 0x2
	v_add_co_u32 v16, vcc_lo, v2, 1
	s_wait_alu 0xfffd
	v_add_co_ci_u32_e32 v17, vcc_lo, 0, v3, vcc_lo
	s_delay_alu instid0(VALU_DEP_2) | instskip(SKIP_1) | instid1(VALU_DEP_2)
	v_add_co_u32 v0, vcc_lo, v16, s2
	s_wait_alu 0xfffd
	v_add_co_ci_u32_e32 v1, vcc_lo, s1, v17, vcc_lo
	s_delay_alu instid0(VALU_DEP_1) | instskip(SKIP_2) | instid1(VALU_DEP_1)
	v_cmp_eq_u64_e32 vcc_lo, 0, v[0:1]
	s_wait_alu 0xfffd
	v_dual_cndmask_b32 v0, v0, v16 :: v_dual_cndmask_b32 v1, v1, v17
	v_and_b32_e32 v2, v0, v2
	s_delay_alu instid0(VALU_DEP_2) | instskip(NEXT) | instid1(VALU_DEP_2)
	v_and_b32_e32 v3, v1, v3
	v_mul_lo_u32 v16, 0, v2
	v_mul_hi_u32 v17, 24, v2
	v_mul_lo_u32 v2, 24, v2
	s_wait_loadcnt 0x0
	s_delay_alu instid0(VALU_DEP_1) | instskip(SKIP_2) | instid1(VALU_DEP_1)
	v_add_co_u32 v11, vcc_lo, v11, v2
	v_mov_b32_e32 v2, v14
	v_mul_lo_u32 v3, 24, v3
	v_add_nc_u32_e32 v3, v3, v16
	s_delay_alu instid0(VALU_DEP_1) | instskip(SKIP_1) | instid1(VALU_DEP_1)
	v_add_nc_u32_e32 v3, v3, v17
	s_wait_alu 0xfffd
	v_add_co_ci_u32_e32 v12, vcc_lo, v12, v3, vcc_lo
	v_mov_b32_e32 v3, v15
	global_store_b64 v[11:12], v[14:15], off
	global_wb scope:SCOPE_SYS
	s_wait_storecnt 0x0
	global_atomic_cmpswap_b64 v[2:3], v13, v[0:3], s[22:23] offset:24 th:TH_ATOMIC_RETURN scope:SCOPE_SYS
	s_wait_loadcnt 0x0
	v_cmp_ne_u64_e32 vcc_lo, v[2:3], v[14:15]
	s_and_b32 exec_lo, exec_lo, vcc_lo
	s_cbranch_execz .LBB3_28
; %bb.26:
	s_mov_b32 s0, 0
.LBB3_27:                               ; =>This Inner Loop Header: Depth=1
	s_sleep 1
	global_store_b64 v[11:12], v[2:3], off
	global_wb scope:SCOPE_SYS
	s_wait_storecnt 0x0
	global_atomic_cmpswap_b64 v[14:15], v13, v[0:3], s[22:23] offset:24 th:TH_ATOMIC_RETURN scope:SCOPE_SYS
	s_wait_loadcnt 0x0
	v_cmp_eq_u64_e32 vcc_lo, v[14:15], v[2:3]
	v_dual_mov_b32 v2, v14 :: v_dual_mov_b32 v3, v15
	s_wait_alu 0xfffe
	s_or_b32 s0, vcc_lo, s0
	s_wait_alu 0xfffe
	s_and_not1_b32 exec_lo, exec_lo, s0
	s_cbranch_execnz .LBB3_27
.LBB3_28:
	s_wait_alu 0xfffe
	s_or_b32 exec_lo, exec_lo, s3
	s_getpc_b64 s[2:3]
	s_wait_alu 0xfffe
	s_sext_i32_i16 s3, s3
	s_add_co_u32 s2, s2, .str.7@rel32@lo+12
	s_wait_alu 0xfffe
	s_add_co_ci_u32 s3, s3, .str.7@rel32@hi+24
	s_wait_alu 0xfffe
	s_cmp_lg_u64 s[2:3], 0
	s_cselect_b32 s15, -1, 0
	s_wait_alu 0xfffe
	s_and_b32 vcc_lo, exec_lo, s15
	s_wait_alu 0xfffe
	s_cbranch_vccz .LBB3_107
; %bb.29:
	s_wait_loadcnt 0x0
	v_dual_mov_b32 v12, 0 :: v_dual_and_b32 v35, 2, v9
	v_dual_mov_b32 v1, v10 :: v_dual_and_b32 v0, -3, v9
	v_dual_mov_b32 v13, 2 :: v_dual_mov_b32 v14, 1
	s_mov_b64 s[4:5], 3
	s_branch .LBB3_31
.LBB3_30:                               ;   in Loop: Header=BB3_31 Depth=1
	s_wait_alu 0xfffe
	s_or_b32 exec_lo, exec_lo, s11
	s_sub_nc_u64 s[4:5], s[4:5], s[6:7]
	s_add_nc_u64 s[2:3], s[2:3], s[6:7]
	s_wait_alu 0xfffe
	s_cmp_lg_u64 s[4:5], 0
	s_cbranch_scc0 .LBB3_106
.LBB3_31:                               ; =>This Loop Header: Depth=1
                                        ;     Child Loop BB3_40 Depth 2
                                        ;     Child Loop BB3_36 Depth 2
	;; [unrolled: 1-line block ×11, first 2 shown]
	s_wait_alu 0xfffe
	v_cmp_lt_u64_e64 s0, s[4:5], 56
	v_cmp_gt_u64_e64 s1, s[4:5], 7
                                        ; implicit-def: $vgpr2_vgpr3
                                        ; implicit-def: $sgpr18
	s_delay_alu instid0(VALU_DEP_2) | instskip(SKIP_2) | instid1(VALU_DEP_1)
	s_and_b32 s0, s0, exec_lo
	s_cselect_b32 s7, s5, 0
	s_cselect_b32 s6, s4, 56
	s_and_b32 vcc_lo, exec_lo, s1
	s_mov_b32 s0, -1
	s_wait_alu 0xfffe
	s_cbranch_vccz .LBB3_38
; %bb.32:                               ;   in Loop: Header=BB3_31 Depth=1
	s_and_not1_b32 vcc_lo, exec_lo, s0
	s_mov_b64 s[0:1], s[2:3]
	s_wait_alu 0xfffe
	s_cbranch_vccz .LBB3_42
.LBB3_33:                               ;   in Loop: Header=BB3_31 Depth=1
	s_wait_alu 0xfffe
	s_cmp_gt_u32 s18, 7
	s_cbranch_scc1 .LBB3_43
.LBB3_34:                               ;   in Loop: Header=BB3_31 Depth=1
	v_mov_b32_e32 v15, 0
	v_mov_b32_e32 v16, 0
	s_cmp_eq_u32 s18, 0
	s_cbranch_scc1 .LBB3_37
; %bb.35:                               ;   in Loop: Header=BB3_31 Depth=1
	s_mov_b64 s[10:11], 0
	s_mov_b64 s[16:17], 0
.LBB3_36:                               ;   Parent Loop BB3_31 Depth=1
                                        ; =>  This Inner Loop Header: Depth=2
	s_wait_alu 0xfffe
	s_add_nc_u64 s[20:21], s[0:1], s[16:17]
	s_add_nc_u64 s[16:17], s[16:17], 1
	global_load_u8 v11, v12, s[20:21]
	s_wait_alu 0xfffe
	s_cmp_lg_u32 s18, s16
	s_wait_loadcnt 0x0
	v_and_b32_e32 v11, 0xffff, v11
	s_delay_alu instid0(VALU_DEP_1) | instskip(SKIP_1) | instid1(VALU_DEP_1)
	v_lshlrev_b64_e32 v[17:18], s10, v[11:12]
	s_add_nc_u64 s[10:11], s[10:11], 8
	v_or_b32_e32 v15, v17, v15
	s_delay_alu instid0(VALU_DEP_2)
	v_or_b32_e32 v16, v18, v16
	s_cbranch_scc1 .LBB3_36
.LBB3_37:                               ;   in Loop: Header=BB3_31 Depth=1
	s_mov_b32 s19, 0
	s_cbranch_execz .LBB3_44
	s_branch .LBB3_45
.LBB3_38:                               ;   in Loop: Header=BB3_31 Depth=1
	s_wait_loadcnt 0x0
	v_mov_b32_e32 v2, 0
	v_mov_b32_e32 v3, 0
	s_cmp_eq_u64 s[4:5], 0
	s_mov_b64 s[0:1], 0
	s_cbranch_scc1 .LBB3_41
; %bb.39:                               ;   in Loop: Header=BB3_31 Depth=1
	v_mov_b32_e32 v2, 0
	v_mov_b32_e32 v3, 0
	s_mov_b64 s[10:11], 0
.LBB3_40:                               ;   Parent Loop BB3_31 Depth=1
                                        ; =>  This Inner Loop Header: Depth=2
	s_wait_alu 0xfffe
	s_add_nc_u64 s[16:17], s[2:3], s[10:11]
	s_add_nc_u64 s[10:11], s[10:11], 1
	global_load_u8 v11, v12, s[16:17]
	s_wait_alu 0xfffe
	s_cmp_lg_u32 s6, s10
	s_wait_loadcnt 0x0
	v_and_b32_e32 v11, 0xffff, v11
	s_delay_alu instid0(VALU_DEP_1) | instskip(SKIP_1) | instid1(VALU_DEP_1)
	v_lshlrev_b64_e32 v[15:16], s0, v[11:12]
	s_add_nc_u64 s[0:1], s[0:1], 8
	v_or_b32_e32 v2, v15, v2
	s_delay_alu instid0(VALU_DEP_2)
	v_or_b32_e32 v3, v16, v3
	s_cbranch_scc1 .LBB3_40
.LBB3_41:                               ;   in Loop: Header=BB3_31 Depth=1
	s_mov_b32 s18, 0
	s_mov_b64 s[0:1], s[2:3]
	s_cbranch_execnz .LBB3_33
.LBB3_42:                               ;   in Loop: Header=BB3_31 Depth=1
	global_load_b64 v[2:3], v12, s[2:3]
	s_add_co_i32 s18, s6, -8
	s_add_nc_u64 s[0:1], s[2:3], 8
	s_wait_alu 0xfffe
	s_cmp_gt_u32 s18, 7
	s_cbranch_scc0 .LBB3_34
.LBB3_43:                               ;   in Loop: Header=BB3_31 Depth=1
                                        ; implicit-def: $vgpr15_vgpr16
                                        ; implicit-def: $sgpr19
.LBB3_44:                               ;   in Loop: Header=BB3_31 Depth=1
	global_load_b64 v[15:16], v12, s[0:1]
	s_add_co_i32 s19, s18, -8
	s_add_nc_u64 s[0:1], s[0:1], 8
.LBB3_45:                               ;   in Loop: Header=BB3_31 Depth=1
	s_wait_alu 0xfffe
	s_cmp_gt_u32 s19, 7
	s_cbranch_scc1 .LBB3_50
; %bb.46:                               ;   in Loop: Header=BB3_31 Depth=1
	v_mov_b32_e32 v17, 0
	v_mov_b32_e32 v18, 0
	s_cmp_eq_u32 s19, 0
	s_cbranch_scc1 .LBB3_49
; %bb.47:                               ;   in Loop: Header=BB3_31 Depth=1
	s_mov_b64 s[10:11], 0
	s_mov_b64 s[16:17], 0
.LBB3_48:                               ;   Parent Loop BB3_31 Depth=1
                                        ; =>  This Inner Loop Header: Depth=2
	s_wait_alu 0xfffe
	s_add_nc_u64 s[20:21], s[0:1], s[16:17]
	s_add_nc_u64 s[16:17], s[16:17], 1
	global_load_u8 v11, v12, s[20:21]
	s_wait_alu 0xfffe
	s_cmp_lg_u32 s19, s16
	s_wait_loadcnt 0x0
	v_and_b32_e32 v11, 0xffff, v11
	s_delay_alu instid0(VALU_DEP_1) | instskip(SKIP_1) | instid1(VALU_DEP_1)
	v_lshlrev_b64_e32 v[19:20], s10, v[11:12]
	s_add_nc_u64 s[10:11], s[10:11], 8
	v_or_b32_e32 v17, v19, v17
	s_delay_alu instid0(VALU_DEP_2)
	v_or_b32_e32 v18, v20, v18
	s_cbranch_scc1 .LBB3_48
.LBB3_49:                               ;   in Loop: Header=BB3_31 Depth=1
	s_mov_b32 s18, 0
	s_cbranch_execz .LBB3_51
	s_branch .LBB3_52
.LBB3_50:                               ;   in Loop: Header=BB3_31 Depth=1
                                        ; implicit-def: $sgpr18
.LBB3_51:                               ;   in Loop: Header=BB3_31 Depth=1
	global_load_b64 v[17:18], v12, s[0:1]
	s_add_co_i32 s18, s19, -8
	s_add_nc_u64 s[0:1], s[0:1], 8
.LBB3_52:                               ;   in Loop: Header=BB3_31 Depth=1
	s_wait_alu 0xfffe
	s_cmp_gt_u32 s18, 7
	s_cbranch_scc1 .LBB3_57
; %bb.53:                               ;   in Loop: Header=BB3_31 Depth=1
	v_mov_b32_e32 v19, 0
	v_mov_b32_e32 v20, 0
	s_cmp_eq_u32 s18, 0
	s_cbranch_scc1 .LBB3_56
; %bb.54:                               ;   in Loop: Header=BB3_31 Depth=1
	s_mov_b64 s[10:11], 0
	s_mov_b64 s[16:17], 0
.LBB3_55:                               ;   Parent Loop BB3_31 Depth=1
                                        ; =>  This Inner Loop Header: Depth=2
	s_wait_alu 0xfffe
	s_add_nc_u64 s[20:21], s[0:1], s[16:17]
	s_add_nc_u64 s[16:17], s[16:17], 1
	global_load_u8 v11, v12, s[20:21]
	s_wait_alu 0xfffe
	s_cmp_lg_u32 s18, s16
	s_wait_loadcnt 0x0
	v_and_b32_e32 v11, 0xffff, v11
	s_delay_alu instid0(VALU_DEP_1) | instskip(SKIP_1) | instid1(VALU_DEP_1)
	v_lshlrev_b64_e32 v[21:22], s10, v[11:12]
	s_add_nc_u64 s[10:11], s[10:11], 8
	v_or_b32_e32 v19, v21, v19
	s_delay_alu instid0(VALU_DEP_2)
	v_or_b32_e32 v20, v22, v20
	s_cbranch_scc1 .LBB3_55
.LBB3_56:                               ;   in Loop: Header=BB3_31 Depth=1
	s_mov_b32 s19, 0
	s_cbranch_execz .LBB3_58
	s_branch .LBB3_59
.LBB3_57:                               ;   in Loop: Header=BB3_31 Depth=1
                                        ; implicit-def: $vgpr19_vgpr20
                                        ; implicit-def: $sgpr19
.LBB3_58:                               ;   in Loop: Header=BB3_31 Depth=1
	global_load_b64 v[19:20], v12, s[0:1]
	s_add_co_i32 s19, s18, -8
	s_add_nc_u64 s[0:1], s[0:1], 8
.LBB3_59:                               ;   in Loop: Header=BB3_31 Depth=1
	s_wait_alu 0xfffe
	s_cmp_gt_u32 s19, 7
	s_cbranch_scc1 .LBB3_64
; %bb.60:                               ;   in Loop: Header=BB3_31 Depth=1
	v_mov_b32_e32 v21, 0
	v_mov_b32_e32 v22, 0
	s_cmp_eq_u32 s19, 0
	s_cbranch_scc1 .LBB3_63
; %bb.61:                               ;   in Loop: Header=BB3_31 Depth=1
	s_mov_b64 s[10:11], 0
	s_mov_b64 s[16:17], 0
.LBB3_62:                               ;   Parent Loop BB3_31 Depth=1
                                        ; =>  This Inner Loop Header: Depth=2
	s_wait_alu 0xfffe
	s_add_nc_u64 s[20:21], s[0:1], s[16:17]
	s_add_nc_u64 s[16:17], s[16:17], 1
	global_load_u8 v11, v12, s[20:21]
	s_wait_alu 0xfffe
	s_cmp_lg_u32 s19, s16
	s_wait_loadcnt 0x0
	v_and_b32_e32 v11, 0xffff, v11
	s_delay_alu instid0(VALU_DEP_1) | instskip(SKIP_1) | instid1(VALU_DEP_1)
	v_lshlrev_b64_e32 v[23:24], s10, v[11:12]
	s_add_nc_u64 s[10:11], s[10:11], 8
	v_or_b32_e32 v21, v23, v21
	s_delay_alu instid0(VALU_DEP_2)
	v_or_b32_e32 v22, v24, v22
	s_cbranch_scc1 .LBB3_62
.LBB3_63:                               ;   in Loop: Header=BB3_31 Depth=1
	s_mov_b32 s18, 0
	s_cbranch_execz .LBB3_65
	s_branch .LBB3_66
.LBB3_64:                               ;   in Loop: Header=BB3_31 Depth=1
                                        ; implicit-def: $sgpr18
.LBB3_65:                               ;   in Loop: Header=BB3_31 Depth=1
	global_load_b64 v[21:22], v12, s[0:1]
	s_add_co_i32 s18, s19, -8
	s_add_nc_u64 s[0:1], s[0:1], 8
.LBB3_66:                               ;   in Loop: Header=BB3_31 Depth=1
	s_wait_alu 0xfffe
	s_cmp_gt_u32 s18, 7
	s_cbranch_scc1 .LBB3_71
; %bb.67:                               ;   in Loop: Header=BB3_31 Depth=1
	v_mov_b32_e32 v23, 0
	v_mov_b32_e32 v24, 0
	s_cmp_eq_u32 s18, 0
	s_cbranch_scc1 .LBB3_70
; %bb.68:                               ;   in Loop: Header=BB3_31 Depth=1
	s_mov_b64 s[10:11], 0
	s_mov_b64 s[16:17], 0
.LBB3_69:                               ;   Parent Loop BB3_31 Depth=1
                                        ; =>  This Inner Loop Header: Depth=2
	s_wait_alu 0xfffe
	s_add_nc_u64 s[20:21], s[0:1], s[16:17]
	s_add_nc_u64 s[16:17], s[16:17], 1
	global_load_u8 v11, v12, s[20:21]
	s_wait_alu 0xfffe
	s_cmp_lg_u32 s18, s16
	s_wait_loadcnt 0x0
	v_and_b32_e32 v11, 0xffff, v11
	s_delay_alu instid0(VALU_DEP_1) | instskip(SKIP_1) | instid1(VALU_DEP_1)
	v_lshlrev_b64_e32 v[25:26], s10, v[11:12]
	s_add_nc_u64 s[10:11], s[10:11], 8
	v_or_b32_e32 v23, v25, v23
	s_delay_alu instid0(VALU_DEP_2)
	v_or_b32_e32 v24, v26, v24
	s_cbranch_scc1 .LBB3_69
.LBB3_70:                               ;   in Loop: Header=BB3_31 Depth=1
	s_mov_b32 s19, 0
	s_cbranch_execz .LBB3_72
	s_branch .LBB3_73
.LBB3_71:                               ;   in Loop: Header=BB3_31 Depth=1
                                        ; implicit-def: $vgpr23_vgpr24
                                        ; implicit-def: $sgpr19
.LBB3_72:                               ;   in Loop: Header=BB3_31 Depth=1
	global_load_b64 v[23:24], v12, s[0:1]
	s_add_co_i32 s19, s18, -8
	s_add_nc_u64 s[0:1], s[0:1], 8
.LBB3_73:                               ;   in Loop: Header=BB3_31 Depth=1
	s_wait_alu 0xfffe
	s_cmp_gt_u32 s19, 7
	s_cbranch_scc1 .LBB3_78
; %bb.74:                               ;   in Loop: Header=BB3_31 Depth=1
	v_mov_b32_e32 v25, 0
	v_mov_b32_e32 v26, 0
	s_cmp_eq_u32 s19, 0
	s_cbranch_scc1 .LBB3_77
; %bb.75:                               ;   in Loop: Header=BB3_31 Depth=1
	s_mov_b64 s[10:11], 0
	s_mov_b64 s[16:17], s[0:1]
.LBB3_76:                               ;   Parent Loop BB3_31 Depth=1
                                        ; =>  This Inner Loop Header: Depth=2
	global_load_u8 v11, v12, s[16:17]
	s_add_co_i32 s19, s19, -1
	s_wait_alu 0xfffe
	s_add_nc_u64 s[16:17], s[16:17], 1
	s_cmp_lg_u32 s19, 0
	s_wait_loadcnt 0x0
	v_and_b32_e32 v11, 0xffff, v11
	s_delay_alu instid0(VALU_DEP_1) | instskip(SKIP_1) | instid1(VALU_DEP_1)
	v_lshlrev_b64_e32 v[27:28], s10, v[11:12]
	s_add_nc_u64 s[10:11], s[10:11], 8
	v_or_b32_e32 v25, v27, v25
	s_delay_alu instid0(VALU_DEP_2)
	v_or_b32_e32 v26, v28, v26
	s_cbranch_scc1 .LBB3_76
.LBB3_77:                               ;   in Loop: Header=BB3_31 Depth=1
	s_cbranch_execz .LBB3_79
	s_branch .LBB3_80
.LBB3_78:                               ;   in Loop: Header=BB3_31 Depth=1
.LBB3_79:                               ;   in Loop: Header=BB3_31 Depth=1
	global_load_b64 v[25:26], v12, s[0:1]
.LBB3_80:                               ;   in Loop: Header=BB3_31 Depth=1
	v_readfirstlane_b32 s0, v50
	v_mov_b32_e32 v31, 0
	v_mov_b32_e32 v32, 0
	s_wait_alu 0xf1ff
	s_delay_alu instid0(VALU_DEP_3) | instskip(NEXT) | instid1(VALU_DEP_1)
	v_cmp_eq_u32_e64 s0, s0, v50
	s_and_saveexec_b32 s1, s0
	s_cbranch_execz .LBB3_86
; %bb.81:                               ;   in Loop: Header=BB3_31 Depth=1
	global_load_b64 v[29:30], v12, s[22:23] offset:24 scope:SCOPE_SYS
	s_wait_loadcnt 0x0
	global_inv scope:SCOPE_SYS
	s_clause 0x1
	global_load_b64 v[27:28], v12, s[22:23] offset:40
	global_load_b64 v[31:32], v12, s[22:23]
	s_mov_b32 s10, exec_lo
	s_wait_loadcnt 0x1
	v_and_b32_e32 v11, v28, v30
	v_and_b32_e32 v27, v27, v29
	s_delay_alu instid0(VALU_DEP_2) | instskip(NEXT) | instid1(VALU_DEP_2)
	v_mul_lo_u32 v11, 24, v11
	v_mul_lo_u32 v28, 0, v27
	v_mul_hi_u32 v33, 24, v27
	v_mul_lo_u32 v27, 24, v27
	s_delay_alu instid0(VALU_DEP_3) | instskip(SKIP_1) | instid1(VALU_DEP_2)
	v_add_nc_u32_e32 v11, v11, v28
	s_wait_loadcnt 0x0
	v_add_co_u32 v27, vcc_lo, v31, v27
	s_delay_alu instid0(VALU_DEP_2) | instskip(SKIP_1) | instid1(VALU_DEP_1)
	v_add_nc_u32_e32 v11, v11, v33
	s_wait_alu 0xfffd
	v_add_co_ci_u32_e32 v28, vcc_lo, v32, v11, vcc_lo
	global_load_b64 v[27:28], v[27:28], off scope:SCOPE_SYS
	s_wait_loadcnt 0x0
	global_atomic_cmpswap_b64 v[31:32], v12, v[27:30], s[22:23] offset:24 th:TH_ATOMIC_RETURN scope:SCOPE_SYS
	s_wait_loadcnt 0x0
	global_inv scope:SCOPE_SYS
	v_cmpx_ne_u64_e64 v[31:32], v[29:30]
	s_cbranch_execz .LBB3_85
; %bb.82:                               ;   in Loop: Header=BB3_31 Depth=1
	s_mov_b32 s11, 0
.LBB3_83:                               ;   Parent Loop BB3_31 Depth=1
                                        ; =>  This Inner Loop Header: Depth=2
	s_sleep 1
	s_clause 0x1
	global_load_b64 v[27:28], v12, s[22:23] offset:40
	global_load_b64 v[33:34], v12, s[22:23]
	v_dual_mov_b32 v29, v31 :: v_dual_mov_b32 v30, v32
	s_wait_loadcnt 0x1
	s_delay_alu instid0(VALU_DEP_1) | instskip(NEXT) | instid1(VALU_DEP_2)
	v_and_b32_e32 v11, v27, v29
	v_and_b32_e32 v27, v28, v30
	s_wait_loadcnt 0x0
	s_delay_alu instid0(VALU_DEP_2) | instskip(NEXT) | instid1(VALU_DEP_1)
	v_mad_co_u64_u32 v[31:32], null, v11, 24, v[33:34]
	v_mov_b32_e32 v11, v32
	s_delay_alu instid0(VALU_DEP_1) | instskip(NEXT) | instid1(VALU_DEP_1)
	v_mad_co_u64_u32 v[27:28], null, v27, 24, v[11:12]
	v_mov_b32_e32 v32, v27
	global_load_b64 v[27:28], v[31:32], off scope:SCOPE_SYS
	s_wait_loadcnt 0x0
	global_atomic_cmpswap_b64 v[31:32], v12, v[27:30], s[22:23] offset:24 th:TH_ATOMIC_RETURN scope:SCOPE_SYS
	s_wait_loadcnt 0x0
	global_inv scope:SCOPE_SYS
	v_cmp_eq_u64_e32 vcc_lo, v[31:32], v[29:30]
	s_wait_alu 0xfffe
	s_or_b32 s11, vcc_lo, s11
	s_wait_alu 0xfffe
	s_and_not1_b32 exec_lo, exec_lo, s11
	s_cbranch_execnz .LBB3_83
; %bb.84:                               ;   in Loop: Header=BB3_31 Depth=1
	s_or_b32 exec_lo, exec_lo, s11
.LBB3_85:                               ;   in Loop: Header=BB3_31 Depth=1
	s_wait_alu 0xfffe
	s_or_b32 exec_lo, exec_lo, s10
.LBB3_86:                               ;   in Loop: Header=BB3_31 Depth=1
	s_wait_alu 0xfffe
	s_or_b32 exec_lo, exec_lo, s1
	s_clause 0x1
	global_load_b64 v[33:34], v12, s[22:23] offset:40
	global_load_b128 v[27:30], v12, s[22:23]
	v_readfirstlane_b32 s1, v32
	v_readfirstlane_b32 s10, v31
	s_mov_b32 s11, exec_lo
	s_wait_loadcnt 0x1
	s_wait_alu 0xf1ff
	v_and_b32_e32 v34, s1, v34
	v_and_b32_e32 v33, s10, v33
	s_delay_alu instid0(VALU_DEP_2) | instskip(NEXT) | instid1(VALU_DEP_2)
	v_mul_lo_u32 v11, 24, v34
	v_mul_lo_u32 v31, 0, v33
	v_mul_hi_u32 v32, 24, v33
	v_mul_lo_u32 v36, 24, v33
	s_delay_alu instid0(VALU_DEP_3) | instskip(SKIP_1) | instid1(VALU_DEP_2)
	v_add_nc_u32_e32 v11, v11, v31
	s_wait_loadcnt 0x0
	v_add_co_u32 v31, vcc_lo, v27, v36
	s_delay_alu instid0(VALU_DEP_2) | instskip(SKIP_1) | instid1(VALU_DEP_1)
	v_add_nc_u32_e32 v11, v11, v32
	s_wait_alu 0xfffd
	v_add_co_ci_u32_e32 v32, vcc_lo, v28, v11, vcc_lo
	s_and_saveexec_b32 s16, s0
	s_cbranch_execz .LBB3_88
; %bb.87:                               ;   in Loop: Header=BB3_31 Depth=1
	s_wait_alu 0xfffe
	v_mov_b32_e32 v11, s11
	global_store_b128 v[31:32], v[11:14], off offset:8
.LBB3_88:                               ;   in Loop: Header=BB3_31 Depth=1
	s_wait_alu 0xfffe
	s_or_b32 exec_lo, exec_lo, s16
	v_cmp_gt_u64_e64 vcc_lo, s[4:5], 56
	v_lshlrev_b64_e32 v[33:34], 12, v[33:34]
	v_or_b32_e32 v11, 0, v1
	v_or_b32_e32 v36, v0, v35
	s_lshl_b32 s11, s6, 2
	s_wait_alu 0xfffe
	s_add_co_i32 s11, s11, 28
	s_wait_alu 0xfffd
	v_dual_cndmask_b32 v1, v11, v1 :: v_dual_cndmask_b32 v0, v36, v0
	v_add_co_u32 v29, vcc_lo, v29, v33
	s_wait_alu 0xfffd
	v_add_co_ci_u32_e32 v30, vcc_lo, v30, v34, vcc_lo
	s_wait_alu 0xfffe
	s_and_b32 s11, s11, 0x1e0
	v_readfirstlane_b32 s16, v29
	s_wait_alu 0xfffe
	v_and_or_b32 v0, 0xffffff1f, v0, s11
	v_readfirstlane_b32 s17, v30
	s_clause 0x3
	global_store_b128 v39, v[0:3], s[16:17]
	global_store_b128 v39, v[15:18], s[16:17] offset:16
	global_store_b128 v39, v[19:22], s[16:17] offset:32
	;; [unrolled: 1-line block ×3, first 2 shown]
	s_and_saveexec_b32 s11, s0
	s_cbranch_execz .LBB3_96
; %bb.89:                               ;   in Loop: Header=BB3_31 Depth=1
	s_clause 0x1
	global_load_b64 v[19:20], v12, s[22:23] offset:32 scope:SCOPE_SYS
	global_load_b64 v[0:1], v12, s[22:23] offset:40
	s_mov_b32 s16, exec_lo
	v_dual_mov_b32 v17, s10 :: v_dual_mov_b32 v18, s1
	s_wait_loadcnt 0x0
	v_and_b32_e32 v1, s1, v1
	v_and_b32_e32 v0, s10, v0
	s_delay_alu instid0(VALU_DEP_2) | instskip(NEXT) | instid1(VALU_DEP_2)
	v_mul_lo_u32 v1, 24, v1
	v_mul_lo_u32 v2, 0, v0
	v_mul_hi_u32 v3, 24, v0
	v_mul_lo_u32 v0, 24, v0
	s_delay_alu instid0(VALU_DEP_3) | instskip(NEXT) | instid1(VALU_DEP_2)
	v_add_nc_u32_e32 v1, v1, v2
	v_add_co_u32 v15, vcc_lo, v27, v0
	s_delay_alu instid0(VALU_DEP_2) | instskip(SKIP_1) | instid1(VALU_DEP_1)
	v_add_nc_u32_e32 v1, v1, v3
	s_wait_alu 0xfffd
	v_add_co_ci_u32_e32 v16, vcc_lo, v28, v1, vcc_lo
	global_store_b64 v[15:16], v[19:20], off
	global_wb scope:SCOPE_SYS
	s_wait_storecnt 0x0
	global_atomic_cmpswap_b64 v[2:3], v12, v[17:20], s[22:23] offset:32 th:TH_ATOMIC_RETURN scope:SCOPE_SYS
	s_wait_loadcnt 0x0
	v_cmpx_ne_u64_e64 v[2:3], v[19:20]
	s_cbranch_execz .LBB3_92
; %bb.90:                               ;   in Loop: Header=BB3_31 Depth=1
	s_mov_b32 s17, 0
.LBB3_91:                               ;   Parent Loop BB3_31 Depth=1
                                        ; =>  This Inner Loop Header: Depth=2
	v_dual_mov_b32 v0, s10 :: v_dual_mov_b32 v1, s1
	s_sleep 1
	global_store_b64 v[15:16], v[2:3], off
	global_wb scope:SCOPE_SYS
	s_wait_storecnt 0x0
	global_atomic_cmpswap_b64 v[0:1], v12, v[0:3], s[22:23] offset:32 th:TH_ATOMIC_RETURN scope:SCOPE_SYS
	s_wait_loadcnt 0x0
	v_cmp_eq_u64_e32 vcc_lo, v[0:1], v[2:3]
	v_dual_mov_b32 v3, v1 :: v_dual_mov_b32 v2, v0
	s_wait_alu 0xfffe
	s_or_b32 s17, vcc_lo, s17
	s_wait_alu 0xfffe
	s_and_not1_b32 exec_lo, exec_lo, s17
	s_cbranch_execnz .LBB3_91
.LBB3_92:                               ;   in Loop: Header=BB3_31 Depth=1
	s_wait_alu 0xfffe
	s_or_b32 exec_lo, exec_lo, s16
	global_load_b64 v[0:1], v12, s[22:23] offset:16
	s_mov_b32 s17, exec_lo
	s_mov_b32 s16, exec_lo
	s_wait_alu 0xfffe
	v_mbcnt_lo_u32_b32 v2, s17, 0
	s_delay_alu instid0(VALU_DEP_1)
	v_cmpx_eq_u32_e32 0, v2
	s_cbranch_execz .LBB3_94
; %bb.93:                               ;   in Loop: Header=BB3_31 Depth=1
	s_bcnt1_i32_b32 s17, s17
	s_wait_alu 0xfffe
	v_mov_b32_e32 v11, s17
	global_wb scope:SCOPE_SYS
	s_wait_loadcnt 0x0
	global_atomic_add_u64 v[0:1], v[11:12], off offset:8 scope:SCOPE_SYS
.LBB3_94:                               ;   in Loop: Header=BB3_31 Depth=1
	s_or_b32 exec_lo, exec_lo, s16
	s_wait_loadcnt 0x0
	global_load_b64 v[2:3], v[0:1], off offset:16
	s_wait_loadcnt 0x0
	v_cmp_eq_u64_e32 vcc_lo, 0, v[2:3]
	s_cbranch_vccnz .LBB3_96
; %bb.95:                               ;   in Loop: Header=BB3_31 Depth=1
	global_load_b32 v11, v[0:1], off offset:24
	s_wait_loadcnt 0x0
	v_and_b32_e32 v0, 0xffffff, v11
	global_wb scope:SCOPE_SYS
	s_wait_storecnt 0x0
	global_store_b64 v[2:3], v[11:12], off scope:SCOPE_SYS
	v_readfirstlane_b32 m0, v0
	s_sendmsg sendmsg(MSG_INTERRUPT)
.LBB3_96:                               ;   in Loop: Header=BB3_31 Depth=1
	s_wait_alu 0xfffe
	s_or_b32 exec_lo, exec_lo, s11
	v_add_co_u32 v0, vcc_lo, v29, v39
	s_wait_alu 0xfffd
	v_add_co_ci_u32_e32 v1, vcc_lo, 0, v30, vcc_lo
	s_branch .LBB3_100
.LBB3_97:                               ;   in Loop: Header=BB3_100 Depth=2
	s_wait_alu 0xfffe
	s_or_b32 exec_lo, exec_lo, s11
	s_delay_alu instid0(VALU_DEP_1) | instskip(NEXT) | instid1(VALU_DEP_1)
	v_readfirstlane_b32 s11, v2
	s_cmp_eq_u32 s11, 0
	s_cbranch_scc1 .LBB3_99
; %bb.98:                               ;   in Loop: Header=BB3_100 Depth=2
	s_sleep 1
	s_cbranch_execnz .LBB3_100
	s_branch .LBB3_102
.LBB3_99:                               ;   in Loop: Header=BB3_31 Depth=1
	s_branch .LBB3_102
.LBB3_100:                              ;   Parent Loop BB3_31 Depth=1
                                        ; =>  This Inner Loop Header: Depth=2
	v_mov_b32_e32 v2, 1
	s_and_saveexec_b32 s11, s0
	s_cbranch_execz .LBB3_97
; %bb.101:                              ;   in Loop: Header=BB3_100 Depth=2
	global_load_b32 v2, v[31:32], off offset:20 scope:SCOPE_SYS
	s_wait_loadcnt 0x0
	global_inv scope:SCOPE_SYS
	v_and_b32_e32 v2, 1, v2
	s_branch .LBB3_97
.LBB3_102:                              ;   in Loop: Header=BB3_31 Depth=1
	global_load_b128 v[0:3], v[0:1], off
	s_and_saveexec_b32 s11, s0
	s_cbranch_execz .LBB3_30
; %bb.103:                              ;   in Loop: Header=BB3_31 Depth=1
	s_clause 0x2
	global_load_b64 v[2:3], v12, s[22:23] offset:40
	global_load_b64 v[19:20], v12, s[22:23] offset:24 scope:SCOPE_SYS
	global_load_b64 v[17:18], v12, s[22:23]
	s_wait_loadcnt 0x2
	v_add_co_u32 v11, vcc_lo, v2, 1
	s_wait_alu 0xfffd
	v_add_co_ci_u32_e32 v21, vcc_lo, 0, v3, vcc_lo
	s_delay_alu instid0(VALU_DEP_2) | instskip(SKIP_1) | instid1(VALU_DEP_2)
	v_add_co_u32 v15, vcc_lo, v11, s10
	s_wait_alu 0xfffd
	v_add_co_ci_u32_e32 v16, vcc_lo, s1, v21, vcc_lo
	s_delay_alu instid0(VALU_DEP_1) | instskip(SKIP_2) | instid1(VALU_DEP_1)
	v_cmp_eq_u64_e32 vcc_lo, 0, v[15:16]
	s_wait_alu 0xfffd
	v_dual_cndmask_b32 v16, v16, v21 :: v_dual_cndmask_b32 v15, v15, v11
	v_and_b32_e32 v3, v16, v3
	s_delay_alu instid0(VALU_DEP_2) | instskip(NEXT) | instid1(VALU_DEP_2)
	v_and_b32_e32 v2, v15, v2
	v_mul_lo_u32 v3, 24, v3
	s_delay_alu instid0(VALU_DEP_2) | instskip(SKIP_2) | instid1(VALU_DEP_3)
	v_mul_lo_u32 v11, 0, v2
	v_mul_hi_u32 v21, 24, v2
	v_mul_lo_u32 v2, 24, v2
	v_add_nc_u32_e32 v3, v3, v11
	s_wait_loadcnt 0x0
	s_delay_alu instid0(VALU_DEP_2) | instskip(SKIP_1) | instid1(VALU_DEP_3)
	v_add_co_u32 v2, vcc_lo, v17, v2
	v_mov_b32_e32 v17, v19
	v_add_nc_u32_e32 v3, v3, v21
	s_wait_alu 0xfffd
	s_delay_alu instid0(VALU_DEP_1)
	v_add_co_ci_u32_e32 v3, vcc_lo, v18, v3, vcc_lo
	v_mov_b32_e32 v18, v20
	global_store_b64 v[2:3], v[19:20], off
	global_wb scope:SCOPE_SYS
	s_wait_storecnt 0x0
	global_atomic_cmpswap_b64 v[17:18], v12, v[15:18], s[22:23] offset:24 th:TH_ATOMIC_RETURN scope:SCOPE_SYS
	s_wait_loadcnt 0x0
	v_cmp_ne_u64_e32 vcc_lo, v[17:18], v[19:20]
	s_and_b32 exec_lo, exec_lo, vcc_lo
	s_cbranch_execz .LBB3_30
; %bb.104:                              ;   in Loop: Header=BB3_31 Depth=1
	s_mov_b32 s0, 0
.LBB3_105:                              ;   Parent Loop BB3_31 Depth=1
                                        ; =>  This Inner Loop Header: Depth=2
	s_sleep 1
	global_store_b64 v[2:3], v[17:18], off
	global_wb scope:SCOPE_SYS
	s_wait_storecnt 0x0
	global_atomic_cmpswap_b64 v[19:20], v12, v[15:18], s[22:23] offset:24 th:TH_ATOMIC_RETURN scope:SCOPE_SYS
	s_wait_loadcnt 0x0
	v_cmp_eq_u64_e32 vcc_lo, v[19:20], v[17:18]
	v_dual_mov_b32 v17, v19 :: v_dual_mov_b32 v18, v20
	s_wait_alu 0xfffe
	s_or_b32 s0, vcc_lo, s0
	s_wait_alu 0xfffe
	s_and_not1_b32 exec_lo, exec_lo, s0
	s_cbranch_execnz .LBB3_105
	s_branch .LBB3_30
.LBB3_106:
	s_branch .LBB3_135
.LBB3_107:
                                        ; implicit-def: $vgpr0_vgpr1
	s_cbranch_execz .LBB3_135
; %bb.108:
	v_readfirstlane_b32 s0, v50
	v_mov_b32_e32 v12, 0
	v_mov_b32_e32 v13, 0
	s_wait_alu 0xf1ff
	s_delay_alu instid0(VALU_DEP_3) | instskip(NEXT) | instid1(VALU_DEP_1)
	v_cmp_eq_u32_e64 s0, s0, v50
	s_and_saveexec_b32 s1, s0
	s_cbranch_execz .LBB3_114
; %bb.109:
	s_wait_loadcnt 0x0
	v_mov_b32_e32 v0, 0
	s_mov_b32 s2, exec_lo
	global_load_b64 v[14:15], v0, s[22:23] offset:24 scope:SCOPE_SYS
	s_wait_loadcnt 0x0
	global_inv scope:SCOPE_SYS
	s_clause 0x1
	global_load_b64 v[1:2], v0, s[22:23] offset:40
	global_load_b64 v[11:12], v0, s[22:23]
	s_wait_loadcnt 0x1
	v_and_b32_e32 v1, v1, v14
	v_and_b32_e32 v2, v2, v15
	s_delay_alu instid0(VALU_DEP_2) | instskip(NEXT) | instid1(VALU_DEP_2)
	v_mul_lo_u32 v3, 0, v1
	v_mul_lo_u32 v2, 24, v2
	v_mul_hi_u32 v13, 24, v1
	v_mul_lo_u32 v1, 24, v1
	s_delay_alu instid0(VALU_DEP_3) | instskip(SKIP_1) | instid1(VALU_DEP_2)
	v_add_nc_u32_e32 v2, v2, v3
	s_wait_loadcnt 0x0
	v_add_co_u32 v1, vcc_lo, v11, v1
	s_delay_alu instid0(VALU_DEP_2) | instskip(SKIP_1) | instid1(VALU_DEP_1)
	v_add_nc_u32_e32 v2, v2, v13
	s_wait_alu 0xfffd
	v_add_co_ci_u32_e32 v2, vcc_lo, v12, v2, vcc_lo
	global_load_b64 v[12:13], v[1:2], off scope:SCOPE_SYS
	s_wait_loadcnt 0x0
	global_atomic_cmpswap_b64 v[12:13], v0, v[12:15], s[22:23] offset:24 th:TH_ATOMIC_RETURN scope:SCOPE_SYS
	s_wait_loadcnt 0x0
	global_inv scope:SCOPE_SYS
	v_cmpx_ne_u64_e64 v[12:13], v[14:15]
	s_cbranch_execz .LBB3_113
; %bb.110:
	s_mov_b32 s3, 0
.LBB3_111:                              ; =>This Inner Loop Header: Depth=1
	s_sleep 1
	s_clause 0x1
	global_load_b64 v[1:2], v0, s[22:23] offset:40
	global_load_b64 v[16:17], v0, s[22:23]
	v_dual_mov_b32 v15, v13 :: v_dual_mov_b32 v14, v12
	s_wait_loadcnt 0x1
	s_delay_alu instid0(VALU_DEP_1) | instskip(SKIP_1) | instid1(VALU_DEP_1)
	v_and_b32_e32 v1, v1, v14
	s_wait_loadcnt 0x0
	v_mad_co_u64_u32 v[11:12], null, v1, 24, v[16:17]
	s_delay_alu instid0(VALU_DEP_1) | instskip(NEXT) | instid1(VALU_DEP_1)
	v_dual_mov_b32 v1, v12 :: v_dual_and_b32 v2, v2, v15
	v_mad_co_u64_u32 v[1:2], null, v2, 24, v[1:2]
	s_delay_alu instid0(VALU_DEP_1)
	v_mov_b32_e32 v12, v1
	global_load_b64 v[12:13], v[11:12], off scope:SCOPE_SYS
	s_wait_loadcnt 0x0
	global_atomic_cmpswap_b64 v[12:13], v0, v[12:15], s[22:23] offset:24 th:TH_ATOMIC_RETURN scope:SCOPE_SYS
	s_wait_loadcnt 0x0
	global_inv scope:SCOPE_SYS
	v_cmp_eq_u64_e32 vcc_lo, v[12:13], v[14:15]
	s_wait_alu 0xfffe
	s_or_b32 s3, vcc_lo, s3
	s_wait_alu 0xfffe
	s_and_not1_b32 exec_lo, exec_lo, s3
	s_cbranch_execnz .LBB3_111
; %bb.112:
	s_or_b32 exec_lo, exec_lo, s3
.LBB3_113:
	s_wait_alu 0xfffe
	s_or_b32 exec_lo, exec_lo, s2
.LBB3_114:
	s_wait_alu 0xfffe
	s_or_b32 exec_lo, exec_lo, s1
	v_readfirstlane_b32 s1, v13
	v_mov_b32_e32 v11, 0
	v_readfirstlane_b32 s2, v12
	s_mov_b32 s3, exec_lo
	s_clause 0x1
	global_load_b64 v[14:15], v11, s[22:23] offset:40
	global_load_b128 v[0:3], v11, s[22:23]
	s_wait_loadcnt 0x1
	s_wait_alu 0xf1ff
	v_and_b32_e32 v16, s1, v15
	v_and_b32_e32 v15, s2, v14
	s_delay_alu instid0(VALU_DEP_2) | instskip(NEXT) | instid1(VALU_DEP_2)
	v_mul_lo_u32 v12, 24, v16
	v_mul_lo_u32 v13, 0, v15
	v_mul_hi_u32 v14, 24, v15
	v_mul_lo_u32 v17, 24, v15
	s_delay_alu instid0(VALU_DEP_3) | instskip(SKIP_1) | instid1(VALU_DEP_2)
	v_add_nc_u32_e32 v12, v12, v13
	s_wait_loadcnt 0x0
	v_add_co_u32 v13, vcc_lo, v0, v17
	s_delay_alu instid0(VALU_DEP_2) | instskip(SKIP_1) | instid1(VALU_DEP_1)
	v_add_nc_u32_e32 v12, v12, v14
	s_wait_alu 0xfffd
	v_add_co_ci_u32_e32 v14, vcc_lo, v1, v12, vcc_lo
	s_and_saveexec_b32 s4, s0
	s_cbranch_execz .LBB3_116
; %bb.115:
	s_wait_alu 0xfffe
	v_dual_mov_b32 v17, s3 :: v_dual_mov_b32 v18, v11
	v_dual_mov_b32 v19, 2 :: v_dual_mov_b32 v20, 1
	global_store_b128 v[13:14], v[17:20], off offset:8
.LBB3_116:
	s_wait_alu 0xfffe
	s_or_b32 exec_lo, exec_lo, s4
	v_lshlrev_b64_e32 v[15:16], 12, v[15:16]
	s_mov_b32 s4, 0
	v_and_or_b32 v9, 0xffffff1f, v9, 32
	s_wait_alu 0xfffe
	s_mov_b32 s7, s4
	s_mov_b32 s5, s4
	;; [unrolled: 1-line block ×3, first 2 shown]
	v_add_co_u32 v2, vcc_lo, v2, v15
	s_wait_alu 0xfffd
	v_add_co_ci_u32_e32 v3, vcc_lo, v3, v16, vcc_lo
	v_mov_b32_e32 v12, v11
	s_delay_alu instid0(VALU_DEP_3) | instskip(SKIP_1) | instid1(VALU_DEP_4)
	v_add_co_u32 v15, vcc_lo, v2, v39
	v_readfirstlane_b32 s10, v2
	v_readfirstlane_b32 s11, v3
	s_wait_alu 0xfffe
	v_dual_mov_b32 v20, s7 :: v_dual_mov_b32 v17, s4
	s_wait_alu 0xfffd
	v_add_co_ci_u32_e32 v16, vcc_lo, 0, v3, vcc_lo
	v_dual_mov_b32 v19, s6 :: v_dual_mov_b32 v18, s5
	s_clause 0x3
	global_store_b128 v39, v[9:12], s[10:11]
	global_store_b128 v39, v[17:20], s[10:11] offset:16
	global_store_b128 v39, v[17:20], s[10:11] offset:32
	;; [unrolled: 1-line block ×3, first 2 shown]
	s_and_saveexec_b32 s3, s0
	s_cbranch_execz .LBB3_124
; %bb.117:
	v_mov_b32_e32 v11, 0
	v_mov_b32_e32 v17, s2
	s_mov_b32 s4, exec_lo
	s_clause 0x1
	global_load_b64 v[19:20], v11, s[22:23] offset:32 scope:SCOPE_SYS
	global_load_b64 v[2:3], v11, s[22:23] offset:40
	v_mov_b32_e32 v18, s1
	s_wait_loadcnt 0x0
	v_and_b32_e32 v2, s2, v2
	v_and_b32_e32 v3, s1, v3
	s_delay_alu instid0(VALU_DEP_2) | instskip(NEXT) | instid1(VALU_DEP_2)
	v_mul_lo_u32 v9, 0, v2
	v_mul_lo_u32 v3, 24, v3
	v_mul_hi_u32 v10, 24, v2
	v_mul_lo_u32 v2, 24, v2
	s_delay_alu instid0(VALU_DEP_3) | instskip(NEXT) | instid1(VALU_DEP_2)
	v_add_nc_u32_e32 v3, v3, v9
	v_add_co_u32 v9, vcc_lo, v0, v2
	s_delay_alu instid0(VALU_DEP_2) | instskip(SKIP_1) | instid1(VALU_DEP_1)
	v_add_nc_u32_e32 v3, v3, v10
	s_wait_alu 0xfffd
	v_add_co_ci_u32_e32 v10, vcc_lo, v1, v3, vcc_lo
	global_store_b64 v[9:10], v[19:20], off
	global_wb scope:SCOPE_SYS
	s_wait_storecnt 0x0
	global_atomic_cmpswap_b64 v[2:3], v11, v[17:20], s[22:23] offset:32 th:TH_ATOMIC_RETURN scope:SCOPE_SYS
	s_wait_loadcnt 0x0
	v_cmpx_ne_u64_e64 v[2:3], v[19:20]
	s_cbranch_execz .LBB3_120
; %bb.118:
	s_mov_b32 s5, 0
.LBB3_119:                              ; =>This Inner Loop Header: Depth=1
	v_dual_mov_b32 v0, s2 :: v_dual_mov_b32 v1, s1
	s_sleep 1
	global_store_b64 v[9:10], v[2:3], off
	global_wb scope:SCOPE_SYS
	s_wait_storecnt 0x0
	global_atomic_cmpswap_b64 v[0:1], v11, v[0:3], s[22:23] offset:32 th:TH_ATOMIC_RETURN scope:SCOPE_SYS
	s_wait_loadcnt 0x0
	v_cmp_eq_u64_e32 vcc_lo, v[0:1], v[2:3]
	v_dual_mov_b32 v3, v1 :: v_dual_mov_b32 v2, v0
	s_wait_alu 0xfffe
	s_or_b32 s5, vcc_lo, s5
	s_wait_alu 0xfffe
	s_and_not1_b32 exec_lo, exec_lo, s5
	s_cbranch_execnz .LBB3_119
.LBB3_120:
	s_wait_alu 0xfffe
	s_or_b32 exec_lo, exec_lo, s4
	v_mov_b32_e32 v3, 0
	s_mov_b32 s5, exec_lo
	s_mov_b32 s4, exec_lo
	s_wait_alu 0xfffe
	v_mbcnt_lo_u32_b32 v2, s5, 0
	global_load_b64 v[0:1], v3, s[22:23] offset:16
	v_cmpx_eq_u32_e32 0, v2
	s_cbranch_execz .LBB3_122
; %bb.121:
	s_bcnt1_i32_b32 s5, s5
	s_wait_alu 0xfffe
	v_mov_b32_e32 v2, s5
	global_wb scope:SCOPE_SYS
	s_wait_loadcnt 0x0
	global_atomic_add_u64 v[0:1], v[2:3], off offset:8 scope:SCOPE_SYS
.LBB3_122:
	s_or_b32 exec_lo, exec_lo, s4
	s_wait_loadcnt 0x0
	global_load_b64 v[2:3], v[0:1], off offset:16
	s_wait_loadcnt 0x0
	v_cmp_eq_u64_e32 vcc_lo, 0, v[2:3]
	s_cbranch_vccnz .LBB3_124
; %bb.123:
	global_load_b32 v0, v[0:1], off offset:24
	v_mov_b32_e32 v1, 0
	s_wait_loadcnt 0x0
	v_and_b32_e32 v9, 0xffffff, v0
	global_wb scope:SCOPE_SYS
	s_wait_storecnt 0x0
	global_store_b64 v[2:3], v[0:1], off scope:SCOPE_SYS
	v_readfirstlane_b32 m0, v9
	s_sendmsg sendmsg(MSG_INTERRUPT)
.LBB3_124:
	s_wait_alu 0xfffe
	s_or_b32 exec_lo, exec_lo, s3
	s_branch .LBB3_128
.LBB3_125:                              ;   in Loop: Header=BB3_128 Depth=1
	s_wait_alu 0xfffe
	s_or_b32 exec_lo, exec_lo, s3
	s_delay_alu instid0(VALU_DEP_1) | instskip(NEXT) | instid1(VALU_DEP_1)
	v_readfirstlane_b32 s3, v0
	s_cmp_eq_u32 s3, 0
	s_cbranch_scc1 .LBB3_127
; %bb.126:                              ;   in Loop: Header=BB3_128 Depth=1
	s_sleep 1
	s_cbranch_execnz .LBB3_128
	s_branch .LBB3_130
.LBB3_127:
	s_branch .LBB3_130
.LBB3_128:                              ; =>This Inner Loop Header: Depth=1
	v_mov_b32_e32 v0, 1
	s_and_saveexec_b32 s3, s0
	s_cbranch_execz .LBB3_125
; %bb.129:                              ;   in Loop: Header=BB3_128 Depth=1
	global_load_b32 v0, v[13:14], off offset:20 scope:SCOPE_SYS
	s_wait_loadcnt 0x0
	global_inv scope:SCOPE_SYS
	v_and_b32_e32 v0, 1, v0
	s_branch .LBB3_125
.LBB3_130:
	global_load_b64 v[0:1], v[15:16], off
	s_and_saveexec_b32 s3, s0
	s_cbranch_execz .LBB3_134
; %bb.131:
	v_mov_b32_e32 v13, 0
	s_clause 0x2
	global_load_b64 v[2:3], v13, s[22:23] offset:40
	global_load_b64 v[14:15], v13, s[22:23] offset:24 scope:SCOPE_SYS
	global_load_b64 v[11:12], v13, s[22:23]
	s_wait_loadcnt 0x2
	v_add_co_u32 v16, vcc_lo, v2, 1
	s_wait_alu 0xfffd
	v_add_co_ci_u32_e32 v17, vcc_lo, 0, v3, vcc_lo
	s_delay_alu instid0(VALU_DEP_2) | instskip(SKIP_1) | instid1(VALU_DEP_2)
	v_add_co_u32 v9, vcc_lo, v16, s2
	s_wait_alu 0xfffd
	v_add_co_ci_u32_e32 v10, vcc_lo, s1, v17, vcc_lo
	s_delay_alu instid0(VALU_DEP_1) | instskip(SKIP_2) | instid1(VALU_DEP_1)
	v_cmp_eq_u64_e32 vcc_lo, 0, v[9:10]
	s_wait_alu 0xfffd
	v_dual_cndmask_b32 v10, v10, v17 :: v_dual_cndmask_b32 v9, v9, v16
	v_and_b32_e32 v3, v10, v3
	s_delay_alu instid0(VALU_DEP_2) | instskip(NEXT) | instid1(VALU_DEP_2)
	v_and_b32_e32 v2, v9, v2
	v_mul_lo_u32 v3, 24, v3
	s_delay_alu instid0(VALU_DEP_2) | instskip(SKIP_2) | instid1(VALU_DEP_3)
	v_mul_lo_u32 v16, 0, v2
	v_mul_hi_u32 v17, 24, v2
	v_mul_lo_u32 v2, 24, v2
	v_add_nc_u32_e32 v3, v3, v16
	s_wait_loadcnt 0x0
	s_delay_alu instid0(VALU_DEP_2) | instskip(SKIP_1) | instid1(VALU_DEP_3)
	v_add_co_u32 v2, vcc_lo, v11, v2
	v_mov_b32_e32 v11, v14
	v_add_nc_u32_e32 v3, v3, v17
	s_wait_alu 0xfffd
	s_delay_alu instid0(VALU_DEP_1)
	v_add_co_ci_u32_e32 v3, vcc_lo, v12, v3, vcc_lo
	v_mov_b32_e32 v12, v15
	global_store_b64 v[2:3], v[14:15], off
	global_wb scope:SCOPE_SYS
	s_wait_storecnt 0x0
	global_atomic_cmpswap_b64 v[11:12], v13, v[9:12], s[22:23] offset:24 th:TH_ATOMIC_RETURN scope:SCOPE_SYS
	s_wait_loadcnt 0x0
	v_cmp_ne_u64_e32 vcc_lo, v[11:12], v[14:15]
	s_and_b32 exec_lo, exec_lo, vcc_lo
	s_cbranch_execz .LBB3_134
; %bb.132:
	s_mov_b32 s0, 0
.LBB3_133:                              ; =>This Inner Loop Header: Depth=1
	s_sleep 1
	global_store_b64 v[2:3], v[11:12], off
	global_wb scope:SCOPE_SYS
	s_wait_storecnt 0x0
	global_atomic_cmpswap_b64 v[14:15], v13, v[9:12], s[22:23] offset:24 th:TH_ATOMIC_RETURN scope:SCOPE_SYS
	s_wait_loadcnt 0x0
	v_cmp_eq_u64_e32 vcc_lo, v[14:15], v[11:12]
	v_dual_mov_b32 v11, v14 :: v_dual_mov_b32 v12, v15
	s_wait_alu 0xfffe
	s_or_b32 s0, vcc_lo, s0
	s_wait_alu 0xfffe
	s_and_not1_b32 exec_lo, exec_lo, s0
	s_cbranch_execnz .LBB3_133
.LBB3_134:
	s_wait_alu 0xfffe
	s_or_b32 exec_lo, exec_lo, s3
.LBB3_135:
	v_cmp_ne_u64_e32 vcc_lo, 0, v[6:7]
	v_mov_b32_e32 v29, 0
	v_mov_b32_e32 v30, 0
	s_and_saveexec_b32 s1, vcc_lo
	s_cbranch_execnz .LBB3_138
; %bb.136:
	s_wait_alu 0xfffe
	s_or_b32 exec_lo, exec_lo, s1
	s_and_saveexec_b32 s0, vcc_lo
	s_wait_alu 0xfffe
	s_xor_b32 s4, exec_lo, s0
	s_cbranch_execnz .LBB3_141
.LBB3_137:
	s_wait_alu 0xfffe
	s_and_not1_saveexec_b32 s1, s4
	s_cbranch_execnz .LBB3_226
	s_branch .LBB3_253
.LBB3_138:
	s_wait_loadcnt 0x0
	v_add_co_u32 v2, s0, v6, -1
	s_wait_alu 0xf1ff
	v_add_co_ci_u32_e64 v3, s0, -1, v7, s0
	s_mov_b32 s2, 0
.LBB3_139:                              ; =>This Inner Loop Header: Depth=1
	flat_load_u8 v11, v[2:3] offset:1
	v_add_co_u32 v9, s0, v2, 1
	s_wait_alu 0xf1ff
	v_add_co_ci_u32_e64 v10, s0, 0, v3, s0
	s_delay_alu instid0(VALU_DEP_1) | instskip(SKIP_3) | instid1(VALU_DEP_1)
	v_dual_mov_b32 v2, v9 :: v_dual_mov_b32 v3, v10
	s_wait_loadcnt_dscnt 0x0
	v_cmp_eq_u16_e64 s0, 0, v11
	s_wait_alu 0xfffe
	s_or_b32 s2, s0, s2
	s_wait_alu 0xfffe
	s_and_not1_b32 exec_lo, exec_lo, s2
	s_cbranch_execnz .LBB3_139
; %bb.140:
	s_or_b32 exec_lo, exec_lo, s2
	v_sub_co_u32 v2, s0, v9, v6
	s_wait_alu 0xf1ff
	v_sub_co_ci_u32_e64 v3, s0, v10, v7, s0
	s_delay_alu instid0(VALU_DEP_2) | instskip(SKIP_1) | instid1(VALU_DEP_2)
	v_add_co_u32 v29, s0, v2, 1
	s_wait_alu 0xf1ff
	v_add_co_ci_u32_e64 v30, s0, 0, v3, s0
	s_or_b32 exec_lo, exec_lo, s1
	s_and_saveexec_b32 s0, vcc_lo
	s_wait_alu 0xfffe
	s_xor_b32 s4, exec_lo, s0
	s_cbranch_execz .LBB3_137
.LBB3_141:
	s_wait_loadcnt 0x0
	v_dual_mov_b32 v11, 2 :: v_dual_and_b32 v0, -3, v0
	v_mov_b32_e32 v10, 0
	v_mov_b32_e32 v12, 1
	s_mov_b32 s6, 0
	s_mov_b32 s5, 0
	s_branch .LBB3_143
.LBB3_142:                              ;   in Loop: Header=BB3_143 Depth=1
	s_wait_alu 0xfffe
	s_or_b32 exec_lo, exec_lo, s3
	v_sub_co_u32 v29, vcc_lo, v29, v31
	s_wait_alu 0xfffd
	v_sub_co_ci_u32_e32 v30, vcc_lo, v30, v32, vcc_lo
	v_add_co_u32 v6, s0, v6, v31
	s_wait_alu 0xf1ff
	v_add_co_ci_u32_e64 v7, s0, v7, v32, s0
	s_delay_alu instid0(VALU_DEP_3)
	v_cmp_eq_u64_e32 vcc_lo, 0, v[29:30]
	s_or_b32 s5, vcc_lo, s5
	s_wait_alu 0xfffe
	s_and_not1_b32 exec_lo, exec_lo, s5
	s_cbranch_execz .LBB3_225
.LBB3_143:                              ; =>This Loop Header: Depth=1
                                        ;     Child Loop BB3_146 Depth 2
                                        ;     Child Loop BB3_154 Depth 2
	;; [unrolled: 1-line block ×11, first 2 shown]
	v_cmp_gt_u64_e32 vcc_lo, 56, v[29:30]
	s_mov_b32 s1, exec_lo
                                        ; implicit-def: $sgpr2
	s_wait_alu 0xfffd
	v_dual_cndmask_b32 v32, 0, v30 :: v_dual_cndmask_b32 v31, 56, v29
	v_cmpx_gt_u64_e32 8, v[29:30]
	s_wait_alu 0xfffe
	s_xor_b32 s1, exec_lo, s1
	s_cbranch_execz .LBB3_149
; %bb.144:                              ;   in Loop: Header=BB3_143 Depth=1
	s_wait_loadcnt 0x0
	v_mov_b32_e32 v2, 0
	v_mov_b32_e32 v3, 0
	s_mov_b64 s[2:3], 0
	s_mov_b32 s7, exec_lo
	v_cmpx_ne_u64_e32 0, v[29:30]
	s_cbranch_execz .LBB3_148
; %bb.145:                              ;   in Loop: Header=BB3_143 Depth=1
	v_lshlrev_b64_e32 v[13:14], 3, v[31:32]
	v_dual_mov_b32 v2, 0 :: v_dual_mov_b32 v15, v7
	v_dual_mov_b32 v3, 0 :: v_dual_mov_b32 v14, v6
	s_mov_b32 s10, 0
.LBB3_146:                              ;   Parent Loop BB3_143 Depth=1
                                        ; =>  This Inner Loop Header: Depth=2
	flat_load_u8 v9, v[14:15]
	v_mov_b32_e32 v17, s6
	v_add_co_u32 v14, vcc_lo, v14, 1
	s_wait_alu 0xfffd
	v_add_co_ci_u32_e32 v15, vcc_lo, 0, v15, vcc_lo
	s_wait_loadcnt_dscnt 0x0
	v_and_b32_e32 v16, 0xffff, v9
	s_wait_alu 0xfffe
	s_delay_alu instid0(VALU_DEP_1) | instskip(SKIP_3) | instid1(VALU_DEP_2)
	v_lshlrev_b64_e32 v[16:17], s2, v[16:17]
	s_add_nc_u64 s[2:3], s[2:3], 8
	s_wait_alu 0xfffe
	v_cmp_eq_u32_e64 s0, s2, v13
	v_or_b32_e32 v3, v17, v3
	s_delay_alu instid0(VALU_DEP_3) | instskip(NEXT) | instid1(VALU_DEP_3)
	v_or_b32_e32 v2, v16, v2
	s_or_b32 s10, s0, s10
	s_wait_alu 0xfffe
	s_and_not1_b32 exec_lo, exec_lo, s10
	s_cbranch_execnz .LBB3_146
; %bb.147:                              ;   in Loop: Header=BB3_143 Depth=1
	s_or_b32 exec_lo, exec_lo, s10
.LBB3_148:                              ;   in Loop: Header=BB3_143 Depth=1
	s_wait_alu 0xfffe
	s_or_b32 exec_lo, exec_lo, s7
	s_mov_b32 s2, 0
.LBB3_149:                              ;   in Loop: Header=BB3_143 Depth=1
	s_wait_alu 0xfffe
	s_or_saveexec_b32 s0, s1
	v_dual_mov_b32 v9, s2 :: v_dual_mov_b32 v26, v7
	v_mov_b32_e32 v25, v6
	s_wait_alu 0xfffe
	s_xor_b32 exec_lo, exec_lo, s0
	s_cbranch_execz .LBB3_151
; %bb.150:                              ;   in Loop: Header=BB3_143 Depth=1
	s_wait_loadcnt 0x0
	flat_load_b64 v[2:3], v[6:7]
	v_add_co_u32 v25, vcc_lo, v6, 8
	s_wait_alu 0xfffd
	v_add_co_ci_u32_e32 v26, vcc_lo, 0, v7, vcc_lo
	s_wait_loadcnt_dscnt 0x0
	v_and_b32_e32 v9, 0xff, v3
	v_and_b32_e32 v13, 0xff00, v3
	;; [unrolled: 1-line block ×4, first 2 shown]
	v_or3_b32 v2, v2, 0, 0
	s_delay_alu instid0(VALU_DEP_4) | instskip(SKIP_1) | instid1(VALU_DEP_2)
	v_or_b32_e32 v13, v9, v13
	v_add_nc_u32_e32 v9, -8, v31
	v_or3_b32 v3, v13, v14, v3
.LBB3_151:                              ;   in Loop: Header=BB3_143 Depth=1
	s_or_b32 exec_lo, exec_lo, s0
                                        ; implicit-def: $vgpr13_vgpr14
                                        ; implicit-def: $sgpr1
	s_delay_alu instid0(SALU_CYCLE_1) | instskip(NEXT) | instid1(VALU_DEP_2)
	s_mov_b32 s0, exec_lo
	v_cmpx_gt_u32_e32 8, v9
	s_wait_alu 0xfffe
	s_xor_b32 s7, exec_lo, s0
	s_cbranch_execz .LBB3_157
; %bb.152:                              ;   in Loop: Header=BB3_143 Depth=1
	v_mov_b32_e32 v13, 0
	v_mov_b32_e32 v14, 0
	s_mov_b32 s10, exec_lo
	v_cmpx_ne_u32_e32 0, v9
	s_cbranch_execz .LBB3_156
; %bb.153:                              ;   in Loop: Header=BB3_143 Depth=1
	v_mov_b32_e32 v13, 0
	v_mov_b32_e32 v14, 0
	s_mov_b64 s[0:1], 0
	s_mov_b32 s11, 0
	s_mov_b64 s[2:3], 0
.LBB3_154:                              ;   Parent Loop BB3_143 Depth=1
                                        ; =>  This Inner Loop Header: Depth=2
	s_wait_alu 0xfffe
	v_add_co_u32 v15, vcc_lo, v25, s2
	s_wait_alu 0xfffd
	v_add_co_ci_u32_e32 v16, vcc_lo, s3, v26, vcc_lo
	s_add_nc_u64 s[2:3], s[2:3], 1
	s_wait_alu 0xfffe
	v_cmp_eq_u32_e32 vcc_lo, s2, v9
	flat_load_u8 v15, v[15:16]
	v_mov_b32_e32 v16, s6
	s_or_b32 s11, vcc_lo, s11
	s_wait_loadcnt_dscnt 0x0
	v_and_b32_e32 v15, 0xffff, v15
	s_delay_alu instid0(VALU_DEP_1) | instskip(SKIP_1) | instid1(VALU_DEP_1)
	v_lshlrev_b64_e32 v[15:16], s0, v[15:16]
	s_add_nc_u64 s[0:1], s[0:1], 8
	v_or_b32_e32 v14, v16, v14
	s_delay_alu instid0(VALU_DEP_2)
	v_or_b32_e32 v13, v15, v13
	s_wait_alu 0xfffe
	s_and_not1_b32 exec_lo, exec_lo, s11
	s_cbranch_execnz .LBB3_154
; %bb.155:                              ;   in Loop: Header=BB3_143 Depth=1
	s_or_b32 exec_lo, exec_lo, s11
.LBB3_156:                              ;   in Loop: Header=BB3_143 Depth=1
	s_wait_alu 0xfffe
	s_or_b32 exec_lo, exec_lo, s10
	s_mov_b32 s1, 0
                                        ; implicit-def: $vgpr9
.LBB3_157:                              ;   in Loop: Header=BB3_143 Depth=1
	s_wait_alu 0xfffe
	s_or_saveexec_b32 s0, s7
	v_mov_b32_e32 v17, s1
	s_wait_alu 0xfffe
	s_xor_b32 exec_lo, exec_lo, s0
	s_cbranch_execz .LBB3_159
; %bb.158:                              ;   in Loop: Header=BB3_143 Depth=1
	flat_load_b64 v[13:14], v[25:26]
	v_add_co_u32 v25, vcc_lo, v25, 8
	v_add_nc_u32_e32 v17, -8, v9
	s_wait_alu 0xfffd
	v_add_co_ci_u32_e32 v26, vcc_lo, 0, v26, vcc_lo
	s_wait_loadcnt_dscnt 0x0
	v_and_b32_e32 v15, 0xff, v14
	v_and_b32_e32 v16, 0xff00, v14
	;; [unrolled: 1-line block ×4, first 2 shown]
	v_or3_b32 v13, v13, 0, 0
	s_delay_alu instid0(VALU_DEP_4) | instskip(NEXT) | instid1(VALU_DEP_1)
	v_or_b32_e32 v15, v15, v16
	v_or3_b32 v14, v15, v18, v14
.LBB3_159:                              ;   in Loop: Header=BB3_143 Depth=1
	s_or_b32 exec_lo, exec_lo, s0
                                        ; implicit-def: $sgpr1
	s_delay_alu instid0(SALU_CYCLE_1)
	s_mov_b32 s0, exec_lo
	v_cmpx_gt_u32_e32 8, v17
	s_wait_alu 0xfffe
	s_xor_b32 s7, exec_lo, s0
	s_cbranch_execz .LBB3_165
; %bb.160:                              ;   in Loop: Header=BB3_143 Depth=1
	v_mov_b32_e32 v15, 0
	v_mov_b32_e32 v16, 0
	s_mov_b32 s10, exec_lo
	v_cmpx_ne_u32_e32 0, v17
	s_cbranch_execz .LBB3_164
; %bb.161:                              ;   in Loop: Header=BB3_143 Depth=1
	v_mov_b32_e32 v15, 0
	v_mov_b32_e32 v16, 0
	s_mov_b64 s[0:1], 0
	s_mov_b32 s11, 0
	s_mov_b64 s[2:3], 0
.LBB3_162:                              ;   Parent Loop BB3_143 Depth=1
                                        ; =>  This Inner Loop Header: Depth=2
	s_wait_alu 0xfffe
	v_add_co_u32 v18, vcc_lo, v25, s2
	s_wait_alu 0xfffd
	v_add_co_ci_u32_e32 v19, vcc_lo, s3, v26, vcc_lo
	s_add_nc_u64 s[2:3], s[2:3], 1
	s_wait_alu 0xfffe
	v_cmp_eq_u32_e32 vcc_lo, s2, v17
	flat_load_u8 v9, v[18:19]
	v_mov_b32_e32 v19, s6
	s_or_b32 s11, vcc_lo, s11
	s_wait_loadcnt_dscnt 0x0
	v_and_b32_e32 v18, 0xffff, v9
	s_delay_alu instid0(VALU_DEP_1) | instskip(SKIP_1) | instid1(VALU_DEP_1)
	v_lshlrev_b64_e32 v[18:19], s0, v[18:19]
	s_add_nc_u64 s[0:1], s[0:1], 8
	v_or_b32_e32 v16, v19, v16
	s_delay_alu instid0(VALU_DEP_2)
	v_or_b32_e32 v15, v18, v15
	s_wait_alu 0xfffe
	s_and_not1_b32 exec_lo, exec_lo, s11
	s_cbranch_execnz .LBB3_162
; %bb.163:                              ;   in Loop: Header=BB3_143 Depth=1
	s_or_b32 exec_lo, exec_lo, s11
.LBB3_164:                              ;   in Loop: Header=BB3_143 Depth=1
	s_wait_alu 0xfffe
	s_or_b32 exec_lo, exec_lo, s10
	s_mov_b32 s1, 0
                                        ; implicit-def: $vgpr17
.LBB3_165:                              ;   in Loop: Header=BB3_143 Depth=1
	s_wait_alu 0xfffe
	s_or_saveexec_b32 s0, s7
	v_mov_b32_e32 v9, s1
	s_wait_alu 0xfffe
	s_xor_b32 exec_lo, exec_lo, s0
	s_cbranch_execz .LBB3_167
; %bb.166:                              ;   in Loop: Header=BB3_143 Depth=1
	flat_load_b64 v[15:16], v[25:26]
	v_add_co_u32 v25, vcc_lo, v25, 8
	s_wait_alu 0xfffd
	v_add_co_ci_u32_e32 v26, vcc_lo, 0, v26, vcc_lo
	s_wait_loadcnt_dscnt 0x0
	v_and_b32_e32 v9, 0xff, v16
	v_and_b32_e32 v18, 0xff00, v16
	;; [unrolled: 1-line block ×4, first 2 shown]
	v_or3_b32 v15, v15, 0, 0
	s_delay_alu instid0(VALU_DEP_4) | instskip(SKIP_1) | instid1(VALU_DEP_2)
	v_or_b32_e32 v18, v9, v18
	v_add_nc_u32_e32 v9, -8, v17
	v_or3_b32 v16, v18, v19, v16
.LBB3_167:                              ;   in Loop: Header=BB3_143 Depth=1
	s_or_b32 exec_lo, exec_lo, s0
                                        ; implicit-def: $vgpr17_vgpr18
                                        ; implicit-def: $sgpr1
	s_delay_alu instid0(SALU_CYCLE_1) | instskip(NEXT) | instid1(VALU_DEP_1)
	s_mov_b32 s0, exec_lo
	v_cmpx_gt_u32_e32 8, v9
	s_wait_alu 0xfffe
	s_xor_b32 s7, exec_lo, s0
	s_cbranch_execz .LBB3_173
; %bb.168:                              ;   in Loop: Header=BB3_143 Depth=1
	v_mov_b32_e32 v17, 0
	v_mov_b32_e32 v18, 0
	s_mov_b32 s10, exec_lo
	v_cmpx_ne_u32_e32 0, v9
	s_cbranch_execz .LBB3_172
; %bb.169:                              ;   in Loop: Header=BB3_143 Depth=1
	v_mov_b32_e32 v17, 0
	v_mov_b32_e32 v18, 0
	s_mov_b64 s[0:1], 0
	s_mov_b32 s11, 0
	s_mov_b64 s[2:3], 0
.LBB3_170:                              ;   Parent Loop BB3_143 Depth=1
                                        ; =>  This Inner Loop Header: Depth=2
	s_wait_alu 0xfffe
	v_add_co_u32 v19, vcc_lo, v25, s2
	s_wait_alu 0xfffd
	v_add_co_ci_u32_e32 v20, vcc_lo, s3, v26, vcc_lo
	s_add_nc_u64 s[2:3], s[2:3], 1
	s_wait_alu 0xfffe
	v_cmp_eq_u32_e32 vcc_lo, s2, v9
	flat_load_u8 v19, v[19:20]
	v_mov_b32_e32 v20, s6
	s_or_b32 s11, vcc_lo, s11
	s_wait_loadcnt_dscnt 0x0
	v_and_b32_e32 v19, 0xffff, v19
	s_delay_alu instid0(VALU_DEP_1) | instskip(SKIP_1) | instid1(VALU_DEP_1)
	v_lshlrev_b64_e32 v[19:20], s0, v[19:20]
	s_add_nc_u64 s[0:1], s[0:1], 8
	v_or_b32_e32 v18, v20, v18
	s_delay_alu instid0(VALU_DEP_2)
	v_or_b32_e32 v17, v19, v17
	s_wait_alu 0xfffe
	s_and_not1_b32 exec_lo, exec_lo, s11
	s_cbranch_execnz .LBB3_170
; %bb.171:                              ;   in Loop: Header=BB3_143 Depth=1
	s_or_b32 exec_lo, exec_lo, s11
.LBB3_172:                              ;   in Loop: Header=BB3_143 Depth=1
	s_wait_alu 0xfffe
	s_or_b32 exec_lo, exec_lo, s10
	s_mov_b32 s1, 0
                                        ; implicit-def: $vgpr9
.LBB3_173:                              ;   in Loop: Header=BB3_143 Depth=1
	s_wait_alu 0xfffe
	s_or_saveexec_b32 s0, s7
	v_mov_b32_e32 v21, s1
	s_wait_alu 0xfffe
	s_xor_b32 exec_lo, exec_lo, s0
	s_cbranch_execz .LBB3_175
; %bb.174:                              ;   in Loop: Header=BB3_143 Depth=1
	flat_load_b64 v[17:18], v[25:26]
	v_add_co_u32 v25, vcc_lo, v25, 8
	v_add_nc_u32_e32 v21, -8, v9
	s_wait_alu 0xfffd
	v_add_co_ci_u32_e32 v26, vcc_lo, 0, v26, vcc_lo
	s_wait_loadcnt_dscnt 0x0
	v_and_b32_e32 v19, 0xff, v18
	v_and_b32_e32 v20, 0xff00, v18
	;; [unrolled: 1-line block ×4, first 2 shown]
	v_or3_b32 v17, v17, 0, 0
	s_delay_alu instid0(VALU_DEP_4) | instskip(NEXT) | instid1(VALU_DEP_1)
	v_or_b32_e32 v19, v19, v20
	v_or3_b32 v18, v19, v22, v18
.LBB3_175:                              ;   in Loop: Header=BB3_143 Depth=1
	s_or_b32 exec_lo, exec_lo, s0
                                        ; implicit-def: $sgpr1
	s_delay_alu instid0(SALU_CYCLE_1)
	s_mov_b32 s0, exec_lo
	v_cmpx_gt_u32_e32 8, v21
	s_wait_alu 0xfffe
	s_xor_b32 s7, exec_lo, s0
	s_cbranch_execz .LBB3_181
; %bb.176:                              ;   in Loop: Header=BB3_143 Depth=1
	v_mov_b32_e32 v19, 0
	v_mov_b32_e32 v20, 0
	s_mov_b32 s10, exec_lo
	v_cmpx_ne_u32_e32 0, v21
	s_cbranch_execz .LBB3_180
; %bb.177:                              ;   in Loop: Header=BB3_143 Depth=1
	v_mov_b32_e32 v19, 0
	v_mov_b32_e32 v20, 0
	s_mov_b64 s[0:1], 0
	s_mov_b32 s11, 0
	s_mov_b64 s[2:3], 0
.LBB3_178:                              ;   Parent Loop BB3_143 Depth=1
                                        ; =>  This Inner Loop Header: Depth=2
	s_wait_alu 0xfffe
	v_add_co_u32 v22, vcc_lo, v25, s2
	s_wait_alu 0xfffd
	v_add_co_ci_u32_e32 v23, vcc_lo, s3, v26, vcc_lo
	s_add_nc_u64 s[2:3], s[2:3], 1
	s_wait_alu 0xfffe
	v_cmp_eq_u32_e32 vcc_lo, s2, v21
	flat_load_u8 v9, v[22:23]
	v_mov_b32_e32 v23, s6
	s_or_b32 s11, vcc_lo, s11
	s_wait_loadcnt_dscnt 0x0
	v_and_b32_e32 v22, 0xffff, v9
	s_delay_alu instid0(VALU_DEP_1) | instskip(SKIP_1) | instid1(VALU_DEP_1)
	v_lshlrev_b64_e32 v[22:23], s0, v[22:23]
	s_add_nc_u64 s[0:1], s[0:1], 8
	v_or_b32_e32 v20, v23, v20
	s_delay_alu instid0(VALU_DEP_2)
	v_or_b32_e32 v19, v22, v19
	s_wait_alu 0xfffe
	s_and_not1_b32 exec_lo, exec_lo, s11
	s_cbranch_execnz .LBB3_178
; %bb.179:                              ;   in Loop: Header=BB3_143 Depth=1
	s_or_b32 exec_lo, exec_lo, s11
.LBB3_180:                              ;   in Loop: Header=BB3_143 Depth=1
	s_wait_alu 0xfffe
	s_or_b32 exec_lo, exec_lo, s10
	s_mov_b32 s1, 0
                                        ; implicit-def: $vgpr21
.LBB3_181:                              ;   in Loop: Header=BB3_143 Depth=1
	s_wait_alu 0xfffe
	s_or_saveexec_b32 s0, s7
	v_mov_b32_e32 v9, s1
	s_wait_alu 0xfffe
	s_xor_b32 exec_lo, exec_lo, s0
	s_cbranch_execz .LBB3_183
; %bb.182:                              ;   in Loop: Header=BB3_143 Depth=1
	flat_load_b64 v[19:20], v[25:26]
	v_add_co_u32 v25, vcc_lo, v25, 8
	s_wait_alu 0xfffd
	v_add_co_ci_u32_e32 v26, vcc_lo, 0, v26, vcc_lo
	s_wait_loadcnt_dscnt 0x0
	v_and_b32_e32 v9, 0xff, v20
	v_and_b32_e32 v22, 0xff00, v20
	;; [unrolled: 1-line block ×4, first 2 shown]
	v_or3_b32 v19, v19, 0, 0
	s_delay_alu instid0(VALU_DEP_4) | instskip(SKIP_1) | instid1(VALU_DEP_2)
	v_or_b32_e32 v22, v9, v22
	v_add_nc_u32_e32 v9, -8, v21
	v_or3_b32 v20, v22, v23, v20
.LBB3_183:                              ;   in Loop: Header=BB3_143 Depth=1
	s_or_b32 exec_lo, exec_lo, s0
                                        ; implicit-def: $vgpr21_vgpr22
                                        ; implicit-def: $sgpr1
	s_delay_alu instid0(SALU_CYCLE_1) | instskip(NEXT) | instid1(VALU_DEP_1)
	s_mov_b32 s0, exec_lo
	v_cmpx_gt_u32_e32 8, v9
	s_wait_alu 0xfffe
	s_xor_b32 s7, exec_lo, s0
	s_cbranch_execz .LBB3_189
; %bb.184:                              ;   in Loop: Header=BB3_143 Depth=1
	v_mov_b32_e32 v21, 0
	v_mov_b32_e32 v22, 0
	s_mov_b32 s10, exec_lo
	v_cmpx_ne_u32_e32 0, v9
	s_cbranch_execz .LBB3_188
; %bb.185:                              ;   in Loop: Header=BB3_143 Depth=1
	v_mov_b32_e32 v21, 0
	v_mov_b32_e32 v22, 0
	s_mov_b64 s[0:1], 0
	s_mov_b32 s11, 0
	s_mov_b64 s[2:3], 0
.LBB3_186:                              ;   Parent Loop BB3_143 Depth=1
                                        ; =>  This Inner Loop Header: Depth=2
	s_wait_alu 0xfffe
	v_add_co_u32 v23, vcc_lo, v25, s2
	s_wait_alu 0xfffd
	v_add_co_ci_u32_e32 v24, vcc_lo, s3, v26, vcc_lo
	s_add_nc_u64 s[2:3], s[2:3], 1
	s_wait_alu 0xfffe
	v_cmp_eq_u32_e32 vcc_lo, s2, v9
	flat_load_u8 v23, v[23:24]
	v_mov_b32_e32 v24, s6
	s_or_b32 s11, vcc_lo, s11
	s_wait_loadcnt_dscnt 0x0
	v_and_b32_e32 v23, 0xffff, v23
	s_delay_alu instid0(VALU_DEP_1) | instskip(SKIP_1) | instid1(VALU_DEP_1)
	v_lshlrev_b64_e32 v[23:24], s0, v[23:24]
	s_add_nc_u64 s[0:1], s[0:1], 8
	v_or_b32_e32 v22, v24, v22
	s_delay_alu instid0(VALU_DEP_2)
	v_or_b32_e32 v21, v23, v21
	s_wait_alu 0xfffe
	s_and_not1_b32 exec_lo, exec_lo, s11
	s_cbranch_execnz .LBB3_186
; %bb.187:                              ;   in Loop: Header=BB3_143 Depth=1
	s_or_b32 exec_lo, exec_lo, s11
.LBB3_188:                              ;   in Loop: Header=BB3_143 Depth=1
	s_wait_alu 0xfffe
	s_or_b32 exec_lo, exec_lo, s10
	s_mov_b32 s1, 0
                                        ; implicit-def: $vgpr9
.LBB3_189:                              ;   in Loop: Header=BB3_143 Depth=1
	s_wait_alu 0xfffe
	s_or_saveexec_b32 s0, s7
	v_mov_b32_e32 v27, s1
	s_wait_alu 0xfffe
	s_xor_b32 exec_lo, exec_lo, s0
	s_cbranch_execz .LBB3_191
; %bb.190:                              ;   in Loop: Header=BB3_143 Depth=1
	flat_load_b64 v[21:22], v[25:26]
	v_add_co_u32 v25, vcc_lo, v25, 8
	v_add_nc_u32_e32 v27, -8, v9
	s_wait_alu 0xfffd
	v_add_co_ci_u32_e32 v26, vcc_lo, 0, v26, vcc_lo
	s_wait_loadcnt_dscnt 0x0
	v_and_b32_e32 v23, 0xff, v22
	v_and_b32_e32 v24, 0xff00, v22
	;; [unrolled: 1-line block ×4, first 2 shown]
	v_or3_b32 v21, v21, 0, 0
	s_delay_alu instid0(VALU_DEP_4) | instskip(NEXT) | instid1(VALU_DEP_1)
	v_or_b32_e32 v23, v23, v24
	v_or3_b32 v22, v23, v28, v22
.LBB3_191:                              ;   in Loop: Header=BB3_143 Depth=1
	s_or_b32 exec_lo, exec_lo, s0
	s_delay_alu instid0(SALU_CYCLE_1)
	s_mov_b32 s0, exec_lo
	v_cmpx_gt_u32_e32 8, v27
	s_wait_alu 0xfffe
	s_xor_b32 s1, exec_lo, s0
	s_cbranch_execz .LBB3_197
; %bb.192:                              ;   in Loop: Header=BB3_143 Depth=1
	v_mov_b32_e32 v23, 0
	v_mov_b32_e32 v24, 0
	s_mov_b32 s7, exec_lo
	v_cmpx_ne_u32_e32 0, v27
	s_cbranch_execz .LBB3_196
; %bb.193:                              ;   in Loop: Header=BB3_143 Depth=1
	v_mov_b32_e32 v23, 0
	v_mov_b32_e32 v24, 0
	s_mov_b64 s[2:3], 0
	s_mov_b32 s10, 0
.LBB3_194:                              ;   Parent Loop BB3_143 Depth=1
                                        ; =>  This Inner Loop Header: Depth=2
	flat_load_u8 v9, v[25:26]
	v_dual_mov_b32 v34, s6 :: v_dual_add_nc_u32 v27, -1, v27
	v_add_co_u32 v25, vcc_lo, v25, 1
	s_wait_alu 0xfffd
	v_add_co_ci_u32_e32 v26, vcc_lo, 0, v26, vcc_lo
	s_delay_alu instid0(VALU_DEP_3) | instskip(SKIP_1) | instid1(VALU_DEP_1)
	v_cmp_eq_u32_e64 s0, 0, v27
	s_wait_alu 0xfffe
	s_or_b32 s10, s0, s10
	s_wait_loadcnt_dscnt 0x0
	v_and_b32_e32 v33, 0xffff, v9
	s_delay_alu instid0(VALU_DEP_1) | instskip(SKIP_1) | instid1(VALU_DEP_1)
	v_lshlrev_b64_e32 v[33:34], s2, v[33:34]
	s_add_nc_u64 s[2:3], s[2:3], 8
	v_or_b32_e32 v24, v34, v24
	s_delay_alu instid0(VALU_DEP_2)
	v_or_b32_e32 v23, v33, v23
	s_wait_alu 0xfffe
	s_and_not1_b32 exec_lo, exec_lo, s10
	s_cbranch_execnz .LBB3_194
; %bb.195:                              ;   in Loop: Header=BB3_143 Depth=1
	s_or_b32 exec_lo, exec_lo, s10
.LBB3_196:                              ;   in Loop: Header=BB3_143 Depth=1
	s_wait_alu 0xfffe
	s_or_b32 exec_lo, exec_lo, s7
                                        ; implicit-def: $vgpr25_vgpr26
.LBB3_197:                              ;   in Loop: Header=BB3_143 Depth=1
	s_wait_alu 0xfffe
	s_and_not1_saveexec_b32 s0, s1
	s_cbranch_execz .LBB3_199
; %bb.198:                              ;   in Loop: Header=BB3_143 Depth=1
	flat_load_b64 v[23:24], v[25:26]
	s_wait_loadcnt_dscnt 0x0
	v_and_b32_e32 v9, 0xff, v24
	v_and_b32_e32 v25, 0xff00, v24
	;; [unrolled: 1-line block ×4, first 2 shown]
	v_or3_b32 v23, v23, 0, 0
	s_delay_alu instid0(VALU_DEP_4) | instskip(NEXT) | instid1(VALU_DEP_1)
	v_or_b32_e32 v9, v9, v25
	v_or3_b32 v24, v9, v26, v24
.LBB3_199:                              ;   in Loop: Header=BB3_143 Depth=1
	s_wait_alu 0xfffe
	s_or_b32 exec_lo, exec_lo, s0
	v_readfirstlane_b32 s0, v50
	v_mov_b32_e32 v33, 0
	v_mov_b32_e32 v34, 0
	s_wait_alu 0xf1ff
	s_delay_alu instid0(VALU_DEP_3) | instskip(NEXT) | instid1(VALU_DEP_1)
	v_cmp_eq_u32_e64 s0, s0, v50
	s_and_saveexec_b32 s1, s0
	s_cbranch_execz .LBB3_205
; %bb.200:                              ;   in Loop: Header=BB3_143 Depth=1
	global_load_b64 v[27:28], v10, s[22:23] offset:24 scope:SCOPE_SYS
	s_wait_loadcnt 0x0
	global_inv scope:SCOPE_SYS
	s_clause 0x1
	global_load_b64 v[25:26], v10, s[22:23] offset:40
	global_load_b64 v[33:34], v10, s[22:23]
	s_mov_b32 s2, exec_lo
	s_wait_loadcnt 0x1
	v_and_b32_e32 v9, v26, v28
	v_and_b32_e32 v25, v25, v27
	s_delay_alu instid0(VALU_DEP_2) | instskip(NEXT) | instid1(VALU_DEP_2)
	v_mul_lo_u32 v9, 24, v9
	v_mul_lo_u32 v26, 0, v25
	v_mul_hi_u32 v35, 24, v25
	v_mul_lo_u32 v25, 24, v25
	s_delay_alu instid0(VALU_DEP_3) | instskip(SKIP_1) | instid1(VALU_DEP_2)
	v_add_nc_u32_e32 v9, v9, v26
	s_wait_loadcnt 0x0
	v_add_co_u32 v25, vcc_lo, v33, v25
	s_delay_alu instid0(VALU_DEP_2) | instskip(SKIP_1) | instid1(VALU_DEP_1)
	v_add_nc_u32_e32 v9, v9, v35
	s_wait_alu 0xfffd
	v_add_co_ci_u32_e32 v26, vcc_lo, v34, v9, vcc_lo
	global_load_b64 v[25:26], v[25:26], off scope:SCOPE_SYS
	s_wait_loadcnt 0x0
	global_atomic_cmpswap_b64 v[33:34], v10, v[25:28], s[22:23] offset:24 th:TH_ATOMIC_RETURN scope:SCOPE_SYS
	s_wait_loadcnt 0x0
	global_inv scope:SCOPE_SYS
	v_cmpx_ne_u64_e64 v[33:34], v[27:28]
	s_cbranch_execz .LBB3_204
; %bb.201:                              ;   in Loop: Header=BB3_143 Depth=1
	s_mov_b32 s3, 0
.LBB3_202:                              ;   Parent Loop BB3_143 Depth=1
                                        ; =>  This Inner Loop Header: Depth=2
	s_sleep 1
	s_clause 0x1
	global_load_b64 v[25:26], v10, s[22:23] offset:40
	global_load_b64 v[35:36], v10, s[22:23]
	v_dual_mov_b32 v27, v33 :: v_dual_mov_b32 v28, v34
	s_wait_loadcnt 0x1
	s_delay_alu instid0(VALU_DEP_1) | instskip(NEXT) | instid1(VALU_DEP_2)
	v_and_b32_e32 v9, v25, v27
	v_and_b32_e32 v25, v26, v28
	s_wait_loadcnt 0x0
	s_delay_alu instid0(VALU_DEP_2) | instskip(NEXT) | instid1(VALU_DEP_1)
	v_mad_co_u64_u32 v[33:34], null, v9, 24, v[35:36]
	v_mov_b32_e32 v9, v34
	s_delay_alu instid0(VALU_DEP_1) | instskip(NEXT) | instid1(VALU_DEP_1)
	v_mad_co_u64_u32 v[25:26], null, v25, 24, v[9:10]
	v_mov_b32_e32 v34, v25
	global_load_b64 v[25:26], v[33:34], off scope:SCOPE_SYS
	s_wait_loadcnt 0x0
	global_atomic_cmpswap_b64 v[33:34], v10, v[25:28], s[22:23] offset:24 th:TH_ATOMIC_RETURN scope:SCOPE_SYS
	s_wait_loadcnt 0x0
	global_inv scope:SCOPE_SYS
	v_cmp_eq_u64_e32 vcc_lo, v[33:34], v[27:28]
	s_wait_alu 0xfffe
	s_or_b32 s3, vcc_lo, s3
	s_wait_alu 0xfffe
	s_and_not1_b32 exec_lo, exec_lo, s3
	s_cbranch_execnz .LBB3_202
; %bb.203:                              ;   in Loop: Header=BB3_143 Depth=1
	s_or_b32 exec_lo, exec_lo, s3
.LBB3_204:                              ;   in Loop: Header=BB3_143 Depth=1
	s_wait_alu 0xfffe
	s_or_b32 exec_lo, exec_lo, s2
.LBB3_205:                              ;   in Loop: Header=BB3_143 Depth=1
	s_wait_alu 0xfffe
	s_or_b32 exec_lo, exec_lo, s1
	s_clause 0x1
	global_load_b64 v[35:36], v10, s[22:23] offset:40
	global_load_b128 v[25:28], v10, s[22:23]
	v_readfirstlane_b32 s1, v34
	v_readfirstlane_b32 s2, v33
	s_mov_b32 s3, exec_lo
	s_wait_loadcnt 0x1
	s_wait_alu 0xf1ff
	v_and_b32_e32 v36, s1, v36
	v_and_b32_e32 v35, s2, v35
	s_delay_alu instid0(VALU_DEP_2) | instskip(NEXT) | instid1(VALU_DEP_2)
	v_mul_lo_u32 v9, 24, v36
	v_mul_lo_u32 v33, 0, v35
	v_mul_hi_u32 v34, 24, v35
	v_mul_lo_u32 v51, 24, v35
	s_delay_alu instid0(VALU_DEP_3) | instskip(SKIP_1) | instid1(VALU_DEP_2)
	v_add_nc_u32_e32 v9, v9, v33
	s_wait_loadcnt 0x0
	v_add_co_u32 v33, vcc_lo, v25, v51
	s_delay_alu instid0(VALU_DEP_2) | instskip(SKIP_1) | instid1(VALU_DEP_1)
	v_add_nc_u32_e32 v9, v9, v34
	s_wait_alu 0xfffd
	v_add_co_ci_u32_e32 v34, vcc_lo, v26, v9, vcc_lo
	s_and_saveexec_b32 s7, s0
	s_cbranch_execz .LBB3_207
; %bb.206:                              ;   in Loop: Header=BB3_143 Depth=1
	s_wait_alu 0xfffe
	v_mov_b32_e32 v9, s3
	global_store_b128 v[33:34], v[9:12], off offset:8
.LBB3_207:                              ;   in Loop: Header=BB3_143 Depth=1
	s_wait_alu 0xfffe
	s_or_b32 exec_lo, exec_lo, s7
	v_lshlrev_b64_e32 v[35:36], 12, v[35:36]
	v_cmp_lt_u64_e32 vcc_lo, 56, v[29:30]
	v_or_b32_e32 v9, 2, v0
	v_lshl_add_u32 v51, v31, 2, 28
	s_wait_alu 0xfffd
	s_delay_alu instid0(VALU_DEP_1) | instskip(SKIP_3) | instid1(VALU_DEP_3)
	v_dual_cndmask_b32 v0, v9, v0 :: v_dual_and_b32 v9, 0x1e0, v51
	v_add_co_u32 v27, vcc_lo, v27, v35
	s_wait_alu 0xfffd
	v_add_co_ci_u32_e32 v28, vcc_lo, v28, v36, vcc_lo
	v_and_or_b32 v0, 0xffffff1f, v0, v9
	s_delay_alu instid0(VALU_DEP_3) | instskip(NEXT) | instid1(VALU_DEP_3)
	v_readfirstlane_b32 s10, v27
	v_readfirstlane_b32 s11, v28
	s_clause 0x3
	global_store_b128 v39, v[0:3], s[10:11]
	global_store_b128 v39, v[13:16], s[10:11] offset:16
	global_store_b128 v39, v[17:20], s[10:11] offset:32
	;; [unrolled: 1-line block ×3, first 2 shown]
	s_and_saveexec_b32 s3, s0
	s_cbranch_execz .LBB3_215
; %bb.208:                              ;   in Loop: Header=BB3_143 Depth=1
	s_clause 0x1
	global_load_b64 v[17:18], v10, s[22:23] offset:32 scope:SCOPE_SYS
	global_load_b64 v[0:1], v10, s[22:23] offset:40
	s_mov_b32 s7, exec_lo
	v_dual_mov_b32 v15, s2 :: v_dual_mov_b32 v16, s1
	s_wait_loadcnt 0x0
	v_and_b32_e32 v1, s1, v1
	v_and_b32_e32 v0, s2, v0
	s_delay_alu instid0(VALU_DEP_2) | instskip(NEXT) | instid1(VALU_DEP_2)
	v_mul_lo_u32 v1, 24, v1
	v_mul_lo_u32 v2, 0, v0
	v_mul_hi_u32 v3, 24, v0
	v_mul_lo_u32 v0, 24, v0
	s_delay_alu instid0(VALU_DEP_3) | instskip(NEXT) | instid1(VALU_DEP_2)
	v_add_nc_u32_e32 v1, v1, v2
	v_add_co_u32 v13, vcc_lo, v25, v0
	s_delay_alu instid0(VALU_DEP_2) | instskip(SKIP_1) | instid1(VALU_DEP_1)
	v_add_nc_u32_e32 v1, v1, v3
	s_wait_alu 0xfffd
	v_add_co_ci_u32_e32 v14, vcc_lo, v26, v1, vcc_lo
	global_store_b64 v[13:14], v[17:18], off
	global_wb scope:SCOPE_SYS
	s_wait_storecnt 0x0
	global_atomic_cmpswap_b64 v[2:3], v10, v[15:18], s[22:23] offset:32 th:TH_ATOMIC_RETURN scope:SCOPE_SYS
	s_wait_loadcnt 0x0
	v_cmpx_ne_u64_e64 v[2:3], v[17:18]
	s_cbranch_execz .LBB3_211
; %bb.209:                              ;   in Loop: Header=BB3_143 Depth=1
	s_mov_b32 s10, 0
.LBB3_210:                              ;   Parent Loop BB3_143 Depth=1
                                        ; =>  This Inner Loop Header: Depth=2
	v_dual_mov_b32 v0, s2 :: v_dual_mov_b32 v1, s1
	s_sleep 1
	global_store_b64 v[13:14], v[2:3], off
	global_wb scope:SCOPE_SYS
	s_wait_storecnt 0x0
	global_atomic_cmpswap_b64 v[0:1], v10, v[0:3], s[22:23] offset:32 th:TH_ATOMIC_RETURN scope:SCOPE_SYS
	s_wait_loadcnt 0x0
	v_cmp_eq_u64_e32 vcc_lo, v[0:1], v[2:3]
	v_dual_mov_b32 v3, v1 :: v_dual_mov_b32 v2, v0
	s_wait_alu 0xfffe
	s_or_b32 s10, vcc_lo, s10
	s_wait_alu 0xfffe
	s_and_not1_b32 exec_lo, exec_lo, s10
	s_cbranch_execnz .LBB3_210
.LBB3_211:                              ;   in Loop: Header=BB3_143 Depth=1
	s_wait_alu 0xfffe
	s_or_b32 exec_lo, exec_lo, s7
	global_load_b64 v[0:1], v10, s[22:23] offset:16
	s_mov_b32 s10, exec_lo
	s_mov_b32 s7, exec_lo
	s_wait_alu 0xfffe
	v_mbcnt_lo_u32_b32 v2, s10, 0
	s_delay_alu instid0(VALU_DEP_1)
	v_cmpx_eq_u32_e32 0, v2
	s_cbranch_execz .LBB3_213
; %bb.212:                              ;   in Loop: Header=BB3_143 Depth=1
	s_bcnt1_i32_b32 s10, s10
	s_wait_alu 0xfffe
	v_mov_b32_e32 v9, s10
	global_wb scope:SCOPE_SYS
	s_wait_loadcnt 0x0
	global_atomic_add_u64 v[0:1], v[9:10], off offset:8 scope:SCOPE_SYS
.LBB3_213:                              ;   in Loop: Header=BB3_143 Depth=1
	s_or_b32 exec_lo, exec_lo, s7
	s_wait_loadcnt 0x0
	global_load_b64 v[2:3], v[0:1], off offset:16
	s_wait_loadcnt 0x0
	v_cmp_eq_u64_e32 vcc_lo, 0, v[2:3]
	s_cbranch_vccnz .LBB3_215
; %bb.214:                              ;   in Loop: Header=BB3_143 Depth=1
	global_load_b32 v9, v[0:1], off offset:24
	s_wait_loadcnt 0x0
	v_and_b32_e32 v0, 0xffffff, v9
	global_wb scope:SCOPE_SYS
	s_wait_storecnt 0x0
	global_store_b64 v[2:3], v[9:10], off scope:SCOPE_SYS
	v_readfirstlane_b32 m0, v0
	s_sendmsg sendmsg(MSG_INTERRUPT)
.LBB3_215:                              ;   in Loop: Header=BB3_143 Depth=1
	s_wait_alu 0xfffe
	s_or_b32 exec_lo, exec_lo, s3
	v_add_co_u32 v0, vcc_lo, v27, v39
	s_wait_alu 0xfffd
	v_add_co_ci_u32_e32 v1, vcc_lo, 0, v28, vcc_lo
	s_branch .LBB3_219
.LBB3_216:                              ;   in Loop: Header=BB3_219 Depth=2
	s_wait_alu 0xfffe
	s_or_b32 exec_lo, exec_lo, s3
	s_delay_alu instid0(VALU_DEP_1) | instskip(NEXT) | instid1(VALU_DEP_1)
	v_readfirstlane_b32 s3, v2
	s_cmp_eq_u32 s3, 0
	s_cbranch_scc1 .LBB3_218
; %bb.217:                              ;   in Loop: Header=BB3_219 Depth=2
	s_sleep 1
	s_cbranch_execnz .LBB3_219
	s_branch .LBB3_221
.LBB3_218:                              ;   in Loop: Header=BB3_143 Depth=1
	s_branch .LBB3_221
.LBB3_219:                              ;   Parent Loop BB3_143 Depth=1
                                        ; =>  This Inner Loop Header: Depth=2
	v_mov_b32_e32 v2, 1
	s_and_saveexec_b32 s3, s0
	s_cbranch_execz .LBB3_216
; %bb.220:                              ;   in Loop: Header=BB3_219 Depth=2
	global_load_b32 v2, v[33:34], off offset:20 scope:SCOPE_SYS
	s_wait_loadcnt 0x0
	global_inv scope:SCOPE_SYS
	v_and_b32_e32 v2, 1, v2
	s_branch .LBB3_216
.LBB3_221:                              ;   in Loop: Header=BB3_143 Depth=1
	global_load_b128 v[0:3], v[0:1], off
	s_and_saveexec_b32 s3, s0
	s_cbranch_execz .LBB3_142
; %bb.222:                              ;   in Loop: Header=BB3_143 Depth=1
	s_clause 0x2
	global_load_b64 v[2:3], v10, s[22:23] offset:40
	global_load_b64 v[17:18], v10, s[22:23] offset:24 scope:SCOPE_SYS
	global_load_b64 v[15:16], v10, s[22:23]
	s_wait_loadcnt 0x2
	v_add_co_u32 v9, vcc_lo, v2, 1
	s_wait_alu 0xfffd
	v_add_co_ci_u32_e32 v19, vcc_lo, 0, v3, vcc_lo
	s_delay_alu instid0(VALU_DEP_2) | instskip(SKIP_1) | instid1(VALU_DEP_2)
	v_add_co_u32 v13, vcc_lo, v9, s2
	s_wait_alu 0xfffd
	v_add_co_ci_u32_e32 v14, vcc_lo, s1, v19, vcc_lo
	s_delay_alu instid0(VALU_DEP_1) | instskip(SKIP_2) | instid1(VALU_DEP_1)
	v_cmp_eq_u64_e32 vcc_lo, 0, v[13:14]
	s_wait_alu 0xfffd
	v_dual_cndmask_b32 v14, v14, v19 :: v_dual_cndmask_b32 v13, v13, v9
	v_and_b32_e32 v3, v14, v3
	s_delay_alu instid0(VALU_DEP_2) | instskip(NEXT) | instid1(VALU_DEP_2)
	v_and_b32_e32 v2, v13, v2
	v_mul_lo_u32 v3, 24, v3
	s_delay_alu instid0(VALU_DEP_2) | instskip(SKIP_2) | instid1(VALU_DEP_3)
	v_mul_lo_u32 v9, 0, v2
	v_mul_hi_u32 v19, 24, v2
	v_mul_lo_u32 v2, 24, v2
	v_add_nc_u32_e32 v3, v3, v9
	s_wait_loadcnt 0x0
	s_delay_alu instid0(VALU_DEP_2) | instskip(SKIP_1) | instid1(VALU_DEP_3)
	v_add_co_u32 v2, vcc_lo, v15, v2
	v_mov_b32_e32 v15, v17
	v_add_nc_u32_e32 v3, v3, v19
	s_wait_alu 0xfffd
	s_delay_alu instid0(VALU_DEP_1)
	v_add_co_ci_u32_e32 v3, vcc_lo, v16, v3, vcc_lo
	v_mov_b32_e32 v16, v18
	global_store_b64 v[2:3], v[17:18], off
	global_wb scope:SCOPE_SYS
	s_wait_storecnt 0x0
	global_atomic_cmpswap_b64 v[15:16], v10, v[13:16], s[22:23] offset:24 th:TH_ATOMIC_RETURN scope:SCOPE_SYS
	s_wait_loadcnt 0x0
	v_cmp_ne_u64_e32 vcc_lo, v[15:16], v[17:18]
	s_and_b32 exec_lo, exec_lo, vcc_lo
	s_cbranch_execz .LBB3_142
; %bb.223:                              ;   in Loop: Header=BB3_143 Depth=1
	s_mov_b32 s0, 0
.LBB3_224:                              ;   Parent Loop BB3_143 Depth=1
                                        ; =>  This Inner Loop Header: Depth=2
	s_sleep 1
	global_store_b64 v[2:3], v[15:16], off
	global_wb scope:SCOPE_SYS
	s_wait_storecnt 0x0
	global_atomic_cmpswap_b64 v[17:18], v10, v[13:16], s[22:23] offset:24 th:TH_ATOMIC_RETURN scope:SCOPE_SYS
	s_wait_loadcnt 0x0
	v_cmp_eq_u64_e32 vcc_lo, v[17:18], v[15:16]
	v_dual_mov_b32 v15, v17 :: v_dual_mov_b32 v16, v18
	s_wait_alu 0xfffe
	s_or_b32 s0, vcc_lo, s0
	s_wait_alu 0xfffe
	s_and_not1_b32 exec_lo, exec_lo, s0
	s_cbranch_execnz .LBB3_224
	s_branch .LBB3_142
.LBB3_225:
	s_or_b32 exec_lo, exec_lo, s5
                                        ; implicit-def: $vgpr0_vgpr1
	s_and_not1_saveexec_b32 s1, s4
	s_cbranch_execz .LBB3_253
.LBB3_226:
	v_readfirstlane_b32 s0, v50
	v_mov_b32_e32 v6, 0
	v_mov_b32_e32 v7, 0
	s_wait_alu 0xf1ff
	s_delay_alu instid0(VALU_DEP_3) | instskip(NEXT) | instid1(VALU_DEP_1)
	v_cmp_eq_u32_e64 s0, s0, v50
	s_and_saveexec_b32 s2, s0
	s_cbranch_execz .LBB3_232
; %bb.227:
	s_wait_loadcnt 0x0
	v_mov_b32_e32 v2, 0
	s_mov_b32 s3, exec_lo
	global_load_b64 v[11:12], v2, s[22:23] offset:24 scope:SCOPE_SYS
	s_wait_loadcnt 0x0
	global_inv scope:SCOPE_SYS
	s_clause 0x1
	global_load_b64 v[6:7], v2, s[22:23] offset:40
	global_load_b64 v[9:10], v2, s[22:23]
	s_wait_loadcnt 0x1
	v_and_b32_e32 v3, v7, v12
	v_and_b32_e32 v6, v6, v11
	s_delay_alu instid0(VALU_DEP_2) | instskip(NEXT) | instid1(VALU_DEP_2)
	v_mul_lo_u32 v3, 24, v3
	v_mul_lo_u32 v7, 0, v6
	v_mul_hi_u32 v13, 24, v6
	v_mul_lo_u32 v6, 24, v6
	s_delay_alu instid0(VALU_DEP_3) | instskip(SKIP_1) | instid1(VALU_DEP_2)
	v_add_nc_u32_e32 v3, v3, v7
	s_wait_loadcnt 0x0
	v_add_co_u32 v6, vcc_lo, v9, v6
	s_delay_alu instid0(VALU_DEP_2) | instskip(SKIP_1) | instid1(VALU_DEP_1)
	v_add_nc_u32_e32 v3, v3, v13
	s_wait_alu 0xfffd
	v_add_co_ci_u32_e32 v7, vcc_lo, v10, v3, vcc_lo
	global_load_b64 v[9:10], v[6:7], off scope:SCOPE_SYS
	s_wait_loadcnt 0x0
	global_atomic_cmpswap_b64 v[6:7], v2, v[9:12], s[22:23] offset:24 th:TH_ATOMIC_RETURN scope:SCOPE_SYS
	s_wait_loadcnt 0x0
	global_inv scope:SCOPE_SYS
	v_cmpx_ne_u64_e64 v[6:7], v[11:12]
	s_cbranch_execz .LBB3_231
; %bb.228:
	s_mov_b32 s4, 0
.LBB3_229:                              ; =>This Inner Loop Header: Depth=1
	s_sleep 1
	s_clause 0x1
	global_load_b64 v[9:10], v2, s[22:23] offset:40
	global_load_b64 v[13:14], v2, s[22:23]
	v_dual_mov_b32 v12, v7 :: v_dual_mov_b32 v11, v6
	s_wait_loadcnt 0x1
	s_delay_alu instid0(VALU_DEP_1) | instskip(NEXT) | instid1(VALU_DEP_2)
	v_and_b32_e32 v3, v9, v11
	v_and_b32_e32 v9, v10, v12
	s_wait_loadcnt 0x0
	s_delay_alu instid0(VALU_DEP_2) | instskip(NEXT) | instid1(VALU_DEP_1)
	v_mad_co_u64_u32 v[6:7], null, v3, 24, v[13:14]
	v_mov_b32_e32 v3, v7
	s_delay_alu instid0(VALU_DEP_1) | instskip(NEXT) | instid1(VALU_DEP_1)
	v_mad_co_u64_u32 v[9:10], null, v9, 24, v[3:4]
	v_mov_b32_e32 v7, v9
	global_load_b64 v[9:10], v[6:7], off scope:SCOPE_SYS
	s_wait_loadcnt 0x0
	global_atomic_cmpswap_b64 v[6:7], v2, v[9:12], s[22:23] offset:24 th:TH_ATOMIC_RETURN scope:SCOPE_SYS
	s_wait_loadcnt 0x0
	global_inv scope:SCOPE_SYS
	v_cmp_eq_u64_e32 vcc_lo, v[6:7], v[11:12]
	s_wait_alu 0xfffe
	s_or_b32 s4, vcc_lo, s4
	s_wait_alu 0xfffe
	s_and_not1_b32 exec_lo, exec_lo, s4
	s_cbranch_execnz .LBB3_229
; %bb.230:
	s_or_b32 exec_lo, exec_lo, s4
.LBB3_231:
	s_wait_alu 0xfffe
	s_or_b32 exec_lo, exec_lo, s3
.LBB3_232:
	s_wait_alu 0xfffe
	s_or_b32 exec_lo, exec_lo, s2
	v_readfirstlane_b32 s3, v6
	s_wait_loadcnt 0x0
	v_mov_b32_e32 v2, 0
	v_readfirstlane_b32 s2, v7
	s_mov_b32 s4, exec_lo
	s_clause 0x1
	global_load_b64 v[13:14], v2, s[22:23] offset:40
	global_load_b128 v[9:12], v2, s[22:23]
	s_wait_loadcnt 0x1
	s_wait_alu 0xf1ff
	v_and_b32_e32 v13, s3, v13
	v_and_b32_e32 v14, s2, v14
	s_delay_alu instid0(VALU_DEP_2) | instskip(NEXT) | instid1(VALU_DEP_2)
	v_mul_lo_u32 v6, 0, v13
	v_mul_lo_u32 v3, 24, v14
	v_mul_hi_u32 v7, 24, v13
	v_mul_lo_u32 v15, 24, v13
	s_delay_alu instid0(VALU_DEP_3) | instskip(SKIP_1) | instid1(VALU_DEP_2)
	v_add_nc_u32_e32 v3, v3, v6
	s_wait_loadcnt 0x0
	v_add_co_u32 v6, vcc_lo, v9, v15
	s_delay_alu instid0(VALU_DEP_2) | instskip(SKIP_1) | instid1(VALU_DEP_1)
	v_add_nc_u32_e32 v3, v3, v7
	s_wait_alu 0xfffd
	v_add_co_ci_u32_e32 v7, vcc_lo, v10, v3, vcc_lo
	s_and_saveexec_b32 s5, s0
	s_cbranch_execz .LBB3_234
; %bb.233:
	s_wait_alu 0xfffe
	v_dual_mov_b32 v15, s4 :: v_dual_mov_b32 v16, v2
	v_dual_mov_b32 v17, 2 :: v_dual_mov_b32 v18, 1
	global_store_b128 v[6:7], v[15:18], off offset:8
.LBB3_234:
	s_wait_alu 0xfffe
	s_or_b32 exec_lo, exec_lo, s5
	v_lshlrev_b64_e32 v[13:14], 12, v[13:14]
	s_mov_b32 s4, 0
	v_and_or_b32 v0, 0xffffff1d, v0, 34
	s_wait_alu 0xfffe
	s_mov_b32 s7, s4
	s_mov_b32 s5, s4
	;; [unrolled: 1-line block ×3, first 2 shown]
	v_add_co_u32 v11, vcc_lo, v11, v13
	s_wait_alu 0xfffd
	v_add_co_ci_u32_e32 v12, vcc_lo, v12, v14, vcc_lo
	v_mov_b32_e32 v3, v2
	s_delay_alu instid0(VALU_DEP_3) | instskip(NEXT) | instid1(VALU_DEP_3)
	v_readfirstlane_b32 s10, v11
	v_readfirstlane_b32 s11, v12
	s_wait_alu 0xfffe
	v_dual_mov_b32 v14, s7 :: v_dual_mov_b32 v13, s6
	v_dual_mov_b32 v12, s5 :: v_dual_mov_b32 v11, s4
	s_clause 0x3
	global_store_b128 v39, v[0:3], s[10:11]
	global_store_b128 v39, v[11:14], s[10:11] offset:16
	global_store_b128 v39, v[11:14], s[10:11] offset:32
	global_store_b128 v39, v[11:14], s[10:11] offset:48
	s_and_saveexec_b32 s4, s0
	s_cbranch_execz .LBB3_242
; %bb.235:
	v_mov_b32_e32 v11, 0
	v_mov_b32_e32 v13, s2
	s_mov_b32 s5, exec_lo
	s_clause 0x1
	global_load_b64 v[14:15], v11, s[22:23] offset:32 scope:SCOPE_SYS
	global_load_b64 v[0:1], v11, s[22:23] offset:40
	v_mov_b32_e32 v12, s3
	s_wait_loadcnt 0x0
	v_and_b32_e32 v0, s3, v0
	v_and_b32_e32 v1, s2, v1
	s_delay_alu instid0(VALU_DEP_2) | instskip(NEXT) | instid1(VALU_DEP_2)
	v_mul_lo_u32 v2, 0, v0
	v_mul_lo_u32 v1, 24, v1
	v_mul_hi_u32 v3, 24, v0
	v_mul_lo_u32 v0, 24, v0
	s_delay_alu instid0(VALU_DEP_3) | instskip(NEXT) | instid1(VALU_DEP_2)
	v_add_nc_u32_e32 v1, v1, v2
	v_add_co_u32 v9, vcc_lo, v9, v0
	s_delay_alu instid0(VALU_DEP_2) | instskip(SKIP_1) | instid1(VALU_DEP_1)
	v_add_nc_u32_e32 v1, v1, v3
	s_wait_alu 0xfffd
	v_add_co_ci_u32_e32 v10, vcc_lo, v10, v1, vcc_lo
	global_store_b64 v[9:10], v[14:15], off
	global_wb scope:SCOPE_SYS
	s_wait_storecnt 0x0
	global_atomic_cmpswap_b64 v[2:3], v11, v[12:15], s[22:23] offset:32 th:TH_ATOMIC_RETURN scope:SCOPE_SYS
	s_wait_loadcnt 0x0
	v_cmpx_ne_u64_e64 v[2:3], v[14:15]
	s_cbranch_execz .LBB3_238
; %bb.236:
	s_mov_b32 s6, 0
.LBB3_237:                              ; =>This Inner Loop Header: Depth=1
	v_dual_mov_b32 v0, s3 :: v_dual_mov_b32 v1, s2
	s_sleep 1
	global_store_b64 v[9:10], v[2:3], off
	global_wb scope:SCOPE_SYS
	s_wait_storecnt 0x0
	global_atomic_cmpswap_b64 v[0:1], v11, v[0:3], s[22:23] offset:32 th:TH_ATOMIC_RETURN scope:SCOPE_SYS
	s_wait_loadcnt 0x0
	v_cmp_eq_u64_e32 vcc_lo, v[0:1], v[2:3]
	v_dual_mov_b32 v3, v1 :: v_dual_mov_b32 v2, v0
	s_wait_alu 0xfffe
	s_or_b32 s6, vcc_lo, s6
	s_wait_alu 0xfffe
	s_and_not1_b32 exec_lo, exec_lo, s6
	s_cbranch_execnz .LBB3_237
.LBB3_238:
	s_wait_alu 0xfffe
	s_or_b32 exec_lo, exec_lo, s5
	v_mov_b32_e32 v3, 0
	s_mov_b32 s6, exec_lo
	s_mov_b32 s5, exec_lo
	s_wait_alu 0xfffe
	v_mbcnt_lo_u32_b32 v2, s6, 0
	global_load_b64 v[0:1], v3, s[22:23] offset:16
	v_cmpx_eq_u32_e32 0, v2
	s_cbranch_execz .LBB3_240
; %bb.239:
	s_bcnt1_i32_b32 s6, s6
	s_wait_alu 0xfffe
	v_mov_b32_e32 v2, s6
	global_wb scope:SCOPE_SYS
	s_wait_loadcnt 0x0
	global_atomic_add_u64 v[0:1], v[2:3], off offset:8 scope:SCOPE_SYS
.LBB3_240:
	s_or_b32 exec_lo, exec_lo, s5
	s_wait_loadcnt 0x0
	global_load_b64 v[2:3], v[0:1], off offset:16
	s_wait_loadcnt 0x0
	v_cmp_eq_u64_e32 vcc_lo, 0, v[2:3]
	s_cbranch_vccnz .LBB3_242
; %bb.241:
	global_load_b32 v0, v[0:1], off offset:24
	v_mov_b32_e32 v1, 0
	s_wait_loadcnt 0x0
	v_and_b32_e32 v9, 0xffffff, v0
	global_wb scope:SCOPE_SYS
	s_wait_storecnt 0x0
	global_store_b64 v[2:3], v[0:1], off scope:SCOPE_SYS
	v_readfirstlane_b32 m0, v9
	s_sendmsg sendmsg(MSG_INTERRUPT)
.LBB3_242:
	s_wait_alu 0xfffe
	s_or_b32 exec_lo, exec_lo, s4
	s_branch .LBB3_246
.LBB3_243:                              ;   in Loop: Header=BB3_246 Depth=1
	s_wait_alu 0xfffe
	s_or_b32 exec_lo, exec_lo, s4
	s_delay_alu instid0(VALU_DEP_1) | instskip(NEXT) | instid1(VALU_DEP_1)
	v_readfirstlane_b32 s4, v0
	s_cmp_eq_u32 s4, 0
	s_cbranch_scc1 .LBB3_245
; %bb.244:                              ;   in Loop: Header=BB3_246 Depth=1
	s_sleep 1
	s_cbranch_execnz .LBB3_246
	s_branch .LBB3_248
.LBB3_245:
	s_branch .LBB3_248
.LBB3_246:                              ; =>This Inner Loop Header: Depth=1
	v_mov_b32_e32 v0, 1
	s_and_saveexec_b32 s4, s0
	s_cbranch_execz .LBB3_243
; %bb.247:                              ;   in Loop: Header=BB3_246 Depth=1
	global_load_b32 v0, v[6:7], off offset:20 scope:SCOPE_SYS
	s_wait_loadcnt 0x0
	global_inv scope:SCOPE_SYS
	v_and_b32_e32 v0, 1, v0
	s_branch .LBB3_243
.LBB3_248:
	s_and_saveexec_b32 s4, s0
	s_cbranch_execz .LBB3_252
; %bb.249:
	v_mov_b32_e32 v9, 0
	s_clause 0x2
	global_load_b64 v[2:3], v9, s[22:23] offset:40
	global_load_b64 v[10:11], v9, s[22:23] offset:24 scope:SCOPE_SYS
	global_load_b64 v[6:7], v9, s[22:23]
	s_wait_loadcnt 0x2
	v_add_co_u32 v12, vcc_lo, v2, 1
	s_wait_alu 0xfffd
	v_add_co_ci_u32_e32 v13, vcc_lo, 0, v3, vcc_lo
	s_delay_alu instid0(VALU_DEP_2) | instskip(SKIP_1) | instid1(VALU_DEP_2)
	v_add_co_u32 v0, vcc_lo, v12, s3
	s_wait_alu 0xfffd
	v_add_co_ci_u32_e32 v1, vcc_lo, s2, v13, vcc_lo
	s_delay_alu instid0(VALU_DEP_1) | instskip(SKIP_2) | instid1(VALU_DEP_1)
	v_cmp_eq_u64_e32 vcc_lo, 0, v[0:1]
	s_wait_alu 0xfffd
	v_dual_cndmask_b32 v0, v0, v12 :: v_dual_cndmask_b32 v1, v1, v13
	v_and_b32_e32 v2, v0, v2
	s_delay_alu instid0(VALU_DEP_2) | instskip(NEXT) | instid1(VALU_DEP_2)
	v_and_b32_e32 v3, v1, v3
	v_mul_lo_u32 v12, 0, v2
	v_mul_hi_u32 v13, 24, v2
	v_mul_lo_u32 v2, 24, v2
	s_wait_loadcnt 0x0
	s_delay_alu instid0(VALU_DEP_1) | instskip(SKIP_2) | instid1(VALU_DEP_1)
	v_add_co_u32 v6, vcc_lo, v6, v2
	v_mov_b32_e32 v2, v10
	v_mul_lo_u32 v3, 24, v3
	v_add_nc_u32_e32 v3, v3, v12
	s_delay_alu instid0(VALU_DEP_1) | instskip(SKIP_1) | instid1(VALU_DEP_1)
	v_add_nc_u32_e32 v3, v3, v13
	s_wait_alu 0xfffd
	v_add_co_ci_u32_e32 v7, vcc_lo, v7, v3, vcc_lo
	v_mov_b32_e32 v3, v11
	global_store_b64 v[6:7], v[10:11], off
	global_wb scope:SCOPE_SYS
	s_wait_storecnt 0x0
	global_atomic_cmpswap_b64 v[2:3], v9, v[0:3], s[22:23] offset:24 th:TH_ATOMIC_RETURN scope:SCOPE_SYS
	s_wait_loadcnt 0x0
	v_cmp_ne_u64_e32 vcc_lo, v[2:3], v[10:11]
	s_and_b32 exec_lo, exec_lo, vcc_lo
	s_cbranch_execz .LBB3_252
; %bb.250:
	s_mov_b32 s0, 0
.LBB3_251:                              ; =>This Inner Loop Header: Depth=1
	s_sleep 1
	global_store_b64 v[6:7], v[2:3], off
	global_wb scope:SCOPE_SYS
	s_wait_storecnt 0x0
	global_atomic_cmpswap_b64 v[10:11], v9, v[0:3], s[22:23] offset:24 th:TH_ATOMIC_RETURN scope:SCOPE_SYS
	s_wait_loadcnt 0x0
	v_cmp_eq_u64_e32 vcc_lo, v[10:11], v[2:3]
	v_dual_mov_b32 v2, v10 :: v_dual_mov_b32 v3, v11
	s_wait_alu 0xfffe
	s_or_b32 s0, vcc_lo, s0
	s_wait_alu 0xfffe
	s_and_not1_b32 exec_lo, exec_lo, s0
	s_cbranch_execnz .LBB3_251
.LBB3_252:
	s_wait_alu 0xfffe
	s_or_b32 exec_lo, exec_lo, s4
.LBB3_253:
	s_wait_alu 0xfffe
	s_or_b32 exec_lo, exec_lo, s1
	v_readfirstlane_b32 s0, v50
	v_mov_b32_e32 v6, 0
	v_mov_b32_e32 v7, 0
	s_wait_alu 0xf1ff
	s_delay_alu instid0(VALU_DEP_3) | instskip(NEXT) | instid1(VALU_DEP_1)
	v_cmp_eq_u32_e64 s0, s0, v50
	s_and_saveexec_b32 s1, s0
	s_cbranch_execz .LBB3_259
; %bb.254:
	s_wait_loadcnt 0x0
	v_mov_b32_e32 v0, 0
	s_mov_b32 s2, exec_lo
	global_load_b64 v[11:12], v0, s[22:23] offset:24 scope:SCOPE_SYS
	s_wait_loadcnt 0x0
	global_inv scope:SCOPE_SYS
	s_clause 0x1
	global_load_b64 v[1:2], v0, s[22:23] offset:40
	global_load_b64 v[6:7], v0, s[22:23]
	s_wait_loadcnt 0x1
	v_and_b32_e32 v1, v1, v11
	v_and_b32_e32 v2, v2, v12
	s_delay_alu instid0(VALU_DEP_2) | instskip(NEXT) | instid1(VALU_DEP_2)
	v_mul_lo_u32 v3, 0, v1
	v_mul_lo_u32 v2, 24, v2
	v_mul_hi_u32 v9, 24, v1
	v_mul_lo_u32 v1, 24, v1
	s_delay_alu instid0(VALU_DEP_3) | instskip(SKIP_1) | instid1(VALU_DEP_2)
	v_add_nc_u32_e32 v2, v2, v3
	s_wait_loadcnt 0x0
	v_add_co_u32 v1, vcc_lo, v6, v1
	s_delay_alu instid0(VALU_DEP_2) | instskip(SKIP_1) | instid1(VALU_DEP_1)
	v_add_nc_u32_e32 v2, v2, v9
	s_wait_alu 0xfffd
	v_add_co_ci_u32_e32 v2, vcc_lo, v7, v2, vcc_lo
	global_load_b64 v[9:10], v[1:2], off scope:SCOPE_SYS
	s_wait_loadcnt 0x0
	global_atomic_cmpswap_b64 v[6:7], v0, v[9:12], s[22:23] offset:24 th:TH_ATOMIC_RETURN scope:SCOPE_SYS
	s_wait_loadcnt 0x0
	global_inv scope:SCOPE_SYS
	v_cmpx_ne_u64_e64 v[6:7], v[11:12]
	s_cbranch_execz .LBB3_258
; %bb.255:
	s_mov_b32 s3, 0
.LBB3_256:                              ; =>This Inner Loop Header: Depth=1
	s_sleep 1
	s_clause 0x1
	global_load_b64 v[1:2], v0, s[22:23] offset:40
	global_load_b64 v[9:10], v0, s[22:23]
	v_dual_mov_b32 v12, v7 :: v_dual_mov_b32 v11, v6
	s_wait_loadcnt 0x1
	s_delay_alu instid0(VALU_DEP_1) | instskip(SKIP_1) | instid1(VALU_DEP_1)
	v_and_b32_e32 v1, v1, v11
	s_wait_loadcnt 0x0
	v_mad_co_u64_u32 v[6:7], null, v1, 24, v[9:10]
	s_delay_alu instid0(VALU_DEP_1) | instskip(NEXT) | instid1(VALU_DEP_1)
	v_dual_mov_b32 v1, v7 :: v_dual_and_b32 v2, v2, v12
	v_mad_co_u64_u32 v[1:2], null, v2, 24, v[1:2]
	s_delay_alu instid0(VALU_DEP_1)
	v_mov_b32_e32 v7, v1
	global_load_b64 v[9:10], v[6:7], off scope:SCOPE_SYS
	s_wait_loadcnt 0x0
	global_atomic_cmpswap_b64 v[6:7], v0, v[9:12], s[22:23] offset:24 th:TH_ATOMIC_RETURN scope:SCOPE_SYS
	s_wait_loadcnt 0x0
	global_inv scope:SCOPE_SYS
	v_cmp_eq_u64_e32 vcc_lo, v[6:7], v[11:12]
	s_wait_alu 0xfffe
	s_or_b32 s3, vcc_lo, s3
	s_wait_alu 0xfffe
	s_and_not1_b32 exec_lo, exec_lo, s3
	s_cbranch_execnz .LBB3_256
; %bb.257:
	s_or_b32 exec_lo, exec_lo, s3
.LBB3_258:
	s_wait_alu 0xfffe
	s_or_b32 exec_lo, exec_lo, s2
.LBB3_259:
	s_wait_alu 0xfffe
	s_or_b32 exec_lo, exec_lo, s1
	v_readfirstlane_b32 s2, v6
	s_wait_loadcnt 0x0
	v_mov_b32_e32 v10, 0
	v_readfirstlane_b32 s1, v7
	s_mov_b32 s3, exec_lo
	s_clause 0x1
	global_load_b64 v[11:12], v10, s[22:23] offset:40
	global_load_b128 v[0:3], v10, s[22:23]
	s_wait_loadcnt 0x1
	s_wait_alu 0xf1ff
	v_and_b32_e32 v13, s2, v11
	v_and_b32_e32 v14, s1, v12
	s_delay_alu instid0(VALU_DEP_2) | instskip(NEXT) | instid1(VALU_DEP_2)
	v_mul_lo_u32 v7, 0, v13
	v_mul_lo_u32 v6, 24, v14
	v_mul_hi_u32 v9, 24, v13
	v_mul_lo_u32 v11, 24, v13
	s_delay_alu instid0(VALU_DEP_3) | instskip(NEXT) | instid1(VALU_DEP_1)
	v_add_nc_u32_e32 v6, v6, v7
	v_add_nc_u32_e32 v7, v6, v9
	s_wait_loadcnt 0x0
	s_delay_alu instid0(VALU_DEP_3) | instskip(SKIP_1) | instid1(VALU_DEP_2)
	v_add_co_u32 v6, vcc_lo, v0, v11
	s_wait_alu 0xfffd
	v_add_co_ci_u32_e32 v7, vcc_lo, v1, v7, vcc_lo
	s_and_saveexec_b32 s4, s0
	s_cbranch_execz .LBB3_261
; %bb.260:
	s_wait_alu 0xfffe
	v_dual_mov_b32 v9, s3 :: v_dual_mov_b32 v12, 1
	v_mov_b32_e32 v11, 2
	global_store_b128 v[6:7], v[9:12], off offset:8
.LBB3_261:
	s_wait_alu 0xfffe
	s_or_b32 exec_lo, exec_lo, s4
	v_lshlrev_b64_e32 v[13:14], 12, v[13:14]
	s_mov_b32 s4, 0
	v_dual_mov_b32 v9, 33 :: v_dual_mov_b32 v12, v10
	s_wait_alu 0xfffe
	s_mov_b32 s7, s4
	s_mov_b32 s5, s4
	v_add_co_u32 v2, vcc_lo, v2, v13
	s_wait_alu 0xfffd
	v_add_co_ci_u32_e32 v3, vcc_lo, v3, v14, vcc_lo
	s_mov_b32 s6, s4
	s_delay_alu instid0(VALU_DEP_2)
	v_add_co_u32 v13, vcc_lo, v2, v39
	s_wait_alu 0xfffe
	v_dual_mov_b32 v11, v10 :: v_dual_mov_b32 v18, s7
	v_readfirstlane_b32 s10, v2
	v_readfirstlane_b32 s11, v3
	s_wait_alu 0xfffd
	v_add_co_ci_u32_e32 v14, vcc_lo, 0, v3, vcc_lo
	v_dual_mov_b32 v17, s6 :: v_dual_mov_b32 v16, s5
	v_mov_b32_e32 v15, s4
	s_clause 0x3
	global_store_b128 v39, v[9:12], s[10:11]
	global_store_b128 v39, v[15:18], s[10:11] offset:16
	global_store_b128 v39, v[15:18], s[10:11] offset:32
	global_store_b128 v39, v[15:18], s[10:11] offset:48
	s_and_saveexec_b32 s3, s0
	s_cbranch_execz .LBB3_269
; %bb.262:
	v_mov_b32_e32 v11, 0
	v_mov_b32_e32 v15, s2
	s_mov_b32 s4, exec_lo
	s_clause 0x1
	global_load_b64 v[17:18], v11, s[22:23] offset:32 scope:SCOPE_SYS
	global_load_b64 v[2:3], v11, s[22:23] offset:40
	v_mov_b32_e32 v16, s1
	s_wait_loadcnt 0x0
	v_and_b32_e32 v2, s2, v2
	v_and_b32_e32 v3, s1, v3
	s_delay_alu instid0(VALU_DEP_2) | instskip(NEXT) | instid1(VALU_DEP_2)
	v_mul_lo_u32 v9, 0, v2
	v_mul_lo_u32 v3, 24, v3
	v_mul_hi_u32 v10, 24, v2
	v_mul_lo_u32 v2, 24, v2
	s_delay_alu instid0(VALU_DEP_3) | instskip(NEXT) | instid1(VALU_DEP_2)
	v_add_nc_u32_e32 v3, v3, v9
	v_add_co_u32 v9, vcc_lo, v0, v2
	s_delay_alu instid0(VALU_DEP_2) | instskip(SKIP_1) | instid1(VALU_DEP_1)
	v_add_nc_u32_e32 v3, v3, v10
	s_wait_alu 0xfffd
	v_add_co_ci_u32_e32 v10, vcc_lo, v1, v3, vcc_lo
	global_store_b64 v[9:10], v[17:18], off
	global_wb scope:SCOPE_SYS
	s_wait_storecnt 0x0
	global_atomic_cmpswap_b64 v[2:3], v11, v[15:18], s[22:23] offset:32 th:TH_ATOMIC_RETURN scope:SCOPE_SYS
	s_wait_loadcnt 0x0
	v_cmpx_ne_u64_e64 v[2:3], v[17:18]
	s_cbranch_execz .LBB3_265
; %bb.263:
	s_mov_b32 s5, 0
.LBB3_264:                              ; =>This Inner Loop Header: Depth=1
	v_dual_mov_b32 v0, s2 :: v_dual_mov_b32 v1, s1
	s_sleep 1
	global_store_b64 v[9:10], v[2:3], off
	global_wb scope:SCOPE_SYS
	s_wait_storecnt 0x0
	global_atomic_cmpswap_b64 v[0:1], v11, v[0:3], s[22:23] offset:32 th:TH_ATOMIC_RETURN scope:SCOPE_SYS
	s_wait_loadcnt 0x0
	v_cmp_eq_u64_e32 vcc_lo, v[0:1], v[2:3]
	v_dual_mov_b32 v3, v1 :: v_dual_mov_b32 v2, v0
	s_wait_alu 0xfffe
	s_or_b32 s5, vcc_lo, s5
	s_wait_alu 0xfffe
	s_and_not1_b32 exec_lo, exec_lo, s5
	s_cbranch_execnz .LBB3_264
.LBB3_265:
	s_wait_alu 0xfffe
	s_or_b32 exec_lo, exec_lo, s4
	v_mov_b32_e32 v3, 0
	s_mov_b32 s5, exec_lo
	s_mov_b32 s4, exec_lo
	s_wait_alu 0xfffe
	v_mbcnt_lo_u32_b32 v2, s5, 0
	global_load_b64 v[0:1], v3, s[22:23] offset:16
	v_cmpx_eq_u32_e32 0, v2
	s_cbranch_execz .LBB3_267
; %bb.266:
	s_bcnt1_i32_b32 s5, s5
	s_wait_alu 0xfffe
	v_mov_b32_e32 v2, s5
	global_wb scope:SCOPE_SYS
	s_wait_loadcnt 0x0
	global_atomic_add_u64 v[0:1], v[2:3], off offset:8 scope:SCOPE_SYS
.LBB3_267:
	s_or_b32 exec_lo, exec_lo, s4
	s_wait_loadcnt 0x0
	global_load_b64 v[2:3], v[0:1], off offset:16
	s_wait_loadcnt 0x0
	v_cmp_eq_u64_e32 vcc_lo, 0, v[2:3]
	s_cbranch_vccnz .LBB3_269
; %bb.268:
	global_load_b32 v0, v[0:1], off offset:24
	v_mov_b32_e32 v1, 0
	s_wait_loadcnt 0x0
	v_and_b32_e32 v9, 0xffffff, v0
	global_wb scope:SCOPE_SYS
	s_wait_storecnt 0x0
	global_store_b64 v[2:3], v[0:1], off scope:SCOPE_SYS
	v_readfirstlane_b32 m0, v9
	s_sendmsg sendmsg(MSG_INTERRUPT)
.LBB3_269:
	s_wait_alu 0xfffe
	s_or_b32 exec_lo, exec_lo, s3
	s_branch .LBB3_273
.LBB3_270:                              ;   in Loop: Header=BB3_273 Depth=1
	s_wait_alu 0xfffe
	s_or_b32 exec_lo, exec_lo, s3
	s_delay_alu instid0(VALU_DEP_1) | instskip(NEXT) | instid1(VALU_DEP_1)
	v_readfirstlane_b32 s3, v0
	s_cmp_eq_u32 s3, 0
	s_cbranch_scc1 .LBB3_272
; %bb.271:                              ;   in Loop: Header=BB3_273 Depth=1
	s_sleep 1
	s_cbranch_execnz .LBB3_273
	s_branch .LBB3_275
.LBB3_272:
	s_branch .LBB3_275
.LBB3_273:                              ; =>This Inner Loop Header: Depth=1
	v_mov_b32_e32 v0, 1
	s_and_saveexec_b32 s3, s0
	s_cbranch_execz .LBB3_270
; %bb.274:                              ;   in Loop: Header=BB3_273 Depth=1
	global_load_b32 v0, v[6:7], off offset:20 scope:SCOPE_SYS
	s_wait_loadcnt 0x0
	global_inv scope:SCOPE_SYS
	v_and_b32_e32 v0, 1, v0
	s_branch .LBB3_270
.LBB3_275:
	global_load_b64 v[0:1], v[13:14], off
	s_and_saveexec_b32 s3, s0
	s_cbranch_execz .LBB3_279
; %bb.276:
	v_mov_b32_e32 v6, 0
	s_clause 0x2
	global_load_b64 v[2:3], v6, s[22:23] offset:40
	global_load_b64 v[13:14], v6, s[22:23] offset:24 scope:SCOPE_SYS
	global_load_b64 v[11:12], v6, s[22:23]
	s_wait_loadcnt 0x2
	v_add_co_u32 v7, vcc_lo, v2, 1
	s_wait_alu 0xfffd
	v_add_co_ci_u32_e32 v15, vcc_lo, 0, v3, vcc_lo
	s_delay_alu instid0(VALU_DEP_2) | instskip(SKIP_1) | instid1(VALU_DEP_2)
	v_add_co_u32 v9, vcc_lo, v7, s2
	s_wait_alu 0xfffd
	v_add_co_ci_u32_e32 v10, vcc_lo, s1, v15, vcc_lo
	s_delay_alu instid0(VALU_DEP_1) | instskip(SKIP_3) | instid1(VALU_DEP_2)
	v_cmp_eq_u64_e32 vcc_lo, 0, v[9:10]
	s_wait_alu 0xfffd
	v_cndmask_b32_e32 v9, v9, v7, vcc_lo
	v_cndmask_b32_e32 v10, v10, v15, vcc_lo
	v_and_b32_e32 v2, v9, v2
	s_delay_alu instid0(VALU_DEP_1) | instskip(SKIP_3) | instid1(VALU_DEP_1)
	v_mul_lo_u32 v7, 0, v2
	v_mul_hi_u32 v15, 24, v2
	v_mul_lo_u32 v2, 24, v2
	s_wait_loadcnt 0x0
	v_add_co_u32 v2, vcc_lo, v11, v2
	v_mov_b32_e32 v11, v13
	v_and_b32_e32 v3, v10, v3
	s_delay_alu instid0(VALU_DEP_1) | instskip(NEXT) | instid1(VALU_DEP_1)
	v_mul_lo_u32 v3, 24, v3
	v_add_nc_u32_e32 v3, v3, v7
	s_delay_alu instid0(VALU_DEP_1) | instskip(SKIP_1) | instid1(VALU_DEP_1)
	v_add_nc_u32_e32 v3, v3, v15
	s_wait_alu 0xfffd
	v_add_co_ci_u32_e32 v3, vcc_lo, v12, v3, vcc_lo
	v_mov_b32_e32 v12, v14
	global_store_b64 v[2:3], v[13:14], off
	global_wb scope:SCOPE_SYS
	s_wait_storecnt 0x0
	global_atomic_cmpswap_b64 v[11:12], v6, v[9:12], s[22:23] offset:24 th:TH_ATOMIC_RETURN scope:SCOPE_SYS
	s_wait_loadcnt 0x0
	v_cmp_ne_u64_e32 vcc_lo, v[11:12], v[13:14]
	s_and_b32 exec_lo, exec_lo, vcc_lo
	s_cbranch_execz .LBB3_279
; %bb.277:
	s_mov_b32 s0, 0
.LBB3_278:                              ; =>This Inner Loop Header: Depth=1
	s_sleep 1
	global_store_b64 v[2:3], v[11:12], off
	global_wb scope:SCOPE_SYS
	s_wait_storecnt 0x0
	global_atomic_cmpswap_b64 v[13:14], v6, v[9:12], s[22:23] offset:24 th:TH_ATOMIC_RETURN scope:SCOPE_SYS
	s_wait_loadcnt 0x0
	v_cmp_eq_u64_e32 vcc_lo, v[13:14], v[11:12]
	v_dual_mov_b32 v11, v13 :: v_dual_mov_b32 v12, v14
	s_wait_alu 0xfffe
	s_or_b32 s0, vcc_lo, s0
	s_wait_alu 0xfffe
	s_and_not1_b32 exec_lo, exec_lo, s0
	s_cbranch_execnz .LBB3_278
.LBB3_279:
	s_wait_alu 0xfffe
	s_or_b32 exec_lo, exec_lo, s3
	s_getpc_b64 s[2:3]
	s_wait_alu 0xfffe
	s_sext_i32_i16 s3, s3
	s_add_co_u32 s2, s2, .str.8@rel32@lo+12
	s_wait_alu 0xfffe
	s_add_co_ci_u32 s3, s3, .str.8@rel32@hi+24
	s_wait_alu 0xfffe
	s_cmp_lg_u64 s[2:3], 0
	s_cselect_b32 s26, -1, 0
	s_wait_alu 0xfffe
	s_and_b32 vcc_lo, exec_lo, s26
	s_wait_alu 0xfffe
	s_cbranch_vccz .LBB3_358
; %bb.280:
	s_wait_loadcnt 0x0
	v_dual_mov_b32 v13, 0 :: v_dual_and_b32 v36, 2, v0
	v_dual_mov_b32 v10, v1 :: v_dual_and_b32 v9, -3, v0
	v_dual_mov_b32 v14, 2 :: v_dual_mov_b32 v15, 1
	s_mov_b64 s[4:5], 3
	s_branch .LBB3_282
.LBB3_281:                              ;   in Loop: Header=BB3_282 Depth=1
	s_wait_alu 0xfffe
	s_or_b32 exec_lo, exec_lo, s11
	s_sub_nc_u64 s[4:5], s[4:5], s[6:7]
	s_add_nc_u64 s[2:3], s[2:3], s[6:7]
	s_wait_alu 0xfffe
	s_cmp_lg_u64 s[4:5], 0
	s_cbranch_scc0 .LBB3_357
.LBB3_282:                              ; =>This Loop Header: Depth=1
                                        ;     Child Loop BB3_291 Depth 2
                                        ;     Child Loop BB3_287 Depth 2
	;; [unrolled: 1-line block ×11, first 2 shown]
	s_wait_alu 0xfffe
	v_cmp_lt_u64_e64 s0, s[4:5], 56
	v_cmp_gt_u64_e64 s1, s[4:5], 7
                                        ; implicit-def: $vgpr18_vgpr19
                                        ; implicit-def: $sgpr18
	s_delay_alu instid0(VALU_DEP_2) | instskip(SKIP_2) | instid1(VALU_DEP_1)
	s_and_b32 s0, s0, exec_lo
	s_cselect_b32 s7, s5, 0
	s_cselect_b32 s6, s4, 56
	s_and_b32 vcc_lo, exec_lo, s1
	s_mov_b32 s0, -1
	s_wait_alu 0xfffe
	s_cbranch_vccz .LBB3_289
; %bb.283:                              ;   in Loop: Header=BB3_282 Depth=1
	s_and_not1_b32 vcc_lo, exec_lo, s0
	s_mov_b64 s[0:1], s[2:3]
	s_wait_alu 0xfffe
	s_cbranch_vccz .LBB3_293
.LBB3_284:                              ;   in Loop: Header=BB3_282 Depth=1
	s_wait_alu 0xfffe
	s_cmp_gt_u32 s18, 7
	s_cbranch_scc1 .LBB3_294
.LBB3_285:                              ;   in Loop: Header=BB3_282 Depth=1
	v_mov_b32_e32 v20, 0
	v_mov_b32_e32 v21, 0
	s_cmp_eq_u32 s18, 0
	s_cbranch_scc1 .LBB3_288
; %bb.286:                              ;   in Loop: Header=BB3_282 Depth=1
	s_mov_b64 s[10:11], 0
	s_mov_b64 s[16:17], 0
.LBB3_287:                              ;   Parent Loop BB3_282 Depth=1
                                        ; =>  This Inner Loop Header: Depth=2
	s_wait_alu 0xfffe
	s_add_nc_u64 s[20:21], s[0:1], s[16:17]
	s_add_nc_u64 s[16:17], s[16:17], 1
	global_load_u8 v2, v13, s[20:21]
	s_wait_alu 0xfffe
	s_cmp_lg_u32 s18, s16
	s_wait_loadcnt 0x0
	v_and_b32_e32 v12, 0xffff, v2
	s_delay_alu instid0(VALU_DEP_1) | instskip(SKIP_1) | instid1(VALU_DEP_1)
	v_lshlrev_b64_e32 v[2:3], s10, v[12:13]
	s_add_nc_u64 s[10:11], s[10:11], 8
	v_or_b32_e32 v20, v2, v20
	s_delay_alu instid0(VALU_DEP_2)
	v_or_b32_e32 v21, v3, v21
	s_cbranch_scc1 .LBB3_287
.LBB3_288:                              ;   in Loop: Header=BB3_282 Depth=1
	s_mov_b32 s19, 0
	s_cbranch_execz .LBB3_295
	s_branch .LBB3_296
.LBB3_289:                              ;   in Loop: Header=BB3_282 Depth=1
	v_mov_b32_e32 v18, 0
	v_mov_b32_e32 v19, 0
	s_cmp_eq_u64 s[4:5], 0
	s_mov_b64 s[0:1], 0
	s_cbranch_scc1 .LBB3_292
; %bb.290:                              ;   in Loop: Header=BB3_282 Depth=1
	v_mov_b32_e32 v18, 0
	v_mov_b32_e32 v19, 0
	s_mov_b64 s[10:11], 0
.LBB3_291:                              ;   Parent Loop BB3_282 Depth=1
                                        ; =>  This Inner Loop Header: Depth=2
	s_wait_alu 0xfffe
	s_add_nc_u64 s[16:17], s[2:3], s[10:11]
	s_add_nc_u64 s[10:11], s[10:11], 1
	global_load_u8 v2, v13, s[16:17]
	s_wait_alu 0xfffe
	s_cmp_lg_u32 s6, s10
	s_wait_loadcnt 0x0
	v_and_b32_e32 v12, 0xffff, v2
	s_delay_alu instid0(VALU_DEP_1) | instskip(SKIP_1) | instid1(VALU_DEP_1)
	v_lshlrev_b64_e32 v[2:3], s0, v[12:13]
	s_add_nc_u64 s[0:1], s[0:1], 8
	v_or_b32_e32 v18, v2, v18
	s_delay_alu instid0(VALU_DEP_2)
	v_or_b32_e32 v19, v3, v19
	s_cbranch_scc1 .LBB3_291
.LBB3_292:                              ;   in Loop: Header=BB3_282 Depth=1
	s_mov_b32 s18, 0
	s_mov_b64 s[0:1], s[2:3]
	s_cbranch_execnz .LBB3_284
.LBB3_293:                              ;   in Loop: Header=BB3_282 Depth=1
	global_load_b64 v[18:19], v13, s[2:3]
	s_add_co_i32 s18, s6, -8
	s_add_nc_u64 s[0:1], s[2:3], 8
	s_wait_alu 0xfffe
	s_cmp_gt_u32 s18, 7
	s_cbranch_scc0 .LBB3_285
.LBB3_294:                              ;   in Loop: Header=BB3_282 Depth=1
                                        ; implicit-def: $vgpr20_vgpr21
                                        ; implicit-def: $sgpr19
.LBB3_295:                              ;   in Loop: Header=BB3_282 Depth=1
	global_load_b64 v[20:21], v13, s[0:1]
	s_add_co_i32 s19, s18, -8
	s_add_nc_u64 s[0:1], s[0:1], 8
.LBB3_296:                              ;   in Loop: Header=BB3_282 Depth=1
	s_wait_alu 0xfffe
	s_cmp_gt_u32 s19, 7
	s_cbranch_scc1 .LBB3_301
; %bb.297:                              ;   in Loop: Header=BB3_282 Depth=1
	v_mov_b32_e32 v22, 0
	v_mov_b32_e32 v23, 0
	s_cmp_eq_u32 s19, 0
	s_cbranch_scc1 .LBB3_300
; %bb.298:                              ;   in Loop: Header=BB3_282 Depth=1
	s_mov_b64 s[10:11], 0
	s_mov_b64 s[16:17], 0
.LBB3_299:                              ;   Parent Loop BB3_282 Depth=1
                                        ; =>  This Inner Loop Header: Depth=2
	s_wait_alu 0xfffe
	s_add_nc_u64 s[20:21], s[0:1], s[16:17]
	s_add_nc_u64 s[16:17], s[16:17], 1
	global_load_u8 v2, v13, s[20:21]
	s_wait_alu 0xfffe
	s_cmp_lg_u32 s19, s16
	s_wait_loadcnt 0x0
	v_and_b32_e32 v12, 0xffff, v2
	s_delay_alu instid0(VALU_DEP_1) | instskip(SKIP_1) | instid1(VALU_DEP_1)
	v_lshlrev_b64_e32 v[2:3], s10, v[12:13]
	s_add_nc_u64 s[10:11], s[10:11], 8
	v_or_b32_e32 v22, v2, v22
	s_delay_alu instid0(VALU_DEP_2)
	v_or_b32_e32 v23, v3, v23
	s_cbranch_scc1 .LBB3_299
.LBB3_300:                              ;   in Loop: Header=BB3_282 Depth=1
	s_mov_b32 s18, 0
	s_cbranch_execz .LBB3_302
	s_branch .LBB3_303
.LBB3_301:                              ;   in Loop: Header=BB3_282 Depth=1
                                        ; implicit-def: $sgpr18
.LBB3_302:                              ;   in Loop: Header=BB3_282 Depth=1
	global_load_b64 v[22:23], v13, s[0:1]
	s_add_co_i32 s18, s19, -8
	s_add_nc_u64 s[0:1], s[0:1], 8
.LBB3_303:                              ;   in Loop: Header=BB3_282 Depth=1
	s_wait_alu 0xfffe
	s_cmp_gt_u32 s18, 7
	s_cbranch_scc1 .LBB3_308
; %bb.304:                              ;   in Loop: Header=BB3_282 Depth=1
	v_mov_b32_e32 v24, 0
	v_mov_b32_e32 v25, 0
	s_cmp_eq_u32 s18, 0
	s_cbranch_scc1 .LBB3_307
; %bb.305:                              ;   in Loop: Header=BB3_282 Depth=1
	s_mov_b64 s[10:11], 0
	s_mov_b64 s[16:17], 0
.LBB3_306:                              ;   Parent Loop BB3_282 Depth=1
                                        ; =>  This Inner Loop Header: Depth=2
	s_wait_alu 0xfffe
	s_add_nc_u64 s[20:21], s[0:1], s[16:17]
	s_add_nc_u64 s[16:17], s[16:17], 1
	global_load_u8 v2, v13, s[20:21]
	s_wait_alu 0xfffe
	s_cmp_lg_u32 s18, s16
	s_wait_loadcnt 0x0
	v_and_b32_e32 v12, 0xffff, v2
	s_delay_alu instid0(VALU_DEP_1) | instskip(SKIP_1) | instid1(VALU_DEP_1)
	v_lshlrev_b64_e32 v[2:3], s10, v[12:13]
	s_add_nc_u64 s[10:11], s[10:11], 8
	v_or_b32_e32 v24, v2, v24
	s_delay_alu instid0(VALU_DEP_2)
	v_or_b32_e32 v25, v3, v25
	s_cbranch_scc1 .LBB3_306
.LBB3_307:                              ;   in Loop: Header=BB3_282 Depth=1
	s_mov_b32 s19, 0
	s_cbranch_execz .LBB3_309
	s_branch .LBB3_310
.LBB3_308:                              ;   in Loop: Header=BB3_282 Depth=1
                                        ; implicit-def: $vgpr24_vgpr25
                                        ; implicit-def: $sgpr19
.LBB3_309:                              ;   in Loop: Header=BB3_282 Depth=1
	global_load_b64 v[24:25], v13, s[0:1]
	s_add_co_i32 s19, s18, -8
	s_add_nc_u64 s[0:1], s[0:1], 8
.LBB3_310:                              ;   in Loop: Header=BB3_282 Depth=1
	s_wait_alu 0xfffe
	s_cmp_gt_u32 s19, 7
	s_cbranch_scc1 .LBB3_315
; %bb.311:                              ;   in Loop: Header=BB3_282 Depth=1
	v_mov_b32_e32 v26, 0
	v_mov_b32_e32 v27, 0
	s_cmp_eq_u32 s19, 0
	s_cbranch_scc1 .LBB3_314
; %bb.312:                              ;   in Loop: Header=BB3_282 Depth=1
	s_mov_b64 s[10:11], 0
	s_mov_b64 s[16:17], 0
.LBB3_313:                              ;   Parent Loop BB3_282 Depth=1
                                        ; =>  This Inner Loop Header: Depth=2
	s_wait_alu 0xfffe
	s_add_nc_u64 s[20:21], s[0:1], s[16:17]
	s_add_nc_u64 s[16:17], s[16:17], 1
	global_load_u8 v2, v13, s[20:21]
	s_wait_alu 0xfffe
	s_cmp_lg_u32 s19, s16
	s_wait_loadcnt 0x0
	v_and_b32_e32 v12, 0xffff, v2
	s_delay_alu instid0(VALU_DEP_1) | instskip(SKIP_1) | instid1(VALU_DEP_1)
	v_lshlrev_b64_e32 v[2:3], s10, v[12:13]
	s_add_nc_u64 s[10:11], s[10:11], 8
	v_or_b32_e32 v26, v2, v26
	s_delay_alu instid0(VALU_DEP_2)
	v_or_b32_e32 v27, v3, v27
	s_cbranch_scc1 .LBB3_313
.LBB3_314:                              ;   in Loop: Header=BB3_282 Depth=1
	s_mov_b32 s18, 0
	s_cbranch_execz .LBB3_316
	s_branch .LBB3_317
.LBB3_315:                              ;   in Loop: Header=BB3_282 Depth=1
                                        ; implicit-def: $sgpr18
.LBB3_316:                              ;   in Loop: Header=BB3_282 Depth=1
	global_load_b64 v[26:27], v13, s[0:1]
	s_add_co_i32 s18, s19, -8
	s_add_nc_u64 s[0:1], s[0:1], 8
.LBB3_317:                              ;   in Loop: Header=BB3_282 Depth=1
	s_wait_alu 0xfffe
	s_cmp_gt_u32 s18, 7
	s_cbranch_scc1 .LBB3_322
; %bb.318:                              ;   in Loop: Header=BB3_282 Depth=1
	v_mov_b32_e32 v28, 0
	v_mov_b32_e32 v29, 0
	s_cmp_eq_u32 s18, 0
	s_cbranch_scc1 .LBB3_321
; %bb.319:                              ;   in Loop: Header=BB3_282 Depth=1
	s_mov_b64 s[10:11], 0
	s_mov_b64 s[16:17], 0
.LBB3_320:                              ;   Parent Loop BB3_282 Depth=1
                                        ; =>  This Inner Loop Header: Depth=2
	s_wait_alu 0xfffe
	s_add_nc_u64 s[20:21], s[0:1], s[16:17]
	s_add_nc_u64 s[16:17], s[16:17], 1
	global_load_u8 v2, v13, s[20:21]
	s_wait_alu 0xfffe
	s_cmp_lg_u32 s18, s16
	s_wait_loadcnt 0x0
	v_and_b32_e32 v12, 0xffff, v2
	s_delay_alu instid0(VALU_DEP_1) | instskip(SKIP_1) | instid1(VALU_DEP_1)
	v_lshlrev_b64_e32 v[2:3], s10, v[12:13]
	s_add_nc_u64 s[10:11], s[10:11], 8
	v_or_b32_e32 v28, v2, v28
	s_delay_alu instid0(VALU_DEP_2)
	v_or_b32_e32 v29, v3, v29
	s_cbranch_scc1 .LBB3_320
.LBB3_321:                              ;   in Loop: Header=BB3_282 Depth=1
	s_mov_b32 s19, 0
	s_cbranch_execz .LBB3_323
	s_branch .LBB3_324
.LBB3_322:                              ;   in Loop: Header=BB3_282 Depth=1
                                        ; implicit-def: $vgpr28_vgpr29
                                        ; implicit-def: $sgpr19
.LBB3_323:                              ;   in Loop: Header=BB3_282 Depth=1
	global_load_b64 v[28:29], v13, s[0:1]
	s_add_co_i32 s19, s18, -8
	s_add_nc_u64 s[0:1], s[0:1], 8
.LBB3_324:                              ;   in Loop: Header=BB3_282 Depth=1
	s_wait_alu 0xfffe
	s_cmp_gt_u32 s19, 7
	s_cbranch_scc1 .LBB3_329
; %bb.325:                              ;   in Loop: Header=BB3_282 Depth=1
	v_mov_b32_e32 v30, 0
	v_mov_b32_e32 v31, 0
	s_cmp_eq_u32 s19, 0
	s_cbranch_scc1 .LBB3_328
; %bb.326:                              ;   in Loop: Header=BB3_282 Depth=1
	s_mov_b64 s[10:11], 0
	s_mov_b64 s[16:17], s[0:1]
.LBB3_327:                              ;   Parent Loop BB3_282 Depth=1
                                        ; =>  This Inner Loop Header: Depth=2
	global_load_u8 v2, v13, s[16:17]
	s_add_co_i32 s19, s19, -1
	s_wait_alu 0xfffe
	s_add_nc_u64 s[16:17], s[16:17], 1
	s_cmp_lg_u32 s19, 0
	s_wait_loadcnt 0x0
	v_and_b32_e32 v12, 0xffff, v2
	s_delay_alu instid0(VALU_DEP_1) | instskip(SKIP_1) | instid1(VALU_DEP_1)
	v_lshlrev_b64_e32 v[2:3], s10, v[12:13]
	s_add_nc_u64 s[10:11], s[10:11], 8
	v_or_b32_e32 v30, v2, v30
	s_delay_alu instid0(VALU_DEP_2)
	v_or_b32_e32 v31, v3, v31
	s_cbranch_scc1 .LBB3_327
.LBB3_328:                              ;   in Loop: Header=BB3_282 Depth=1
	s_cbranch_execz .LBB3_330
	s_branch .LBB3_331
.LBB3_329:                              ;   in Loop: Header=BB3_282 Depth=1
.LBB3_330:                              ;   in Loop: Header=BB3_282 Depth=1
	global_load_b64 v[30:31], v13, s[0:1]
.LBB3_331:                              ;   in Loop: Header=BB3_282 Depth=1
	v_readfirstlane_b32 s0, v50
	v_mov_b32_e32 v2, 0
	v_mov_b32_e32 v3, 0
	s_wait_alu 0xf1ff
	s_delay_alu instid0(VALU_DEP_3) | instskip(NEXT) | instid1(VALU_DEP_1)
	v_cmp_eq_u32_e64 s0, s0, v50
	s_and_saveexec_b32 s1, s0
	s_cbranch_execz .LBB3_337
; %bb.332:                              ;   in Loop: Header=BB3_282 Depth=1
	global_load_b64 v[34:35], v13, s[22:23] offset:24 scope:SCOPE_SYS
	s_wait_loadcnt 0x0
	global_inv scope:SCOPE_SYS
	s_clause 0x1
	global_load_b64 v[2:3], v13, s[22:23] offset:40
	global_load_b64 v[6:7], v13, s[22:23]
	s_mov_b32 s10, exec_lo
	s_wait_loadcnt 0x1
	v_and_b32_e32 v3, v3, v35
	v_and_b32_e32 v2, v2, v34
	s_delay_alu instid0(VALU_DEP_2) | instskip(NEXT) | instid1(VALU_DEP_2)
	v_mul_lo_u32 v3, 24, v3
	v_mul_lo_u32 v11, 0, v2
	v_mul_hi_u32 v12, 24, v2
	v_mul_lo_u32 v2, 24, v2
	s_delay_alu instid0(VALU_DEP_3) | instskip(SKIP_1) | instid1(VALU_DEP_2)
	v_add_nc_u32_e32 v3, v3, v11
	s_wait_loadcnt 0x0
	v_add_co_u32 v2, vcc_lo, v6, v2
	s_delay_alu instid0(VALU_DEP_2) | instskip(SKIP_1) | instid1(VALU_DEP_1)
	v_add_nc_u32_e32 v3, v3, v12
	s_wait_alu 0xfffd
	v_add_co_ci_u32_e32 v3, vcc_lo, v7, v3, vcc_lo
	global_load_b64 v[32:33], v[2:3], off scope:SCOPE_SYS
	s_wait_loadcnt 0x0
	global_atomic_cmpswap_b64 v[2:3], v13, v[32:35], s[22:23] offset:24 th:TH_ATOMIC_RETURN scope:SCOPE_SYS
	s_wait_loadcnt 0x0
	global_inv scope:SCOPE_SYS
	v_cmpx_ne_u64_e64 v[2:3], v[34:35]
	s_cbranch_execz .LBB3_336
; %bb.333:                              ;   in Loop: Header=BB3_282 Depth=1
	s_mov_b32 s11, 0
.LBB3_334:                              ;   Parent Loop BB3_282 Depth=1
                                        ; =>  This Inner Loop Header: Depth=2
	s_sleep 1
	s_clause 0x1
	global_load_b64 v[6:7], v13, s[22:23] offset:40
	global_load_b64 v[11:12], v13, s[22:23]
	v_dual_mov_b32 v35, v3 :: v_dual_mov_b32 v34, v2
	s_wait_loadcnt 0x1
	s_delay_alu instid0(VALU_DEP_1) | instskip(NEXT) | instid1(VALU_DEP_2)
	v_and_b32_e32 v2, v6, v34
	v_and_b32_e32 v6, v7, v35
	s_wait_loadcnt 0x0
	s_delay_alu instid0(VALU_DEP_2) | instskip(NEXT) | instid1(VALU_DEP_1)
	v_mad_co_u64_u32 v[2:3], null, v2, 24, v[11:12]
	v_mad_co_u64_u32 v[6:7], null, v6, 24, v[3:4]
	s_delay_alu instid0(VALU_DEP_1)
	v_mov_b32_e32 v3, v6
	global_load_b64 v[32:33], v[2:3], off scope:SCOPE_SYS
	s_wait_loadcnt 0x0
	global_atomic_cmpswap_b64 v[2:3], v13, v[32:35], s[22:23] offset:24 th:TH_ATOMIC_RETURN scope:SCOPE_SYS
	s_wait_loadcnt 0x0
	global_inv scope:SCOPE_SYS
	v_cmp_eq_u64_e32 vcc_lo, v[2:3], v[34:35]
	s_wait_alu 0xfffe
	s_or_b32 s11, vcc_lo, s11
	s_wait_alu 0xfffe
	s_and_not1_b32 exec_lo, exec_lo, s11
	s_cbranch_execnz .LBB3_334
; %bb.335:                              ;   in Loop: Header=BB3_282 Depth=1
	s_or_b32 exec_lo, exec_lo, s11
.LBB3_336:                              ;   in Loop: Header=BB3_282 Depth=1
	s_wait_alu 0xfffe
	s_or_b32 exec_lo, exec_lo, s10
.LBB3_337:                              ;   in Loop: Header=BB3_282 Depth=1
	s_wait_alu 0xfffe
	s_or_b32 exec_lo, exec_lo, s1
	s_clause 0x1
	global_load_b64 v[6:7], v13, s[22:23] offset:40
	global_load_b128 v[32:35], v13, s[22:23]
	v_readfirstlane_b32 s1, v3
	v_readfirstlane_b32 s10, v2
	s_mov_b32 s11, exec_lo
	s_wait_loadcnt 0x1
	s_wait_alu 0xf1ff
	v_and_b32_e32 v7, s1, v7
	v_and_b32_e32 v6, s10, v6
	s_delay_alu instid0(VALU_DEP_2) | instskip(NEXT) | instid1(VALU_DEP_2)
	v_mul_lo_u32 v2, 24, v7
	v_mul_lo_u32 v3, 0, v6
	v_mul_hi_u32 v11, 24, v6
	v_mul_lo_u32 v12, 24, v6
	s_delay_alu instid0(VALU_DEP_3) | instskip(NEXT) | instid1(VALU_DEP_1)
	v_add_nc_u32_e32 v2, v2, v3
	v_add_nc_u32_e32 v3, v2, v11
	s_wait_loadcnt 0x0
	s_delay_alu instid0(VALU_DEP_3) | instskip(SKIP_1) | instid1(VALU_DEP_2)
	v_add_co_u32 v2, vcc_lo, v32, v12
	s_wait_alu 0xfffd
	v_add_co_ci_u32_e32 v3, vcc_lo, v33, v3, vcc_lo
	s_and_saveexec_b32 s16, s0
	s_cbranch_execz .LBB3_339
; %bb.338:                              ;   in Loop: Header=BB3_282 Depth=1
	s_wait_alu 0xfffe
	v_mov_b32_e32 v12, s11
	global_store_b128 v[2:3], v[12:15], off offset:8
.LBB3_339:                              ;   in Loop: Header=BB3_282 Depth=1
	s_wait_alu 0xfffe
	s_or_b32 exec_lo, exec_lo, s16
	v_cmp_gt_u64_e64 vcc_lo, s[4:5], 56
	v_lshlrev_b64_e32 v[6:7], 12, v[6:7]
	v_or_b32_e32 v11, 0, v10
	v_or_b32_e32 v12, v9, v36
	s_lshl_b32 s11, s6, 2
	s_wait_alu 0xfffe
	s_add_co_i32 s11, s11, 28
	s_wait_alu 0xfffd
	v_cndmask_b32_e32 v17, v11, v10, vcc_lo
	v_cndmask_b32_e32 v9, v12, v9, vcc_lo
	v_add_co_u32 v34, vcc_lo, v34, v6
	s_wait_alu 0xfffd
	v_add_co_ci_u32_e32 v35, vcc_lo, v35, v7, vcc_lo
	s_wait_alu 0xfffe
	s_and_b32 s11, s11, 0x1e0
	v_readfirstlane_b32 s16, v34
	s_wait_alu 0xfffe
	v_and_or_b32 v16, 0xffffff1f, v9, s11
	v_readfirstlane_b32 s17, v35
	s_clause 0x3
	global_store_b128 v39, v[16:19], s[16:17]
	global_store_b128 v39, v[20:23], s[16:17] offset:16
	global_store_b128 v39, v[24:27], s[16:17] offset:32
	;; [unrolled: 1-line block ×3, first 2 shown]
	s_and_saveexec_b32 s11, s0
	s_cbranch_execz .LBB3_347
; %bb.340:                              ;   in Loop: Header=BB3_282 Depth=1
	s_clause 0x1
	global_load_b64 v[18:19], v13, s[22:23] offset:32 scope:SCOPE_SYS
	global_load_b64 v[6:7], v13, s[22:23] offset:40
	s_mov_b32 s16, exec_lo
	v_dual_mov_b32 v16, s10 :: v_dual_mov_b32 v17, s1
	s_wait_loadcnt 0x0
	v_and_b32_e32 v7, s1, v7
	v_and_b32_e32 v6, s10, v6
	s_delay_alu instid0(VALU_DEP_2) | instskip(NEXT) | instid1(VALU_DEP_2)
	v_mul_lo_u32 v7, 24, v7
	v_mul_lo_u32 v9, 0, v6
	v_mul_hi_u32 v10, 24, v6
	v_mul_lo_u32 v6, 24, v6
	s_delay_alu instid0(VALU_DEP_3) | instskip(NEXT) | instid1(VALU_DEP_2)
	v_add_nc_u32_e32 v7, v7, v9
	v_add_co_u32 v6, vcc_lo, v32, v6
	s_delay_alu instid0(VALU_DEP_2) | instskip(SKIP_1) | instid1(VALU_DEP_1)
	v_add_nc_u32_e32 v7, v7, v10
	s_wait_alu 0xfffd
	v_add_co_ci_u32_e32 v7, vcc_lo, v33, v7, vcc_lo
	global_store_b64 v[6:7], v[18:19], off
	global_wb scope:SCOPE_SYS
	s_wait_storecnt 0x0
	global_atomic_cmpswap_b64 v[11:12], v13, v[16:19], s[22:23] offset:32 th:TH_ATOMIC_RETURN scope:SCOPE_SYS
	s_wait_loadcnt 0x0
	v_cmpx_ne_u64_e64 v[11:12], v[18:19]
	s_cbranch_execz .LBB3_343
; %bb.341:                              ;   in Loop: Header=BB3_282 Depth=1
	s_mov_b32 s17, 0
.LBB3_342:                              ;   Parent Loop BB3_282 Depth=1
                                        ; =>  This Inner Loop Header: Depth=2
	v_dual_mov_b32 v9, s10 :: v_dual_mov_b32 v10, s1
	s_sleep 1
	global_store_b64 v[6:7], v[11:12], off
	global_wb scope:SCOPE_SYS
	s_wait_storecnt 0x0
	global_atomic_cmpswap_b64 v[9:10], v13, v[9:12], s[22:23] offset:32 th:TH_ATOMIC_RETURN scope:SCOPE_SYS
	s_wait_loadcnt 0x0
	v_cmp_eq_u64_e32 vcc_lo, v[9:10], v[11:12]
	v_dual_mov_b32 v12, v10 :: v_dual_mov_b32 v11, v9
	s_wait_alu 0xfffe
	s_or_b32 s17, vcc_lo, s17
	s_wait_alu 0xfffe
	s_and_not1_b32 exec_lo, exec_lo, s17
	s_cbranch_execnz .LBB3_342
.LBB3_343:                              ;   in Loop: Header=BB3_282 Depth=1
	s_wait_alu 0xfffe
	s_or_b32 exec_lo, exec_lo, s16
	global_load_b64 v[6:7], v13, s[22:23] offset:16
	s_mov_b32 s17, exec_lo
	s_mov_b32 s16, exec_lo
	s_wait_alu 0xfffe
	v_mbcnt_lo_u32_b32 v9, s17, 0
	s_delay_alu instid0(VALU_DEP_1)
	v_cmpx_eq_u32_e32 0, v9
	s_cbranch_execz .LBB3_345
; %bb.344:                              ;   in Loop: Header=BB3_282 Depth=1
	s_bcnt1_i32_b32 s17, s17
	s_wait_alu 0xfffe
	v_mov_b32_e32 v12, s17
	global_wb scope:SCOPE_SYS
	s_wait_loadcnt 0x0
	global_atomic_add_u64 v[6:7], v[12:13], off offset:8 scope:SCOPE_SYS
.LBB3_345:                              ;   in Loop: Header=BB3_282 Depth=1
	s_or_b32 exec_lo, exec_lo, s16
	s_wait_loadcnt 0x0
	global_load_b64 v[9:10], v[6:7], off offset:16
	s_wait_loadcnt 0x0
	v_cmp_eq_u64_e32 vcc_lo, 0, v[9:10]
	s_cbranch_vccnz .LBB3_347
; %bb.346:                              ;   in Loop: Header=BB3_282 Depth=1
	global_load_b32 v12, v[6:7], off offset:24
	s_wait_loadcnt 0x0
	v_and_b32_e32 v6, 0xffffff, v12
	global_wb scope:SCOPE_SYS
	s_wait_storecnt 0x0
	global_store_b64 v[9:10], v[12:13], off scope:SCOPE_SYS
	v_readfirstlane_b32 m0, v6
	s_sendmsg sendmsg(MSG_INTERRUPT)
.LBB3_347:                              ;   in Loop: Header=BB3_282 Depth=1
	s_wait_alu 0xfffe
	s_or_b32 exec_lo, exec_lo, s11
	v_add_co_u32 v6, vcc_lo, v34, v39
	s_wait_alu 0xfffd
	v_add_co_ci_u32_e32 v7, vcc_lo, 0, v35, vcc_lo
	s_branch .LBB3_351
.LBB3_348:                              ;   in Loop: Header=BB3_351 Depth=2
	s_wait_alu 0xfffe
	s_or_b32 exec_lo, exec_lo, s11
	s_delay_alu instid0(VALU_DEP_1) | instskip(NEXT) | instid1(VALU_DEP_1)
	v_readfirstlane_b32 s11, v9
	s_cmp_eq_u32 s11, 0
	s_cbranch_scc1 .LBB3_350
; %bb.349:                              ;   in Loop: Header=BB3_351 Depth=2
	s_sleep 1
	s_cbranch_execnz .LBB3_351
	s_branch .LBB3_353
.LBB3_350:                              ;   in Loop: Header=BB3_282 Depth=1
	s_branch .LBB3_353
.LBB3_351:                              ;   Parent Loop BB3_282 Depth=1
                                        ; =>  This Inner Loop Header: Depth=2
	v_mov_b32_e32 v9, 1
	s_and_saveexec_b32 s11, s0
	s_cbranch_execz .LBB3_348
; %bb.352:                              ;   in Loop: Header=BB3_351 Depth=2
	global_load_b32 v9, v[2:3], off offset:20 scope:SCOPE_SYS
	s_wait_loadcnt 0x0
	global_inv scope:SCOPE_SYS
	v_and_b32_e32 v9, 1, v9
	s_branch .LBB3_348
.LBB3_353:                              ;   in Loop: Header=BB3_282 Depth=1
	global_load_b128 v[9:12], v[6:7], off
	s_and_saveexec_b32 s11, s0
	s_cbranch_execz .LBB3_281
; %bb.354:                              ;   in Loop: Header=BB3_282 Depth=1
	s_clause 0x2
	global_load_b64 v[2:3], v13, s[22:23] offset:40
	global_load_b64 v[6:7], v13, s[22:23] offset:24 scope:SCOPE_SYS
	global_load_b64 v[11:12], v13, s[22:23]
	s_wait_loadcnt 0x2
	v_add_co_u32 v18, vcc_lo, v2, 1
	s_wait_alu 0xfffd
	v_add_co_ci_u32_e32 v19, vcc_lo, 0, v3, vcc_lo
	s_delay_alu instid0(VALU_DEP_2) | instskip(SKIP_1) | instid1(VALU_DEP_2)
	v_add_co_u32 v16, vcc_lo, v18, s10
	s_wait_alu 0xfffd
	v_add_co_ci_u32_e32 v17, vcc_lo, s1, v19, vcc_lo
	s_delay_alu instid0(VALU_DEP_1) | instskip(SKIP_2) | instid1(VALU_DEP_1)
	v_cmp_eq_u64_e32 vcc_lo, 0, v[16:17]
	s_wait_alu 0xfffd
	v_dual_cndmask_b32 v17, v17, v19 :: v_dual_cndmask_b32 v16, v16, v18
	v_and_b32_e32 v3, v17, v3
	s_delay_alu instid0(VALU_DEP_2) | instskip(NEXT) | instid1(VALU_DEP_2)
	v_and_b32_e32 v2, v16, v2
	v_mul_lo_u32 v3, 24, v3
	s_delay_alu instid0(VALU_DEP_2) | instskip(SKIP_2) | instid1(VALU_DEP_2)
	v_mul_lo_u32 v18, 0, v2
	v_mul_hi_u32 v19, 24, v2
	s_wait_loadcnt 0x1
	v_dual_mov_b32 v18, v6 :: v_dual_add_nc_u32 v3, v3, v18
	s_delay_alu instid0(VALU_DEP_1) | instskip(SKIP_3) | instid1(VALU_DEP_1)
	v_add_nc_u32_e32 v3, v3, v19
	v_mov_b32_e32 v19, v7
	v_mul_lo_u32 v2, 24, v2
	s_wait_loadcnt 0x0
	v_add_co_u32 v2, vcc_lo, v11, v2
	s_wait_alu 0xfffd
	v_add_co_ci_u32_e32 v3, vcc_lo, v12, v3, vcc_lo
	global_store_b64 v[2:3], v[6:7], off
	global_wb scope:SCOPE_SYS
	s_wait_storecnt 0x0
	global_atomic_cmpswap_b64 v[18:19], v13, v[16:19], s[22:23] offset:24 th:TH_ATOMIC_RETURN scope:SCOPE_SYS
	s_wait_loadcnt 0x0
	v_cmp_ne_u64_e32 vcc_lo, v[18:19], v[6:7]
	s_and_b32 exec_lo, exec_lo, vcc_lo
	s_cbranch_execz .LBB3_281
; %bb.355:                              ;   in Loop: Header=BB3_282 Depth=1
	s_mov_b32 s0, 0
.LBB3_356:                              ;   Parent Loop BB3_282 Depth=1
                                        ; =>  This Inner Loop Header: Depth=2
	s_sleep 1
	global_store_b64 v[2:3], v[18:19], off
	global_wb scope:SCOPE_SYS
	s_wait_storecnt 0x0
	global_atomic_cmpswap_b64 v[6:7], v13, v[16:19], s[22:23] offset:24 th:TH_ATOMIC_RETURN scope:SCOPE_SYS
	s_wait_loadcnt 0x0
	v_cmp_eq_u64_e32 vcc_lo, v[6:7], v[18:19]
	v_dual_mov_b32 v19, v7 :: v_dual_mov_b32 v18, v6
	s_wait_alu 0xfffe
	s_or_b32 s0, vcc_lo, s0
	s_wait_alu 0xfffe
	s_and_not1_b32 exec_lo, exec_lo, s0
	s_cbranch_execnz .LBB3_356
	s_branch .LBB3_281
.LBB3_357:
	s_branch .LBB3_386
.LBB3_358:
                                        ; implicit-def: $vgpr9_vgpr10
	s_cbranch_execz .LBB3_386
; %bb.359:
	v_readfirstlane_b32 s0, v50
	v_mov_b32_e32 v6, 0
	v_mov_b32_e32 v7, 0
	s_wait_alu 0xf1ff
	s_delay_alu instid0(VALU_DEP_3) | instskip(NEXT) | instid1(VALU_DEP_1)
	v_cmp_eq_u32_e64 s0, s0, v50
	s_and_saveexec_b32 s1, s0
	s_cbranch_execz .LBB3_365
; %bb.360:
	v_mov_b32_e32 v2, 0
	s_mov_b32 s2, exec_lo
	global_load_b64 v[11:12], v2, s[22:23] offset:24 scope:SCOPE_SYS
	s_wait_loadcnt 0x0
	global_inv scope:SCOPE_SYS
	s_clause 0x1
	global_load_b64 v[6:7], v2, s[22:23] offset:40
	global_load_b64 v[9:10], v2, s[22:23]
	s_wait_loadcnt 0x1
	v_and_b32_e32 v3, v7, v12
	v_and_b32_e32 v6, v6, v11
	s_delay_alu instid0(VALU_DEP_2) | instskip(NEXT) | instid1(VALU_DEP_2)
	v_mul_lo_u32 v3, 24, v3
	v_mul_lo_u32 v7, 0, v6
	v_mul_hi_u32 v13, 24, v6
	v_mul_lo_u32 v6, 24, v6
	s_delay_alu instid0(VALU_DEP_3) | instskip(SKIP_1) | instid1(VALU_DEP_2)
	v_add_nc_u32_e32 v3, v3, v7
	s_wait_loadcnt 0x0
	v_add_co_u32 v6, vcc_lo, v9, v6
	s_delay_alu instid0(VALU_DEP_2) | instskip(SKIP_1) | instid1(VALU_DEP_1)
	v_add_nc_u32_e32 v3, v3, v13
	s_wait_alu 0xfffd
	v_add_co_ci_u32_e32 v7, vcc_lo, v10, v3, vcc_lo
	global_load_b64 v[9:10], v[6:7], off scope:SCOPE_SYS
	s_wait_loadcnt 0x0
	global_atomic_cmpswap_b64 v[6:7], v2, v[9:12], s[22:23] offset:24 th:TH_ATOMIC_RETURN scope:SCOPE_SYS
	s_wait_loadcnt 0x0
	global_inv scope:SCOPE_SYS
	v_cmpx_ne_u64_e64 v[6:7], v[11:12]
	s_cbranch_execz .LBB3_364
; %bb.361:
	s_mov_b32 s3, 0
.LBB3_362:                              ; =>This Inner Loop Header: Depth=1
	s_sleep 1
	s_clause 0x1
	global_load_b64 v[9:10], v2, s[22:23] offset:40
	global_load_b64 v[13:14], v2, s[22:23]
	v_dual_mov_b32 v12, v7 :: v_dual_mov_b32 v11, v6
	s_wait_loadcnt 0x1
	s_delay_alu instid0(VALU_DEP_1) | instskip(NEXT) | instid1(VALU_DEP_2)
	v_and_b32_e32 v3, v9, v11
	v_and_b32_e32 v9, v10, v12
	s_wait_loadcnt 0x0
	s_delay_alu instid0(VALU_DEP_2) | instskip(NEXT) | instid1(VALU_DEP_1)
	v_mad_co_u64_u32 v[6:7], null, v3, 24, v[13:14]
	v_mov_b32_e32 v3, v7
	s_delay_alu instid0(VALU_DEP_1) | instskip(NEXT) | instid1(VALU_DEP_1)
	v_mad_co_u64_u32 v[9:10], null, v9, 24, v[3:4]
	v_mov_b32_e32 v7, v9
	global_load_b64 v[9:10], v[6:7], off scope:SCOPE_SYS
	s_wait_loadcnt 0x0
	global_atomic_cmpswap_b64 v[6:7], v2, v[9:12], s[22:23] offset:24 th:TH_ATOMIC_RETURN scope:SCOPE_SYS
	s_wait_loadcnt 0x0
	global_inv scope:SCOPE_SYS
	v_cmp_eq_u64_e32 vcc_lo, v[6:7], v[11:12]
	s_wait_alu 0xfffe
	s_or_b32 s3, vcc_lo, s3
	s_wait_alu 0xfffe
	s_and_not1_b32 exec_lo, exec_lo, s3
	s_cbranch_execnz .LBB3_362
; %bb.363:
	s_or_b32 exec_lo, exec_lo, s3
.LBB3_364:
	s_wait_alu 0xfffe
	s_or_b32 exec_lo, exec_lo, s2
.LBB3_365:
	s_wait_alu 0xfffe
	s_or_b32 exec_lo, exec_lo, s1
	v_readfirstlane_b32 s2, v6
	v_mov_b32_e32 v2, 0
	v_readfirstlane_b32 s1, v7
	s_mov_b32 s3, exec_lo
	s_clause 0x1
	global_load_b64 v[13:14], v2, s[22:23] offset:40
	global_load_b128 v[9:12], v2, s[22:23]
	s_wait_loadcnt 0x1
	s_wait_alu 0xf1ff
	v_and_b32_e32 v13, s2, v13
	v_and_b32_e32 v14, s1, v14
	s_delay_alu instid0(VALU_DEP_2) | instskip(NEXT) | instid1(VALU_DEP_2)
	v_mul_lo_u32 v6, 0, v13
	v_mul_lo_u32 v3, 24, v14
	v_mul_hi_u32 v7, 24, v13
	v_mul_lo_u32 v15, 24, v13
	s_delay_alu instid0(VALU_DEP_3) | instskip(SKIP_1) | instid1(VALU_DEP_2)
	v_add_nc_u32_e32 v3, v3, v6
	s_wait_loadcnt 0x0
	v_add_co_u32 v6, vcc_lo, v9, v15
	s_delay_alu instid0(VALU_DEP_2) | instskip(SKIP_1) | instid1(VALU_DEP_1)
	v_add_nc_u32_e32 v3, v3, v7
	s_wait_alu 0xfffd
	v_add_co_ci_u32_e32 v7, vcc_lo, v10, v3, vcc_lo
	s_and_saveexec_b32 s4, s0
	s_cbranch_execz .LBB3_367
; %bb.366:
	s_wait_alu 0xfffe
	v_dual_mov_b32 v15, s3 :: v_dual_mov_b32 v16, v2
	v_dual_mov_b32 v17, 2 :: v_dual_mov_b32 v18, 1
	global_store_b128 v[6:7], v[15:18], off offset:8
.LBB3_367:
	s_wait_alu 0xfffe
	s_or_b32 exec_lo, exec_lo, s4
	v_lshlrev_b64_e32 v[13:14], 12, v[13:14]
	s_mov_b32 s4, 0
	v_and_or_b32 v0, 0xffffff1f, v0, 32
	s_wait_alu 0xfffe
	s_mov_b32 s7, s4
	s_mov_b32 s5, s4
	;; [unrolled: 1-line block ×3, first 2 shown]
	v_add_co_u32 v11, vcc_lo, v11, v13
	s_wait_alu 0xfffd
	v_add_co_ci_u32_e32 v12, vcc_lo, v12, v14, vcc_lo
	s_wait_alu 0xfffe
	v_dual_mov_b32 v3, v2 :: v_dual_mov_b32 v16, s7
	v_readfirstlane_b32 s10, v11
	v_add_co_u32 v11, vcc_lo, v11, v39
	v_readfirstlane_b32 s11, v12
	s_wait_alu 0xfffd
	v_add_co_ci_u32_e32 v12, vcc_lo, 0, v12, vcc_lo
	v_dual_mov_b32 v15, s6 :: v_dual_mov_b32 v14, s5
	v_mov_b32_e32 v13, s4
	s_clause 0x3
	global_store_b128 v39, v[0:3], s[10:11]
	global_store_b128 v39, v[13:16], s[10:11] offset:16
	global_store_b128 v39, v[13:16], s[10:11] offset:32
	;; [unrolled: 1-line block ×3, first 2 shown]
	s_and_saveexec_b32 s3, s0
	s_cbranch_execz .LBB3_375
; %bb.368:
	v_mov_b32_e32 v13, 0
	v_mov_b32_e32 v15, s1
	s_mov_b32 s4, exec_lo
	s_clause 0x1
	global_load_b64 v[16:17], v13, s[22:23] offset:32 scope:SCOPE_SYS
	global_load_b64 v[0:1], v13, s[22:23] offset:40
	v_mov_b32_e32 v14, s2
	s_wait_loadcnt 0x0
	v_and_b32_e32 v0, s2, v0
	v_and_b32_e32 v1, s1, v1
	s_delay_alu instid0(VALU_DEP_2) | instskip(NEXT) | instid1(VALU_DEP_2)
	v_mul_lo_u32 v2, 0, v0
	v_mul_lo_u32 v1, 24, v1
	v_mul_hi_u32 v3, 24, v0
	v_mul_lo_u32 v0, 24, v0
	s_delay_alu instid0(VALU_DEP_3) | instskip(NEXT) | instid1(VALU_DEP_2)
	v_add_nc_u32_e32 v1, v1, v2
	v_add_co_u32 v9, vcc_lo, v9, v0
	s_delay_alu instid0(VALU_DEP_2) | instskip(SKIP_1) | instid1(VALU_DEP_1)
	v_add_nc_u32_e32 v1, v1, v3
	s_wait_alu 0xfffd
	v_add_co_ci_u32_e32 v10, vcc_lo, v10, v1, vcc_lo
	global_store_b64 v[9:10], v[16:17], off
	global_wb scope:SCOPE_SYS
	s_wait_storecnt 0x0
	global_atomic_cmpswap_b64 v[2:3], v13, v[14:17], s[22:23] offset:32 th:TH_ATOMIC_RETURN scope:SCOPE_SYS
	s_wait_loadcnt 0x0
	v_cmpx_ne_u64_e64 v[2:3], v[16:17]
	s_cbranch_execz .LBB3_371
; %bb.369:
	s_mov_b32 s5, 0
.LBB3_370:                              ; =>This Inner Loop Header: Depth=1
	v_dual_mov_b32 v0, s2 :: v_dual_mov_b32 v1, s1
	s_sleep 1
	global_store_b64 v[9:10], v[2:3], off
	global_wb scope:SCOPE_SYS
	s_wait_storecnt 0x0
	global_atomic_cmpswap_b64 v[0:1], v13, v[0:3], s[22:23] offset:32 th:TH_ATOMIC_RETURN scope:SCOPE_SYS
	s_wait_loadcnt 0x0
	v_cmp_eq_u64_e32 vcc_lo, v[0:1], v[2:3]
	v_dual_mov_b32 v3, v1 :: v_dual_mov_b32 v2, v0
	s_wait_alu 0xfffe
	s_or_b32 s5, vcc_lo, s5
	s_wait_alu 0xfffe
	s_and_not1_b32 exec_lo, exec_lo, s5
	s_cbranch_execnz .LBB3_370
.LBB3_371:
	s_wait_alu 0xfffe
	s_or_b32 exec_lo, exec_lo, s4
	v_mov_b32_e32 v3, 0
	s_mov_b32 s5, exec_lo
	s_mov_b32 s4, exec_lo
	s_wait_alu 0xfffe
	v_mbcnt_lo_u32_b32 v2, s5, 0
	global_load_b64 v[0:1], v3, s[22:23] offset:16
	v_cmpx_eq_u32_e32 0, v2
	s_cbranch_execz .LBB3_373
; %bb.372:
	s_bcnt1_i32_b32 s5, s5
	s_wait_alu 0xfffe
	v_mov_b32_e32 v2, s5
	global_wb scope:SCOPE_SYS
	s_wait_loadcnt 0x0
	global_atomic_add_u64 v[0:1], v[2:3], off offset:8 scope:SCOPE_SYS
.LBB3_373:
	s_or_b32 exec_lo, exec_lo, s4
	s_wait_loadcnt 0x0
	global_load_b64 v[2:3], v[0:1], off offset:16
	s_wait_loadcnt 0x0
	v_cmp_eq_u64_e32 vcc_lo, 0, v[2:3]
	s_cbranch_vccnz .LBB3_375
; %bb.374:
	global_load_b32 v0, v[0:1], off offset:24
	v_mov_b32_e32 v1, 0
	s_wait_loadcnt 0x0
	v_and_b32_e32 v9, 0xffffff, v0
	global_wb scope:SCOPE_SYS
	s_wait_storecnt 0x0
	global_store_b64 v[2:3], v[0:1], off scope:SCOPE_SYS
	v_readfirstlane_b32 m0, v9
	s_sendmsg sendmsg(MSG_INTERRUPT)
.LBB3_375:
	s_wait_alu 0xfffe
	s_or_b32 exec_lo, exec_lo, s3
	s_branch .LBB3_379
.LBB3_376:                              ;   in Loop: Header=BB3_379 Depth=1
	s_wait_alu 0xfffe
	s_or_b32 exec_lo, exec_lo, s3
	s_delay_alu instid0(VALU_DEP_1) | instskip(NEXT) | instid1(VALU_DEP_1)
	v_readfirstlane_b32 s3, v0
	s_cmp_eq_u32 s3, 0
	s_cbranch_scc1 .LBB3_378
; %bb.377:                              ;   in Loop: Header=BB3_379 Depth=1
	s_sleep 1
	s_cbranch_execnz .LBB3_379
	s_branch .LBB3_381
.LBB3_378:
	s_branch .LBB3_381
.LBB3_379:                              ; =>This Inner Loop Header: Depth=1
	v_mov_b32_e32 v0, 1
	s_and_saveexec_b32 s3, s0
	s_cbranch_execz .LBB3_376
; %bb.380:                              ;   in Loop: Header=BB3_379 Depth=1
	global_load_b32 v0, v[6:7], off offset:20 scope:SCOPE_SYS
	s_wait_loadcnt 0x0
	global_inv scope:SCOPE_SYS
	v_and_b32_e32 v0, 1, v0
	s_branch .LBB3_376
.LBB3_381:
	global_load_b64 v[9:10], v[11:12], off
	s_and_saveexec_b32 s3, s0
	s_cbranch_execz .LBB3_385
; %bb.382:
	v_mov_b32_e32 v11, 0
	s_clause 0x2
	global_load_b64 v[2:3], v11, s[22:23] offset:40
	global_load_b64 v[12:13], v11, s[22:23] offset:24 scope:SCOPE_SYS
	global_load_b64 v[6:7], v11, s[22:23]
	s_wait_loadcnt 0x2
	v_add_co_u32 v14, vcc_lo, v2, 1
	s_wait_alu 0xfffd
	v_add_co_ci_u32_e32 v15, vcc_lo, 0, v3, vcc_lo
	s_delay_alu instid0(VALU_DEP_2) | instskip(SKIP_1) | instid1(VALU_DEP_2)
	v_add_co_u32 v0, vcc_lo, v14, s2
	s_wait_alu 0xfffd
	v_add_co_ci_u32_e32 v1, vcc_lo, s1, v15, vcc_lo
	s_delay_alu instid0(VALU_DEP_1) | instskip(SKIP_2) | instid1(VALU_DEP_1)
	v_cmp_eq_u64_e32 vcc_lo, 0, v[0:1]
	s_wait_alu 0xfffd
	v_dual_cndmask_b32 v0, v0, v14 :: v_dual_cndmask_b32 v1, v1, v15
	v_and_b32_e32 v2, v0, v2
	s_delay_alu instid0(VALU_DEP_2) | instskip(NEXT) | instid1(VALU_DEP_2)
	v_and_b32_e32 v3, v1, v3
	v_mul_lo_u32 v14, 0, v2
	v_mul_hi_u32 v15, 24, v2
	v_mul_lo_u32 v2, 24, v2
	s_wait_loadcnt 0x0
	s_delay_alu instid0(VALU_DEP_1) | instskip(SKIP_2) | instid1(VALU_DEP_1)
	v_add_co_u32 v6, vcc_lo, v6, v2
	v_mov_b32_e32 v2, v12
	v_mul_lo_u32 v3, 24, v3
	v_add_nc_u32_e32 v3, v3, v14
	s_delay_alu instid0(VALU_DEP_1) | instskip(SKIP_1) | instid1(VALU_DEP_1)
	v_add_nc_u32_e32 v3, v3, v15
	s_wait_alu 0xfffd
	v_add_co_ci_u32_e32 v7, vcc_lo, v7, v3, vcc_lo
	v_mov_b32_e32 v3, v13
	global_store_b64 v[6:7], v[12:13], off
	global_wb scope:SCOPE_SYS
	s_wait_storecnt 0x0
	global_atomic_cmpswap_b64 v[2:3], v11, v[0:3], s[22:23] offset:24 th:TH_ATOMIC_RETURN scope:SCOPE_SYS
	s_wait_loadcnt 0x0
	v_cmp_ne_u64_e32 vcc_lo, v[2:3], v[12:13]
	s_and_b32 exec_lo, exec_lo, vcc_lo
	s_cbranch_execz .LBB3_385
; %bb.383:
	s_mov_b32 s0, 0
.LBB3_384:                              ; =>This Inner Loop Header: Depth=1
	s_sleep 1
	global_store_b64 v[6:7], v[2:3], off
	global_wb scope:SCOPE_SYS
	s_wait_storecnt 0x0
	global_atomic_cmpswap_b64 v[12:13], v11, v[0:3], s[22:23] offset:24 th:TH_ATOMIC_RETURN scope:SCOPE_SYS
	s_wait_loadcnt 0x0
	v_cmp_eq_u64_e32 vcc_lo, v[12:13], v[2:3]
	v_dual_mov_b32 v2, v12 :: v_dual_mov_b32 v3, v13
	s_wait_alu 0xfffe
	s_or_b32 s0, vcc_lo, s0
	s_wait_alu 0xfffe
	s_and_not1_b32 exec_lo, exec_lo, s0
	s_cbranch_execnz .LBB3_384
.LBB3_385:
	s_wait_alu 0xfffe
	s_or_b32 exec_lo, exec_lo, s3
.LBB3_386:
	v_readfirstlane_b32 s0, v50
	v_mov_b32_e32 v6, 0
	v_mov_b32_e32 v7, 0
	s_wait_alu 0xf1ff
	s_delay_alu instid0(VALU_DEP_3) | instskip(NEXT) | instid1(VALU_DEP_1)
	v_cmp_eq_u32_e64 s0, s0, v50
	s_and_saveexec_b32 s1, s0
	s_cbranch_execz .LBB3_392
; %bb.387:
	s_wait_loadcnt 0x0
	v_mov_b32_e32 v0, 0
	s_mov_b32 s2, exec_lo
	global_load_b64 v[13:14], v0, s[22:23] offset:24 scope:SCOPE_SYS
	s_wait_loadcnt 0x0
	global_inv scope:SCOPE_SYS
	s_clause 0x1
	global_load_b64 v[1:2], v0, s[22:23] offset:40
	global_load_b64 v[6:7], v0, s[22:23]
	s_wait_loadcnt 0x1
	v_and_b32_e32 v1, v1, v13
	v_and_b32_e32 v2, v2, v14
	s_delay_alu instid0(VALU_DEP_2) | instskip(NEXT) | instid1(VALU_DEP_2)
	v_mul_lo_u32 v3, 0, v1
	v_mul_lo_u32 v2, 24, v2
	v_mul_hi_u32 v11, 24, v1
	v_mul_lo_u32 v1, 24, v1
	s_delay_alu instid0(VALU_DEP_3) | instskip(SKIP_1) | instid1(VALU_DEP_2)
	v_add_nc_u32_e32 v2, v2, v3
	s_wait_loadcnt 0x0
	v_add_co_u32 v1, vcc_lo, v6, v1
	s_delay_alu instid0(VALU_DEP_2) | instskip(SKIP_1) | instid1(VALU_DEP_1)
	v_add_nc_u32_e32 v2, v2, v11
	s_wait_alu 0xfffd
	v_add_co_ci_u32_e32 v2, vcc_lo, v7, v2, vcc_lo
	global_load_b64 v[11:12], v[1:2], off scope:SCOPE_SYS
	s_wait_loadcnt 0x0
	global_atomic_cmpswap_b64 v[6:7], v0, v[11:14], s[22:23] offset:24 th:TH_ATOMIC_RETURN scope:SCOPE_SYS
	s_wait_loadcnt 0x0
	global_inv scope:SCOPE_SYS
	v_cmpx_ne_u64_e64 v[6:7], v[13:14]
	s_cbranch_execz .LBB3_391
; %bb.388:
	s_mov_b32 s3, 0
.LBB3_389:                              ; =>This Inner Loop Header: Depth=1
	s_sleep 1
	s_clause 0x1
	global_load_b64 v[1:2], v0, s[22:23] offset:40
	global_load_b64 v[11:12], v0, s[22:23]
	v_dual_mov_b32 v14, v7 :: v_dual_mov_b32 v13, v6
	s_wait_loadcnt 0x1
	s_delay_alu instid0(VALU_DEP_1) | instskip(SKIP_1) | instid1(VALU_DEP_1)
	v_and_b32_e32 v1, v1, v13
	s_wait_loadcnt 0x0
	v_mad_co_u64_u32 v[6:7], null, v1, 24, v[11:12]
	s_delay_alu instid0(VALU_DEP_1) | instskip(NEXT) | instid1(VALU_DEP_1)
	v_dual_mov_b32 v1, v7 :: v_dual_and_b32 v2, v2, v14
	v_mad_co_u64_u32 v[1:2], null, v2, 24, v[1:2]
	s_delay_alu instid0(VALU_DEP_1)
	v_mov_b32_e32 v7, v1
	global_load_b64 v[11:12], v[6:7], off scope:SCOPE_SYS
	s_wait_loadcnt 0x0
	global_atomic_cmpswap_b64 v[6:7], v0, v[11:14], s[22:23] offset:24 th:TH_ATOMIC_RETURN scope:SCOPE_SYS
	s_wait_loadcnt 0x0
	global_inv scope:SCOPE_SYS
	v_cmp_eq_u64_e32 vcc_lo, v[6:7], v[13:14]
	s_wait_alu 0xfffe
	s_or_b32 s3, vcc_lo, s3
	s_wait_alu 0xfffe
	s_and_not1_b32 exec_lo, exec_lo, s3
	s_cbranch_execnz .LBB3_389
; %bb.390:
	s_or_b32 exec_lo, exec_lo, s3
.LBB3_391:
	s_wait_alu 0xfffe
	s_or_b32 exec_lo, exec_lo, s2
.LBB3_392:
	s_wait_alu 0xfffe
	s_or_b32 exec_lo, exec_lo, s1
	v_readfirstlane_b32 s2, v6
	s_wait_loadcnt 0x0
	v_mov_b32_e32 v12, 0
	v_readfirstlane_b32 s1, v7
	s_mov_b32 s3, exec_lo
	s_clause 0x1
	global_load_b64 v[13:14], v12, s[22:23] offset:40
	global_load_b128 v[0:3], v12, s[22:23]
	s_wait_loadcnt 0x1
	s_wait_alu 0xf1ff
	v_and_b32_e32 v13, s2, v13
	v_and_b32_e32 v14, s1, v14
	s_delay_alu instid0(VALU_DEP_2) | instskip(NEXT) | instid1(VALU_DEP_2)
	v_mul_lo_u32 v7, 0, v13
	v_mul_lo_u32 v6, 24, v14
	v_mul_hi_u32 v11, 24, v13
	v_mul_lo_u32 v15, 24, v13
	s_delay_alu instid0(VALU_DEP_3) | instskip(NEXT) | instid1(VALU_DEP_1)
	v_add_nc_u32_e32 v6, v6, v7
	v_add_nc_u32_e32 v7, v6, v11
	s_wait_loadcnt 0x0
	s_delay_alu instid0(VALU_DEP_3) | instskip(SKIP_1) | instid1(VALU_DEP_2)
	v_add_co_u32 v6, vcc_lo, v0, v15
	s_wait_alu 0xfffd
	v_add_co_ci_u32_e32 v7, vcc_lo, v1, v7, vcc_lo
	s_and_saveexec_b32 s4, s0
	s_cbranch_execz .LBB3_394
; %bb.393:
	s_wait_alu 0xfffe
	v_dual_mov_b32 v11, s3 :: v_dual_mov_b32 v18, 1
	v_dual_mov_b32 v17, 2 :: v_dual_mov_b32 v16, v12
	s_delay_alu instid0(VALU_DEP_2)
	v_mov_b32_e32 v15, v11
	global_store_b128 v[6:7], v[15:18], off offset:8
.LBB3_394:
	s_wait_alu 0xfffe
	s_or_b32 exec_lo, exec_lo, s4
	v_lshlrev_b64_e32 v[13:14], 12, v[13:14]
	s_mov_b32 s4, 0
	v_and_or_b32 v9, 0xffffff1d, v9, 34
	s_wait_alu 0xfffe
	s_mov_b32 s7, s4
	s_mov_b32 s5, s4
	;; [unrolled: 1-line block ×3, first 2 shown]
	v_add_co_u32 v2, vcc_lo, v2, v13
	s_wait_alu 0xfffd
	v_add_co_ci_u32_e32 v3, vcc_lo, v3, v14, vcc_lo
	s_wait_alu 0xfffe
	v_dual_mov_b32 v11, 10 :: v_dual_mov_b32 v16, s7
	v_readfirstlane_b32 s10, v2
	s_delay_alu instid0(VALU_DEP_3)
	v_readfirstlane_b32 s11, v3
	v_dual_mov_b32 v15, s6 :: v_dual_mov_b32 v14, s5
	v_mov_b32_e32 v13, s4
	s_clause 0x3
	global_store_b128 v39, v[9:12], s[10:11]
	global_store_b128 v39, v[13:16], s[10:11] offset:16
	global_store_b128 v39, v[13:16], s[10:11] offset:32
	;; [unrolled: 1-line block ×3, first 2 shown]
	s_and_saveexec_b32 s3, s0
	s_cbranch_execz .LBB3_402
; %bb.395:
	v_mov_b32_e32 v11, 0
	v_mov_b32_e32 v13, s1
	s_mov_b32 s4, exec_lo
	s_clause 0x1
	global_load_b64 v[14:15], v11, s[22:23] offset:32 scope:SCOPE_SYS
	global_load_b64 v[2:3], v11, s[22:23] offset:40
	v_mov_b32_e32 v12, s2
	s_wait_loadcnt 0x0
	v_and_b32_e32 v2, s2, v2
	v_and_b32_e32 v3, s1, v3
	s_delay_alu instid0(VALU_DEP_2) | instskip(NEXT) | instid1(VALU_DEP_2)
	v_mul_lo_u32 v9, 0, v2
	v_mul_lo_u32 v3, 24, v3
	v_mul_hi_u32 v10, 24, v2
	v_mul_lo_u32 v2, 24, v2
	s_delay_alu instid0(VALU_DEP_3) | instskip(NEXT) | instid1(VALU_DEP_2)
	v_add_nc_u32_e32 v3, v3, v9
	v_add_co_u32 v9, vcc_lo, v0, v2
	s_delay_alu instid0(VALU_DEP_2) | instskip(SKIP_1) | instid1(VALU_DEP_1)
	v_add_nc_u32_e32 v3, v3, v10
	s_wait_alu 0xfffd
	v_add_co_ci_u32_e32 v10, vcc_lo, v1, v3, vcc_lo
	global_store_b64 v[9:10], v[14:15], off
	global_wb scope:SCOPE_SYS
	s_wait_storecnt 0x0
	global_atomic_cmpswap_b64 v[2:3], v11, v[12:15], s[22:23] offset:32 th:TH_ATOMIC_RETURN scope:SCOPE_SYS
	s_wait_loadcnt 0x0
	v_cmpx_ne_u64_e64 v[2:3], v[14:15]
	s_cbranch_execz .LBB3_398
; %bb.396:
	s_mov_b32 s5, 0
.LBB3_397:                              ; =>This Inner Loop Header: Depth=1
	v_dual_mov_b32 v0, s2 :: v_dual_mov_b32 v1, s1
	s_sleep 1
	global_store_b64 v[9:10], v[2:3], off
	global_wb scope:SCOPE_SYS
	s_wait_storecnt 0x0
	global_atomic_cmpswap_b64 v[0:1], v11, v[0:3], s[22:23] offset:32 th:TH_ATOMIC_RETURN scope:SCOPE_SYS
	s_wait_loadcnt 0x0
	v_cmp_eq_u64_e32 vcc_lo, v[0:1], v[2:3]
	v_dual_mov_b32 v3, v1 :: v_dual_mov_b32 v2, v0
	s_wait_alu 0xfffe
	s_or_b32 s5, vcc_lo, s5
	s_wait_alu 0xfffe
	s_and_not1_b32 exec_lo, exec_lo, s5
	s_cbranch_execnz .LBB3_397
.LBB3_398:
	s_wait_alu 0xfffe
	s_or_b32 exec_lo, exec_lo, s4
	v_mov_b32_e32 v3, 0
	s_mov_b32 s5, exec_lo
	s_mov_b32 s4, exec_lo
	s_wait_alu 0xfffe
	v_mbcnt_lo_u32_b32 v2, s5, 0
	global_load_b64 v[0:1], v3, s[22:23] offset:16
	v_cmpx_eq_u32_e32 0, v2
	s_cbranch_execz .LBB3_400
; %bb.399:
	s_bcnt1_i32_b32 s5, s5
	s_wait_alu 0xfffe
	v_mov_b32_e32 v2, s5
	global_wb scope:SCOPE_SYS
	s_wait_loadcnt 0x0
	global_atomic_add_u64 v[0:1], v[2:3], off offset:8 scope:SCOPE_SYS
.LBB3_400:
	s_or_b32 exec_lo, exec_lo, s4
	s_wait_loadcnt 0x0
	global_load_b64 v[2:3], v[0:1], off offset:16
	s_wait_loadcnt 0x0
	v_cmp_eq_u64_e32 vcc_lo, 0, v[2:3]
	s_cbranch_vccnz .LBB3_402
; %bb.401:
	global_load_b32 v0, v[0:1], off offset:24
	v_mov_b32_e32 v1, 0
	s_wait_loadcnt 0x0
	v_and_b32_e32 v9, 0xffffff, v0
	global_wb scope:SCOPE_SYS
	s_wait_storecnt 0x0
	global_store_b64 v[2:3], v[0:1], off scope:SCOPE_SYS
	v_readfirstlane_b32 m0, v9
	s_sendmsg sendmsg(MSG_INTERRUPT)
.LBB3_402:
	s_wait_alu 0xfffe
	s_or_b32 exec_lo, exec_lo, s3
	s_branch .LBB3_406
.LBB3_403:                              ;   in Loop: Header=BB3_406 Depth=1
	s_wait_alu 0xfffe
	s_or_b32 exec_lo, exec_lo, s3
	s_delay_alu instid0(VALU_DEP_1) | instskip(NEXT) | instid1(VALU_DEP_1)
	v_readfirstlane_b32 s3, v0
	s_cmp_eq_u32 s3, 0
	s_cbranch_scc1 .LBB3_405
; %bb.404:                              ;   in Loop: Header=BB3_406 Depth=1
	s_sleep 1
	s_cbranch_execnz .LBB3_406
	s_branch .LBB3_408
.LBB3_405:
	s_branch .LBB3_408
.LBB3_406:                              ; =>This Inner Loop Header: Depth=1
	v_mov_b32_e32 v0, 1
	s_and_saveexec_b32 s3, s0
	s_cbranch_execz .LBB3_403
; %bb.407:                              ;   in Loop: Header=BB3_406 Depth=1
	global_load_b32 v0, v[6:7], off offset:20 scope:SCOPE_SYS
	s_wait_loadcnt 0x0
	global_inv scope:SCOPE_SYS
	v_and_b32_e32 v0, 1, v0
	s_branch .LBB3_403
.LBB3_408:
	s_and_saveexec_b32 s3, s0
	s_cbranch_execz .LBB3_412
; %bb.409:
	v_mov_b32_e32 v9, 0
	s_clause 0x2
	global_load_b64 v[2:3], v9, s[22:23] offset:40
	global_load_b64 v[10:11], v9, s[22:23] offset:24 scope:SCOPE_SYS
	global_load_b64 v[6:7], v9, s[22:23]
	s_wait_loadcnt 0x2
	v_add_co_u32 v12, vcc_lo, v2, 1
	s_wait_alu 0xfffd
	v_add_co_ci_u32_e32 v13, vcc_lo, 0, v3, vcc_lo
	s_delay_alu instid0(VALU_DEP_2) | instskip(SKIP_1) | instid1(VALU_DEP_2)
	v_add_co_u32 v0, vcc_lo, v12, s2
	s_wait_alu 0xfffd
	v_add_co_ci_u32_e32 v1, vcc_lo, s1, v13, vcc_lo
	s_delay_alu instid0(VALU_DEP_1) | instskip(SKIP_2) | instid1(VALU_DEP_1)
	v_cmp_eq_u64_e32 vcc_lo, 0, v[0:1]
	s_wait_alu 0xfffd
	v_dual_cndmask_b32 v0, v0, v12 :: v_dual_cndmask_b32 v1, v1, v13
	v_and_b32_e32 v2, v0, v2
	s_delay_alu instid0(VALU_DEP_2) | instskip(NEXT) | instid1(VALU_DEP_2)
	v_and_b32_e32 v3, v1, v3
	v_mul_lo_u32 v12, 0, v2
	v_mul_hi_u32 v13, 24, v2
	v_mul_lo_u32 v2, 24, v2
	s_wait_loadcnt 0x0
	s_delay_alu instid0(VALU_DEP_1) | instskip(SKIP_2) | instid1(VALU_DEP_1)
	v_add_co_u32 v6, vcc_lo, v6, v2
	v_mov_b32_e32 v2, v10
	v_mul_lo_u32 v3, 24, v3
	v_add_nc_u32_e32 v3, v3, v12
	s_delay_alu instid0(VALU_DEP_1) | instskip(SKIP_1) | instid1(VALU_DEP_1)
	v_add_nc_u32_e32 v3, v3, v13
	s_wait_alu 0xfffd
	v_add_co_ci_u32_e32 v7, vcc_lo, v7, v3, vcc_lo
	v_mov_b32_e32 v3, v11
	global_store_b64 v[6:7], v[10:11], off
	global_wb scope:SCOPE_SYS
	s_wait_storecnt 0x0
	global_atomic_cmpswap_b64 v[2:3], v9, v[0:3], s[22:23] offset:24 th:TH_ATOMIC_RETURN scope:SCOPE_SYS
	s_wait_loadcnt 0x0
	v_cmp_ne_u64_e32 vcc_lo, v[2:3], v[10:11]
	s_and_b32 exec_lo, exec_lo, vcc_lo
	s_cbranch_execz .LBB3_412
; %bb.410:
	s_mov_b32 s0, 0
.LBB3_411:                              ; =>This Inner Loop Header: Depth=1
	s_sleep 1
	global_store_b64 v[6:7], v[2:3], off
	global_wb scope:SCOPE_SYS
	s_wait_storecnt 0x0
	global_atomic_cmpswap_b64 v[10:11], v9, v[0:3], s[22:23] offset:24 th:TH_ATOMIC_RETURN scope:SCOPE_SYS
	s_wait_loadcnt 0x0
	v_cmp_eq_u64_e32 vcc_lo, v[10:11], v[2:3]
	v_dual_mov_b32 v2, v10 :: v_dual_mov_b32 v3, v11
	s_wait_alu 0xfffe
	s_or_b32 s0, vcc_lo, s0
	s_wait_alu 0xfffe
	s_and_not1_b32 exec_lo, exec_lo, s0
	s_cbranch_execnz .LBB3_411
.LBB3_412:
	s_wait_alu 0xfffe
	s_or_b32 exec_lo, exec_lo, s3
	v_readfirstlane_b32 s0, v50
	v_mov_b32_e32 v6, 0
	v_mov_b32_e32 v7, 0
	s_wait_alu 0xf1ff
	s_delay_alu instid0(VALU_DEP_3) | instskip(NEXT) | instid1(VALU_DEP_1)
	v_cmp_eq_u32_e64 s0, s0, v50
	s_and_saveexec_b32 s1, s0
	s_cbranch_execz .LBB3_418
; %bb.413:
	v_mov_b32_e32 v0, 0
	s_mov_b32 s2, exec_lo
	global_load_b64 v[11:12], v0, s[22:23] offset:24 scope:SCOPE_SYS
	s_wait_loadcnt 0x0
	global_inv scope:SCOPE_SYS
	s_clause 0x1
	global_load_b64 v[1:2], v0, s[22:23] offset:40
	global_load_b64 v[6:7], v0, s[22:23]
	s_wait_loadcnt 0x1
	v_and_b32_e32 v1, v1, v11
	v_and_b32_e32 v2, v2, v12
	s_delay_alu instid0(VALU_DEP_2) | instskip(NEXT) | instid1(VALU_DEP_2)
	v_mul_lo_u32 v3, 0, v1
	v_mul_lo_u32 v2, 24, v2
	v_mul_hi_u32 v9, 24, v1
	v_mul_lo_u32 v1, 24, v1
	s_delay_alu instid0(VALU_DEP_3) | instskip(SKIP_1) | instid1(VALU_DEP_2)
	v_add_nc_u32_e32 v2, v2, v3
	s_wait_loadcnt 0x0
	v_add_co_u32 v1, vcc_lo, v6, v1
	s_delay_alu instid0(VALU_DEP_2) | instskip(SKIP_1) | instid1(VALU_DEP_1)
	v_add_nc_u32_e32 v2, v2, v9
	s_wait_alu 0xfffd
	v_add_co_ci_u32_e32 v2, vcc_lo, v7, v2, vcc_lo
	global_load_b64 v[9:10], v[1:2], off scope:SCOPE_SYS
	s_wait_loadcnt 0x0
	global_atomic_cmpswap_b64 v[6:7], v0, v[9:12], s[22:23] offset:24 th:TH_ATOMIC_RETURN scope:SCOPE_SYS
	s_wait_loadcnt 0x0
	global_inv scope:SCOPE_SYS
	v_cmpx_ne_u64_e64 v[6:7], v[11:12]
	s_cbranch_execz .LBB3_417
; %bb.414:
	s_mov_b32 s3, 0
.LBB3_415:                              ; =>This Inner Loop Header: Depth=1
	s_sleep 1
	s_clause 0x1
	global_load_b64 v[1:2], v0, s[22:23] offset:40
	global_load_b64 v[9:10], v0, s[22:23]
	v_dual_mov_b32 v12, v7 :: v_dual_mov_b32 v11, v6
	s_wait_loadcnt 0x1
	s_delay_alu instid0(VALU_DEP_1) | instskip(SKIP_1) | instid1(VALU_DEP_1)
	v_and_b32_e32 v1, v1, v11
	s_wait_loadcnt 0x0
	v_mad_co_u64_u32 v[6:7], null, v1, 24, v[9:10]
	s_delay_alu instid0(VALU_DEP_1) | instskip(NEXT) | instid1(VALU_DEP_1)
	v_dual_mov_b32 v1, v7 :: v_dual_and_b32 v2, v2, v12
	v_mad_co_u64_u32 v[1:2], null, v2, 24, v[1:2]
	s_delay_alu instid0(VALU_DEP_1)
	v_mov_b32_e32 v7, v1
	global_load_b64 v[9:10], v[6:7], off scope:SCOPE_SYS
	s_wait_loadcnt 0x0
	global_atomic_cmpswap_b64 v[6:7], v0, v[9:12], s[22:23] offset:24 th:TH_ATOMIC_RETURN scope:SCOPE_SYS
	s_wait_loadcnt 0x0
	global_inv scope:SCOPE_SYS
	v_cmp_eq_u64_e32 vcc_lo, v[6:7], v[11:12]
	s_wait_alu 0xfffe
	s_or_b32 s3, vcc_lo, s3
	s_wait_alu 0xfffe
	s_and_not1_b32 exec_lo, exec_lo, s3
	s_cbranch_execnz .LBB3_415
; %bb.416:
	s_or_b32 exec_lo, exec_lo, s3
.LBB3_417:
	s_wait_alu 0xfffe
	s_or_b32 exec_lo, exec_lo, s2
.LBB3_418:
	s_wait_alu 0xfffe
	s_or_b32 exec_lo, exec_lo, s1
	v_readfirstlane_b32 s2, v6
	v_mov_b32_e32 v10, 0
	v_readfirstlane_b32 s1, v7
	s_mov_b32 s3, exec_lo
	s_clause 0x1
	global_load_b64 v[11:12], v10, s[22:23] offset:40
	global_load_b128 v[0:3], v10, s[22:23]
	s_wait_loadcnt 0x1
	s_wait_alu 0xf1ff
	v_and_b32_e32 v13, s2, v11
	v_and_b32_e32 v14, s1, v12
	s_delay_alu instid0(VALU_DEP_2) | instskip(NEXT) | instid1(VALU_DEP_2)
	v_mul_lo_u32 v7, 0, v13
	v_mul_lo_u32 v6, 24, v14
	v_mul_hi_u32 v9, 24, v13
	v_mul_lo_u32 v11, 24, v13
	s_delay_alu instid0(VALU_DEP_3) | instskip(NEXT) | instid1(VALU_DEP_1)
	v_add_nc_u32_e32 v6, v6, v7
	v_add_nc_u32_e32 v7, v6, v9
	s_wait_loadcnt 0x0
	s_delay_alu instid0(VALU_DEP_3) | instskip(SKIP_1) | instid1(VALU_DEP_2)
	v_add_co_u32 v6, vcc_lo, v0, v11
	s_wait_alu 0xfffd
	v_add_co_ci_u32_e32 v7, vcc_lo, v1, v7, vcc_lo
	s_and_saveexec_b32 s4, s0
	s_cbranch_execz .LBB3_420
; %bb.419:
	s_wait_alu 0xfffe
	v_dual_mov_b32 v9, s3 :: v_dual_mov_b32 v12, 1
	v_mov_b32_e32 v11, 2
	global_store_b128 v[6:7], v[9:12], off offset:8
.LBB3_420:
	s_wait_alu 0xfffe
	s_or_b32 exec_lo, exec_lo, s4
	v_lshlrev_b64_e32 v[13:14], 12, v[13:14]
	s_mov_b32 s4, 0
	v_dual_mov_b32 v9, 33 :: v_dual_mov_b32 v12, v10
	s_wait_alu 0xfffe
	s_mov_b32 s7, s4
	s_mov_b32 s5, s4
	v_add_co_u32 v2, vcc_lo, v2, v13
	s_wait_alu 0xfffd
	v_add_co_ci_u32_e32 v3, vcc_lo, v3, v14, vcc_lo
	s_mov_b32 s6, s4
	s_delay_alu instid0(VALU_DEP_2)
	v_add_co_u32 v13, vcc_lo, v2, v39
	s_wait_alu 0xfffe
	v_dual_mov_b32 v11, v10 :: v_dual_mov_b32 v18, s7
	v_readfirstlane_b32 s10, v2
	v_readfirstlane_b32 s11, v3
	s_wait_alu 0xfffd
	v_add_co_ci_u32_e32 v14, vcc_lo, 0, v3, vcc_lo
	v_dual_mov_b32 v17, s6 :: v_dual_mov_b32 v16, s5
	v_mov_b32_e32 v15, s4
	s_clause 0x3
	global_store_b128 v39, v[9:12], s[10:11]
	global_store_b128 v39, v[15:18], s[10:11] offset:16
	global_store_b128 v39, v[15:18], s[10:11] offset:32
	;; [unrolled: 1-line block ×3, first 2 shown]
	s_and_saveexec_b32 s3, s0
	s_cbranch_execz .LBB3_428
; %bb.421:
	v_mov_b32_e32 v11, 0
	v_mov_b32_e32 v15, s2
	s_mov_b32 s4, exec_lo
	s_clause 0x1
	global_load_b64 v[17:18], v11, s[22:23] offset:32 scope:SCOPE_SYS
	global_load_b64 v[2:3], v11, s[22:23] offset:40
	v_mov_b32_e32 v16, s1
	s_wait_loadcnt 0x0
	v_and_b32_e32 v2, s2, v2
	v_and_b32_e32 v3, s1, v3
	s_delay_alu instid0(VALU_DEP_2) | instskip(NEXT) | instid1(VALU_DEP_2)
	v_mul_lo_u32 v9, 0, v2
	v_mul_lo_u32 v3, 24, v3
	v_mul_hi_u32 v10, 24, v2
	v_mul_lo_u32 v2, 24, v2
	s_delay_alu instid0(VALU_DEP_3) | instskip(NEXT) | instid1(VALU_DEP_2)
	v_add_nc_u32_e32 v3, v3, v9
	v_add_co_u32 v9, vcc_lo, v0, v2
	s_delay_alu instid0(VALU_DEP_2) | instskip(SKIP_1) | instid1(VALU_DEP_1)
	v_add_nc_u32_e32 v3, v3, v10
	s_wait_alu 0xfffd
	v_add_co_ci_u32_e32 v10, vcc_lo, v1, v3, vcc_lo
	global_store_b64 v[9:10], v[17:18], off
	global_wb scope:SCOPE_SYS
	s_wait_storecnt 0x0
	global_atomic_cmpswap_b64 v[2:3], v11, v[15:18], s[22:23] offset:32 th:TH_ATOMIC_RETURN scope:SCOPE_SYS
	s_wait_loadcnt 0x0
	v_cmpx_ne_u64_e64 v[2:3], v[17:18]
	s_cbranch_execz .LBB3_424
; %bb.422:
	s_mov_b32 s5, 0
.LBB3_423:                              ; =>This Inner Loop Header: Depth=1
	v_dual_mov_b32 v0, s2 :: v_dual_mov_b32 v1, s1
	s_sleep 1
	global_store_b64 v[9:10], v[2:3], off
	global_wb scope:SCOPE_SYS
	s_wait_storecnt 0x0
	global_atomic_cmpswap_b64 v[0:1], v11, v[0:3], s[22:23] offset:32 th:TH_ATOMIC_RETURN scope:SCOPE_SYS
	s_wait_loadcnt 0x0
	v_cmp_eq_u64_e32 vcc_lo, v[0:1], v[2:3]
	v_dual_mov_b32 v3, v1 :: v_dual_mov_b32 v2, v0
	s_wait_alu 0xfffe
	s_or_b32 s5, vcc_lo, s5
	s_wait_alu 0xfffe
	s_and_not1_b32 exec_lo, exec_lo, s5
	s_cbranch_execnz .LBB3_423
.LBB3_424:
	s_wait_alu 0xfffe
	s_or_b32 exec_lo, exec_lo, s4
	v_mov_b32_e32 v3, 0
	s_mov_b32 s5, exec_lo
	s_mov_b32 s4, exec_lo
	s_wait_alu 0xfffe
	v_mbcnt_lo_u32_b32 v2, s5, 0
	global_load_b64 v[0:1], v3, s[22:23] offset:16
	v_cmpx_eq_u32_e32 0, v2
	s_cbranch_execz .LBB3_426
; %bb.425:
	s_bcnt1_i32_b32 s5, s5
	s_wait_alu 0xfffe
	v_mov_b32_e32 v2, s5
	global_wb scope:SCOPE_SYS
	s_wait_loadcnt 0x0
	global_atomic_add_u64 v[0:1], v[2:3], off offset:8 scope:SCOPE_SYS
.LBB3_426:
	s_or_b32 exec_lo, exec_lo, s4
	s_wait_loadcnt 0x0
	global_load_b64 v[2:3], v[0:1], off offset:16
	s_wait_loadcnt 0x0
	v_cmp_eq_u64_e32 vcc_lo, 0, v[2:3]
	s_cbranch_vccnz .LBB3_428
; %bb.427:
	global_load_b32 v0, v[0:1], off offset:24
	v_mov_b32_e32 v1, 0
	s_wait_loadcnt 0x0
	v_and_b32_e32 v9, 0xffffff, v0
	global_wb scope:SCOPE_SYS
	s_wait_storecnt 0x0
	global_store_b64 v[2:3], v[0:1], off scope:SCOPE_SYS
	v_readfirstlane_b32 m0, v9
	s_sendmsg sendmsg(MSG_INTERRUPT)
.LBB3_428:
	s_wait_alu 0xfffe
	s_or_b32 exec_lo, exec_lo, s3
	s_branch .LBB3_432
.LBB3_429:                              ;   in Loop: Header=BB3_432 Depth=1
	s_wait_alu 0xfffe
	s_or_b32 exec_lo, exec_lo, s3
	s_delay_alu instid0(VALU_DEP_1) | instskip(NEXT) | instid1(VALU_DEP_1)
	v_readfirstlane_b32 s3, v0
	s_cmp_eq_u32 s3, 0
	s_cbranch_scc1 .LBB3_431
; %bb.430:                              ;   in Loop: Header=BB3_432 Depth=1
	s_sleep 1
	s_cbranch_execnz .LBB3_432
	s_branch .LBB3_434
.LBB3_431:
	s_branch .LBB3_434
.LBB3_432:                              ; =>This Inner Loop Header: Depth=1
	v_mov_b32_e32 v0, 1
	s_and_saveexec_b32 s3, s0
	s_cbranch_execz .LBB3_429
; %bb.433:                              ;   in Loop: Header=BB3_432 Depth=1
	global_load_b32 v0, v[6:7], off offset:20 scope:SCOPE_SYS
	s_wait_loadcnt 0x0
	global_inv scope:SCOPE_SYS
	v_and_b32_e32 v0, 1, v0
	s_branch .LBB3_429
.LBB3_434:
	global_load_b64 v[9:10], v[13:14], off
	s_and_saveexec_b32 s3, s0
	s_cbranch_execz .LBB3_438
; %bb.435:
	v_mov_b32_e32 v11, 0
	s_clause 0x2
	global_load_b64 v[2:3], v11, s[22:23] offset:40
	global_load_b64 v[12:13], v11, s[22:23] offset:24 scope:SCOPE_SYS
	global_load_b64 v[6:7], v11, s[22:23]
	s_wait_loadcnt 0x2
	v_add_co_u32 v14, vcc_lo, v2, 1
	s_wait_alu 0xfffd
	v_add_co_ci_u32_e32 v15, vcc_lo, 0, v3, vcc_lo
	s_delay_alu instid0(VALU_DEP_2) | instskip(SKIP_1) | instid1(VALU_DEP_2)
	v_add_co_u32 v0, vcc_lo, v14, s2
	s_wait_alu 0xfffd
	v_add_co_ci_u32_e32 v1, vcc_lo, s1, v15, vcc_lo
	s_delay_alu instid0(VALU_DEP_1) | instskip(SKIP_2) | instid1(VALU_DEP_1)
	v_cmp_eq_u64_e32 vcc_lo, 0, v[0:1]
	s_wait_alu 0xfffd
	v_dual_cndmask_b32 v0, v0, v14 :: v_dual_cndmask_b32 v1, v1, v15
	v_and_b32_e32 v2, v0, v2
	s_delay_alu instid0(VALU_DEP_2) | instskip(NEXT) | instid1(VALU_DEP_2)
	v_and_b32_e32 v3, v1, v3
	v_mul_lo_u32 v14, 0, v2
	v_mul_hi_u32 v15, 24, v2
	v_mul_lo_u32 v2, 24, v2
	s_wait_loadcnt 0x0
	s_delay_alu instid0(VALU_DEP_1) | instskip(SKIP_2) | instid1(VALU_DEP_1)
	v_add_co_u32 v6, vcc_lo, v6, v2
	v_mov_b32_e32 v2, v12
	v_mul_lo_u32 v3, 24, v3
	v_add_nc_u32_e32 v3, v3, v14
	s_delay_alu instid0(VALU_DEP_1) | instskip(SKIP_1) | instid1(VALU_DEP_1)
	v_add_nc_u32_e32 v3, v3, v15
	s_wait_alu 0xfffd
	v_add_co_ci_u32_e32 v7, vcc_lo, v7, v3, vcc_lo
	v_mov_b32_e32 v3, v13
	global_store_b64 v[6:7], v[12:13], off
	global_wb scope:SCOPE_SYS
	s_wait_storecnt 0x0
	global_atomic_cmpswap_b64 v[2:3], v11, v[0:3], s[22:23] offset:24 th:TH_ATOMIC_RETURN scope:SCOPE_SYS
	s_wait_loadcnt 0x0
	v_cmp_ne_u64_e32 vcc_lo, v[2:3], v[12:13]
	s_and_b32 exec_lo, exec_lo, vcc_lo
	s_cbranch_execz .LBB3_438
; %bb.436:
	s_mov_b32 s0, 0
.LBB3_437:                              ; =>This Inner Loop Header: Depth=1
	s_sleep 1
	global_store_b64 v[6:7], v[2:3], off
	global_wb scope:SCOPE_SYS
	s_wait_storecnt 0x0
	global_atomic_cmpswap_b64 v[12:13], v11, v[0:3], s[22:23] offset:24 th:TH_ATOMIC_RETURN scope:SCOPE_SYS
	s_wait_loadcnt 0x0
	v_cmp_eq_u64_e32 vcc_lo, v[12:13], v[2:3]
	v_dual_mov_b32 v2, v12 :: v_dual_mov_b32 v3, v13
	s_wait_alu 0xfffe
	s_or_b32 s0, vcc_lo, s0
	s_wait_alu 0xfffe
	s_and_not1_b32 exec_lo, exec_lo, s0
	s_cbranch_execnz .LBB3_437
.LBB3_438:
	s_wait_alu 0xfffe
	s_or_b32 exec_lo, exec_lo, s3
	s_delay_alu instid0(SALU_CYCLE_1)
	s_and_b32 vcc_lo, exec_lo, s15
	s_wait_alu 0xfffe
	s_cbranch_vccz .LBB3_517
; %bb.439:
	s_wait_loadcnt 0x0
	v_dual_mov_b32 v12, 0 :: v_dual_and_b32 v33, 2, v9
	v_dual_mov_b32 v1, v10 :: v_dual_and_b32 v0, -3, v9
	v_dual_mov_b32 v13, 2 :: v_dual_mov_b32 v14, 1
	s_mov_b64 s[4:5], 3
	s_getpc_b64 s[2:3]
	s_wait_alu 0xfffe
	s_sext_i32_i16 s3, s3
	s_add_co_u32 s2, s2, .str.7@rel32@lo+12
	s_wait_alu 0xfffe
	s_add_co_ci_u32 s3, s3, .str.7@rel32@hi+24
	s_branch .LBB3_441
.LBB3_440:                              ;   in Loop: Header=BB3_441 Depth=1
	s_wait_alu 0xfffe
	s_or_b32 exec_lo, exec_lo, s11
	s_sub_nc_u64 s[4:5], s[4:5], s[6:7]
	s_add_nc_u64 s[2:3], s[2:3], s[6:7]
	s_wait_alu 0xfffe
	s_cmp_lg_u64 s[4:5], 0
	s_cbranch_scc0 .LBB3_516
.LBB3_441:                              ; =>This Loop Header: Depth=1
                                        ;     Child Loop BB3_450 Depth 2
                                        ;     Child Loop BB3_446 Depth 2
	;; [unrolled: 1-line block ×11, first 2 shown]
	v_cmp_lt_u64_e64 s0, s[4:5], 56
	v_cmp_gt_u64_e64 s1, s[4:5], 7
                                        ; implicit-def: $vgpr2_vgpr3
                                        ; implicit-def: $sgpr18
	s_delay_alu instid0(VALU_DEP_2) | instskip(SKIP_2) | instid1(VALU_DEP_1)
	s_and_b32 s0, s0, exec_lo
	s_cselect_b32 s7, s5, 0
	s_cselect_b32 s6, s4, 56
	s_and_b32 vcc_lo, exec_lo, s1
	s_mov_b32 s0, -1
	s_wait_alu 0xfffe
	s_cbranch_vccz .LBB3_448
; %bb.442:                              ;   in Loop: Header=BB3_441 Depth=1
	s_and_not1_b32 vcc_lo, exec_lo, s0
	s_mov_b64 s[0:1], s[2:3]
	s_wait_alu 0xfffe
	s_cbranch_vccz .LBB3_452
.LBB3_443:                              ;   in Loop: Header=BB3_441 Depth=1
	s_wait_alu 0xfffe
	s_cmp_gt_u32 s18, 7
	s_cbranch_scc1 .LBB3_453
.LBB3_444:                              ;   in Loop: Header=BB3_441 Depth=1
	v_mov_b32_e32 v15, 0
	v_mov_b32_e32 v16, 0
	s_cmp_eq_u32 s18, 0
	s_cbranch_scc1 .LBB3_447
; %bb.445:                              ;   in Loop: Header=BB3_441 Depth=1
	s_mov_b64 s[10:11], 0
	s_mov_b64 s[16:17], 0
.LBB3_446:                              ;   Parent Loop BB3_441 Depth=1
                                        ; =>  This Inner Loop Header: Depth=2
	s_wait_alu 0xfffe
	s_add_nc_u64 s[20:21], s[0:1], s[16:17]
	s_add_nc_u64 s[16:17], s[16:17], 1
	global_load_u8 v6, v12, s[20:21]
	s_wait_alu 0xfffe
	s_cmp_lg_u32 s18, s16
	s_wait_loadcnt 0x0
	v_and_b32_e32 v11, 0xffff, v6
	s_delay_alu instid0(VALU_DEP_1) | instskip(SKIP_1) | instid1(VALU_DEP_1)
	v_lshlrev_b64_e32 v[6:7], s10, v[11:12]
	s_add_nc_u64 s[10:11], s[10:11], 8
	v_or_b32_e32 v15, v6, v15
	s_delay_alu instid0(VALU_DEP_2)
	v_or_b32_e32 v16, v7, v16
	s_cbranch_scc1 .LBB3_446
.LBB3_447:                              ;   in Loop: Header=BB3_441 Depth=1
	s_mov_b32 s19, 0
	s_cbranch_execz .LBB3_454
	s_branch .LBB3_455
.LBB3_448:                              ;   in Loop: Header=BB3_441 Depth=1
	s_wait_loadcnt 0x0
	v_mov_b32_e32 v2, 0
	v_mov_b32_e32 v3, 0
	s_cmp_eq_u64 s[4:5], 0
	s_mov_b64 s[0:1], 0
	s_cbranch_scc1 .LBB3_451
; %bb.449:                              ;   in Loop: Header=BB3_441 Depth=1
	v_mov_b32_e32 v2, 0
	v_mov_b32_e32 v3, 0
	s_mov_b64 s[10:11], 0
.LBB3_450:                              ;   Parent Loop BB3_441 Depth=1
                                        ; =>  This Inner Loop Header: Depth=2
	s_wait_alu 0xfffe
	s_add_nc_u64 s[16:17], s[2:3], s[10:11]
	s_add_nc_u64 s[10:11], s[10:11], 1
	global_load_u8 v6, v12, s[16:17]
	s_wait_alu 0xfffe
	s_cmp_lg_u32 s6, s10
	s_wait_loadcnt 0x0
	v_and_b32_e32 v11, 0xffff, v6
	s_delay_alu instid0(VALU_DEP_1) | instskip(SKIP_1) | instid1(VALU_DEP_1)
	v_lshlrev_b64_e32 v[6:7], s0, v[11:12]
	s_add_nc_u64 s[0:1], s[0:1], 8
	v_or_b32_e32 v2, v6, v2
	s_delay_alu instid0(VALU_DEP_2)
	v_or_b32_e32 v3, v7, v3
	s_cbranch_scc1 .LBB3_450
.LBB3_451:                              ;   in Loop: Header=BB3_441 Depth=1
	s_mov_b32 s18, 0
	s_mov_b64 s[0:1], s[2:3]
	s_cbranch_execnz .LBB3_443
.LBB3_452:                              ;   in Loop: Header=BB3_441 Depth=1
	global_load_b64 v[2:3], v12, s[2:3]
	s_add_co_i32 s18, s6, -8
	s_add_nc_u64 s[0:1], s[2:3], 8
	s_wait_alu 0xfffe
	s_cmp_gt_u32 s18, 7
	s_cbranch_scc0 .LBB3_444
.LBB3_453:                              ;   in Loop: Header=BB3_441 Depth=1
                                        ; implicit-def: $vgpr15_vgpr16
                                        ; implicit-def: $sgpr19
.LBB3_454:                              ;   in Loop: Header=BB3_441 Depth=1
	global_load_b64 v[15:16], v12, s[0:1]
	s_add_co_i32 s19, s18, -8
	s_add_nc_u64 s[0:1], s[0:1], 8
.LBB3_455:                              ;   in Loop: Header=BB3_441 Depth=1
	s_wait_alu 0xfffe
	s_cmp_gt_u32 s19, 7
	s_cbranch_scc1 .LBB3_460
; %bb.456:                              ;   in Loop: Header=BB3_441 Depth=1
	v_mov_b32_e32 v17, 0
	v_mov_b32_e32 v18, 0
	s_cmp_eq_u32 s19, 0
	s_cbranch_scc1 .LBB3_459
; %bb.457:                              ;   in Loop: Header=BB3_441 Depth=1
	s_mov_b64 s[10:11], 0
	s_mov_b64 s[16:17], 0
.LBB3_458:                              ;   Parent Loop BB3_441 Depth=1
                                        ; =>  This Inner Loop Header: Depth=2
	s_wait_alu 0xfffe
	s_add_nc_u64 s[20:21], s[0:1], s[16:17]
	s_add_nc_u64 s[16:17], s[16:17], 1
	global_load_u8 v6, v12, s[20:21]
	s_wait_alu 0xfffe
	s_cmp_lg_u32 s19, s16
	s_wait_loadcnt 0x0
	v_and_b32_e32 v11, 0xffff, v6
	s_delay_alu instid0(VALU_DEP_1) | instskip(SKIP_1) | instid1(VALU_DEP_1)
	v_lshlrev_b64_e32 v[6:7], s10, v[11:12]
	s_add_nc_u64 s[10:11], s[10:11], 8
	v_or_b32_e32 v17, v6, v17
	s_delay_alu instid0(VALU_DEP_2)
	v_or_b32_e32 v18, v7, v18
	s_cbranch_scc1 .LBB3_458
.LBB3_459:                              ;   in Loop: Header=BB3_441 Depth=1
	s_mov_b32 s18, 0
	s_cbranch_execz .LBB3_461
	s_branch .LBB3_462
.LBB3_460:                              ;   in Loop: Header=BB3_441 Depth=1
                                        ; implicit-def: $sgpr18
.LBB3_461:                              ;   in Loop: Header=BB3_441 Depth=1
	global_load_b64 v[17:18], v12, s[0:1]
	s_add_co_i32 s18, s19, -8
	s_add_nc_u64 s[0:1], s[0:1], 8
.LBB3_462:                              ;   in Loop: Header=BB3_441 Depth=1
	s_wait_alu 0xfffe
	s_cmp_gt_u32 s18, 7
	s_cbranch_scc1 .LBB3_467
; %bb.463:                              ;   in Loop: Header=BB3_441 Depth=1
	v_mov_b32_e32 v19, 0
	v_mov_b32_e32 v20, 0
	s_cmp_eq_u32 s18, 0
	s_cbranch_scc1 .LBB3_466
; %bb.464:                              ;   in Loop: Header=BB3_441 Depth=1
	s_mov_b64 s[10:11], 0
	s_mov_b64 s[16:17], 0
.LBB3_465:                              ;   Parent Loop BB3_441 Depth=1
                                        ; =>  This Inner Loop Header: Depth=2
	s_wait_alu 0xfffe
	s_add_nc_u64 s[20:21], s[0:1], s[16:17]
	s_add_nc_u64 s[16:17], s[16:17], 1
	global_load_u8 v6, v12, s[20:21]
	s_wait_alu 0xfffe
	s_cmp_lg_u32 s18, s16
	s_wait_loadcnt 0x0
	v_and_b32_e32 v11, 0xffff, v6
	s_delay_alu instid0(VALU_DEP_1) | instskip(SKIP_1) | instid1(VALU_DEP_1)
	v_lshlrev_b64_e32 v[6:7], s10, v[11:12]
	s_add_nc_u64 s[10:11], s[10:11], 8
	v_or_b32_e32 v19, v6, v19
	s_delay_alu instid0(VALU_DEP_2)
	v_or_b32_e32 v20, v7, v20
	s_cbranch_scc1 .LBB3_465
.LBB3_466:                              ;   in Loop: Header=BB3_441 Depth=1
	s_mov_b32 s19, 0
	s_cbranch_execz .LBB3_468
	s_branch .LBB3_469
.LBB3_467:                              ;   in Loop: Header=BB3_441 Depth=1
                                        ; implicit-def: $vgpr19_vgpr20
                                        ; implicit-def: $sgpr19
.LBB3_468:                              ;   in Loop: Header=BB3_441 Depth=1
	global_load_b64 v[19:20], v12, s[0:1]
	s_add_co_i32 s19, s18, -8
	s_add_nc_u64 s[0:1], s[0:1], 8
.LBB3_469:                              ;   in Loop: Header=BB3_441 Depth=1
	s_wait_alu 0xfffe
	s_cmp_gt_u32 s19, 7
	s_cbranch_scc1 .LBB3_474
; %bb.470:                              ;   in Loop: Header=BB3_441 Depth=1
	v_mov_b32_e32 v21, 0
	v_mov_b32_e32 v22, 0
	s_cmp_eq_u32 s19, 0
	s_cbranch_scc1 .LBB3_473
; %bb.471:                              ;   in Loop: Header=BB3_441 Depth=1
	s_mov_b64 s[10:11], 0
	s_mov_b64 s[16:17], 0
.LBB3_472:                              ;   Parent Loop BB3_441 Depth=1
                                        ; =>  This Inner Loop Header: Depth=2
	s_wait_alu 0xfffe
	s_add_nc_u64 s[20:21], s[0:1], s[16:17]
	s_add_nc_u64 s[16:17], s[16:17], 1
	global_load_u8 v6, v12, s[20:21]
	s_wait_alu 0xfffe
	s_cmp_lg_u32 s19, s16
	s_wait_loadcnt 0x0
	v_and_b32_e32 v11, 0xffff, v6
	s_delay_alu instid0(VALU_DEP_1) | instskip(SKIP_1) | instid1(VALU_DEP_1)
	v_lshlrev_b64_e32 v[6:7], s10, v[11:12]
	s_add_nc_u64 s[10:11], s[10:11], 8
	v_or_b32_e32 v21, v6, v21
	s_delay_alu instid0(VALU_DEP_2)
	v_or_b32_e32 v22, v7, v22
	s_cbranch_scc1 .LBB3_472
.LBB3_473:                              ;   in Loop: Header=BB3_441 Depth=1
	s_mov_b32 s18, 0
	s_cbranch_execz .LBB3_475
	s_branch .LBB3_476
.LBB3_474:                              ;   in Loop: Header=BB3_441 Depth=1
                                        ; implicit-def: $sgpr18
.LBB3_475:                              ;   in Loop: Header=BB3_441 Depth=1
	global_load_b64 v[21:22], v12, s[0:1]
	s_add_co_i32 s18, s19, -8
	s_add_nc_u64 s[0:1], s[0:1], 8
.LBB3_476:                              ;   in Loop: Header=BB3_441 Depth=1
	s_wait_alu 0xfffe
	s_cmp_gt_u32 s18, 7
	s_cbranch_scc1 .LBB3_481
; %bb.477:                              ;   in Loop: Header=BB3_441 Depth=1
	v_mov_b32_e32 v23, 0
	v_mov_b32_e32 v24, 0
	s_cmp_eq_u32 s18, 0
	s_cbranch_scc1 .LBB3_480
; %bb.478:                              ;   in Loop: Header=BB3_441 Depth=1
	s_mov_b64 s[10:11], 0
	s_mov_b64 s[16:17], 0
.LBB3_479:                              ;   Parent Loop BB3_441 Depth=1
                                        ; =>  This Inner Loop Header: Depth=2
	s_wait_alu 0xfffe
	s_add_nc_u64 s[20:21], s[0:1], s[16:17]
	s_add_nc_u64 s[16:17], s[16:17], 1
	global_load_u8 v6, v12, s[20:21]
	s_wait_alu 0xfffe
	s_cmp_lg_u32 s18, s16
	s_wait_loadcnt 0x0
	v_and_b32_e32 v11, 0xffff, v6
	s_delay_alu instid0(VALU_DEP_1) | instskip(SKIP_1) | instid1(VALU_DEP_1)
	v_lshlrev_b64_e32 v[6:7], s10, v[11:12]
	s_add_nc_u64 s[10:11], s[10:11], 8
	v_or_b32_e32 v23, v6, v23
	s_delay_alu instid0(VALU_DEP_2)
	v_or_b32_e32 v24, v7, v24
	s_cbranch_scc1 .LBB3_479
.LBB3_480:                              ;   in Loop: Header=BB3_441 Depth=1
	s_mov_b32 s19, 0
	s_cbranch_execz .LBB3_482
	s_branch .LBB3_483
.LBB3_481:                              ;   in Loop: Header=BB3_441 Depth=1
                                        ; implicit-def: $vgpr23_vgpr24
                                        ; implicit-def: $sgpr19
.LBB3_482:                              ;   in Loop: Header=BB3_441 Depth=1
	global_load_b64 v[23:24], v12, s[0:1]
	s_add_co_i32 s19, s18, -8
	s_add_nc_u64 s[0:1], s[0:1], 8
.LBB3_483:                              ;   in Loop: Header=BB3_441 Depth=1
	s_wait_alu 0xfffe
	s_cmp_gt_u32 s19, 7
	s_cbranch_scc1 .LBB3_488
; %bb.484:                              ;   in Loop: Header=BB3_441 Depth=1
	v_mov_b32_e32 v25, 0
	v_mov_b32_e32 v26, 0
	s_cmp_eq_u32 s19, 0
	s_cbranch_scc1 .LBB3_487
; %bb.485:                              ;   in Loop: Header=BB3_441 Depth=1
	s_mov_b64 s[10:11], 0
	s_mov_b64 s[16:17], s[0:1]
.LBB3_486:                              ;   Parent Loop BB3_441 Depth=1
                                        ; =>  This Inner Loop Header: Depth=2
	global_load_u8 v6, v12, s[16:17]
	s_add_co_i32 s19, s19, -1
	s_wait_alu 0xfffe
	s_add_nc_u64 s[16:17], s[16:17], 1
	s_cmp_lg_u32 s19, 0
	s_wait_loadcnt 0x0
	v_and_b32_e32 v11, 0xffff, v6
	s_delay_alu instid0(VALU_DEP_1) | instskip(SKIP_1) | instid1(VALU_DEP_1)
	v_lshlrev_b64_e32 v[6:7], s10, v[11:12]
	s_add_nc_u64 s[10:11], s[10:11], 8
	v_or_b32_e32 v25, v6, v25
	s_delay_alu instid0(VALU_DEP_2)
	v_or_b32_e32 v26, v7, v26
	s_cbranch_scc1 .LBB3_486
.LBB3_487:                              ;   in Loop: Header=BB3_441 Depth=1
	s_cbranch_execz .LBB3_489
	s_branch .LBB3_490
.LBB3_488:                              ;   in Loop: Header=BB3_441 Depth=1
.LBB3_489:                              ;   in Loop: Header=BB3_441 Depth=1
	global_load_b64 v[25:26], v12, s[0:1]
.LBB3_490:                              ;   in Loop: Header=BB3_441 Depth=1
	v_readfirstlane_b32 s0, v50
	v_mov_b32_e32 v6, 0
	v_mov_b32_e32 v7, 0
	s_wait_alu 0xf1ff
	s_delay_alu instid0(VALU_DEP_3) | instskip(NEXT) | instid1(VALU_DEP_1)
	v_cmp_eq_u32_e64 s0, s0, v50
	s_and_saveexec_b32 s1, s0
	s_cbranch_execz .LBB3_496
; %bb.491:                              ;   in Loop: Header=BB3_441 Depth=1
	global_load_b64 v[29:30], v12, s[22:23] offset:24 scope:SCOPE_SYS
	s_wait_loadcnt 0x0
	global_inv scope:SCOPE_SYS
	s_clause 0x1
	global_load_b64 v[6:7], v12, s[22:23] offset:40
	global_load_b64 v[27:28], v12, s[22:23]
	s_mov_b32 s10, exec_lo
	s_wait_loadcnt 0x1
	v_and_b32_e32 v7, v7, v30
	v_and_b32_e32 v6, v6, v29
	s_delay_alu instid0(VALU_DEP_2) | instskip(NEXT) | instid1(VALU_DEP_2)
	v_mul_lo_u32 v7, 24, v7
	v_mul_lo_u32 v11, 0, v6
	v_mul_hi_u32 v31, 24, v6
	v_mul_lo_u32 v6, 24, v6
	s_delay_alu instid0(VALU_DEP_3) | instskip(SKIP_1) | instid1(VALU_DEP_2)
	v_add_nc_u32_e32 v7, v7, v11
	s_wait_loadcnt 0x0
	v_add_co_u32 v6, vcc_lo, v27, v6
	s_delay_alu instid0(VALU_DEP_2) | instskip(SKIP_1) | instid1(VALU_DEP_1)
	v_add_nc_u32_e32 v7, v7, v31
	s_wait_alu 0xfffd
	v_add_co_ci_u32_e32 v7, vcc_lo, v28, v7, vcc_lo
	global_load_b64 v[27:28], v[6:7], off scope:SCOPE_SYS
	s_wait_loadcnt 0x0
	global_atomic_cmpswap_b64 v[6:7], v12, v[27:30], s[22:23] offset:24 th:TH_ATOMIC_RETURN scope:SCOPE_SYS
	s_wait_loadcnt 0x0
	global_inv scope:SCOPE_SYS
	v_cmpx_ne_u64_e64 v[6:7], v[29:30]
	s_cbranch_execz .LBB3_495
; %bb.492:                              ;   in Loop: Header=BB3_441 Depth=1
	s_mov_b32 s11, 0
.LBB3_493:                              ;   Parent Loop BB3_441 Depth=1
                                        ; =>  This Inner Loop Header: Depth=2
	s_sleep 1
	s_clause 0x1
	global_load_b64 v[27:28], v12, s[22:23] offset:40
	global_load_b64 v[31:32], v12, s[22:23]
	v_dual_mov_b32 v30, v7 :: v_dual_mov_b32 v29, v6
	s_wait_loadcnt 0x1
	s_delay_alu instid0(VALU_DEP_1) | instskip(NEXT) | instid1(VALU_DEP_2)
	v_and_b32_e32 v6, v27, v29
	v_and_b32_e32 v11, v28, v30
	s_wait_loadcnt 0x0
	s_delay_alu instid0(VALU_DEP_2) | instskip(NEXT) | instid1(VALU_DEP_1)
	v_mad_co_u64_u32 v[6:7], null, v6, 24, v[31:32]
	v_mad_co_u64_u32 v[27:28], null, v11, 24, v[7:8]
	s_delay_alu instid0(VALU_DEP_1)
	v_mov_b32_e32 v7, v27
	global_load_b64 v[27:28], v[6:7], off scope:SCOPE_SYS
	s_wait_loadcnt 0x0
	global_atomic_cmpswap_b64 v[6:7], v12, v[27:30], s[22:23] offset:24 th:TH_ATOMIC_RETURN scope:SCOPE_SYS
	s_wait_loadcnt 0x0
	global_inv scope:SCOPE_SYS
	v_cmp_eq_u64_e32 vcc_lo, v[6:7], v[29:30]
	s_wait_alu 0xfffe
	s_or_b32 s11, vcc_lo, s11
	s_wait_alu 0xfffe
	s_and_not1_b32 exec_lo, exec_lo, s11
	s_cbranch_execnz .LBB3_493
; %bb.494:                              ;   in Loop: Header=BB3_441 Depth=1
	s_or_b32 exec_lo, exec_lo, s11
.LBB3_495:                              ;   in Loop: Header=BB3_441 Depth=1
	s_wait_alu 0xfffe
	s_or_b32 exec_lo, exec_lo, s10
.LBB3_496:                              ;   in Loop: Header=BB3_441 Depth=1
	s_wait_alu 0xfffe
	s_or_b32 exec_lo, exec_lo, s1
	s_clause 0x1
	global_load_b64 v[31:32], v12, s[22:23] offset:40
	global_load_b128 v[27:30], v12, s[22:23]
	v_readfirstlane_b32 s1, v7
	v_readfirstlane_b32 s10, v6
	s_mov_b32 s11, exec_lo
	s_wait_loadcnt 0x1
	s_wait_alu 0xf1ff
	v_and_b32_e32 v32, s1, v32
	v_and_b32_e32 v31, s10, v31
	s_delay_alu instid0(VALU_DEP_2) | instskip(NEXT) | instid1(VALU_DEP_2)
	v_mul_lo_u32 v6, 24, v32
	v_mul_lo_u32 v7, 0, v31
	v_mul_hi_u32 v11, 24, v31
	v_mul_lo_u32 v34, 24, v31
	s_delay_alu instid0(VALU_DEP_3) | instskip(NEXT) | instid1(VALU_DEP_1)
	v_add_nc_u32_e32 v6, v6, v7
	v_add_nc_u32_e32 v7, v6, v11
	s_wait_loadcnt 0x0
	s_delay_alu instid0(VALU_DEP_3) | instskip(SKIP_1) | instid1(VALU_DEP_2)
	v_add_co_u32 v6, vcc_lo, v27, v34
	s_wait_alu 0xfffd
	v_add_co_ci_u32_e32 v7, vcc_lo, v28, v7, vcc_lo
	s_and_saveexec_b32 s16, s0
	s_cbranch_execz .LBB3_498
; %bb.497:                              ;   in Loop: Header=BB3_441 Depth=1
	s_wait_alu 0xfffe
	v_mov_b32_e32 v11, s11
	global_store_b128 v[6:7], v[11:14], off offset:8
.LBB3_498:                              ;   in Loop: Header=BB3_441 Depth=1
	s_wait_alu 0xfffe
	s_or_b32 exec_lo, exec_lo, s16
	v_cmp_gt_u64_e64 vcc_lo, s[4:5], 56
	v_lshlrev_b64_e32 v[31:32], 12, v[31:32]
	v_or_b32_e32 v11, 0, v1
	v_or_b32_e32 v34, v0, v33
	s_lshl_b32 s11, s6, 2
	s_wait_alu 0xfffe
	s_add_co_i32 s11, s11, 28
	s_wait_alu 0xfffd
	v_dual_cndmask_b32 v1, v11, v1 :: v_dual_cndmask_b32 v0, v34, v0
	v_add_co_u32 v29, vcc_lo, v29, v31
	s_wait_alu 0xfffd
	v_add_co_ci_u32_e32 v30, vcc_lo, v30, v32, vcc_lo
	s_wait_alu 0xfffe
	s_and_b32 s11, s11, 0x1e0
	v_readfirstlane_b32 s16, v29
	s_wait_alu 0xfffe
	v_and_or_b32 v0, 0xffffff1f, v0, s11
	v_readfirstlane_b32 s17, v30
	s_clause 0x3
	global_store_b128 v39, v[0:3], s[16:17]
	global_store_b128 v39, v[15:18], s[16:17] offset:16
	global_store_b128 v39, v[19:22], s[16:17] offset:32
	;; [unrolled: 1-line block ×3, first 2 shown]
	s_and_saveexec_b32 s11, s0
	s_cbranch_execz .LBB3_506
; %bb.499:                              ;   in Loop: Header=BB3_441 Depth=1
	s_clause 0x1
	global_load_b64 v[19:20], v12, s[22:23] offset:32 scope:SCOPE_SYS
	global_load_b64 v[0:1], v12, s[22:23] offset:40
	s_mov_b32 s16, exec_lo
	v_dual_mov_b32 v17, s10 :: v_dual_mov_b32 v18, s1
	s_wait_loadcnt 0x0
	v_and_b32_e32 v1, s1, v1
	v_and_b32_e32 v0, s10, v0
	s_delay_alu instid0(VALU_DEP_2) | instskip(NEXT) | instid1(VALU_DEP_2)
	v_mul_lo_u32 v1, 24, v1
	v_mul_lo_u32 v2, 0, v0
	v_mul_hi_u32 v3, 24, v0
	v_mul_lo_u32 v0, 24, v0
	s_delay_alu instid0(VALU_DEP_3) | instskip(NEXT) | instid1(VALU_DEP_2)
	v_add_nc_u32_e32 v1, v1, v2
	v_add_co_u32 v15, vcc_lo, v27, v0
	s_delay_alu instid0(VALU_DEP_2) | instskip(SKIP_1) | instid1(VALU_DEP_1)
	v_add_nc_u32_e32 v1, v1, v3
	s_wait_alu 0xfffd
	v_add_co_ci_u32_e32 v16, vcc_lo, v28, v1, vcc_lo
	global_store_b64 v[15:16], v[19:20], off
	global_wb scope:SCOPE_SYS
	s_wait_storecnt 0x0
	global_atomic_cmpswap_b64 v[2:3], v12, v[17:20], s[22:23] offset:32 th:TH_ATOMIC_RETURN scope:SCOPE_SYS
	s_wait_loadcnt 0x0
	v_cmpx_ne_u64_e64 v[2:3], v[19:20]
	s_cbranch_execz .LBB3_502
; %bb.500:                              ;   in Loop: Header=BB3_441 Depth=1
	s_mov_b32 s17, 0
.LBB3_501:                              ;   Parent Loop BB3_441 Depth=1
                                        ; =>  This Inner Loop Header: Depth=2
	v_dual_mov_b32 v0, s10 :: v_dual_mov_b32 v1, s1
	s_sleep 1
	global_store_b64 v[15:16], v[2:3], off
	global_wb scope:SCOPE_SYS
	s_wait_storecnt 0x0
	global_atomic_cmpswap_b64 v[0:1], v12, v[0:3], s[22:23] offset:32 th:TH_ATOMIC_RETURN scope:SCOPE_SYS
	s_wait_loadcnt 0x0
	v_cmp_eq_u64_e32 vcc_lo, v[0:1], v[2:3]
	v_dual_mov_b32 v3, v1 :: v_dual_mov_b32 v2, v0
	s_wait_alu 0xfffe
	s_or_b32 s17, vcc_lo, s17
	s_wait_alu 0xfffe
	s_and_not1_b32 exec_lo, exec_lo, s17
	s_cbranch_execnz .LBB3_501
.LBB3_502:                              ;   in Loop: Header=BB3_441 Depth=1
	s_wait_alu 0xfffe
	s_or_b32 exec_lo, exec_lo, s16
	global_load_b64 v[0:1], v12, s[22:23] offset:16
	s_mov_b32 s17, exec_lo
	s_mov_b32 s16, exec_lo
	s_wait_alu 0xfffe
	v_mbcnt_lo_u32_b32 v2, s17, 0
	s_delay_alu instid0(VALU_DEP_1)
	v_cmpx_eq_u32_e32 0, v2
	s_cbranch_execz .LBB3_504
; %bb.503:                              ;   in Loop: Header=BB3_441 Depth=1
	s_bcnt1_i32_b32 s17, s17
	s_wait_alu 0xfffe
	v_mov_b32_e32 v11, s17
	global_wb scope:SCOPE_SYS
	s_wait_loadcnt 0x0
	global_atomic_add_u64 v[0:1], v[11:12], off offset:8 scope:SCOPE_SYS
.LBB3_504:                              ;   in Loop: Header=BB3_441 Depth=1
	s_or_b32 exec_lo, exec_lo, s16
	s_wait_loadcnt 0x0
	global_load_b64 v[2:3], v[0:1], off offset:16
	s_wait_loadcnt 0x0
	v_cmp_eq_u64_e32 vcc_lo, 0, v[2:3]
	s_cbranch_vccnz .LBB3_506
; %bb.505:                              ;   in Loop: Header=BB3_441 Depth=1
	global_load_b32 v11, v[0:1], off offset:24
	s_wait_loadcnt 0x0
	v_and_b32_e32 v0, 0xffffff, v11
	global_wb scope:SCOPE_SYS
	s_wait_storecnt 0x0
	global_store_b64 v[2:3], v[11:12], off scope:SCOPE_SYS
	v_readfirstlane_b32 m0, v0
	s_sendmsg sendmsg(MSG_INTERRUPT)
.LBB3_506:                              ;   in Loop: Header=BB3_441 Depth=1
	s_wait_alu 0xfffe
	s_or_b32 exec_lo, exec_lo, s11
	v_add_co_u32 v0, vcc_lo, v29, v39
	s_wait_alu 0xfffd
	v_add_co_ci_u32_e32 v1, vcc_lo, 0, v30, vcc_lo
	s_branch .LBB3_510
.LBB3_507:                              ;   in Loop: Header=BB3_510 Depth=2
	s_wait_alu 0xfffe
	s_or_b32 exec_lo, exec_lo, s11
	s_delay_alu instid0(VALU_DEP_1) | instskip(NEXT) | instid1(VALU_DEP_1)
	v_readfirstlane_b32 s11, v2
	s_cmp_eq_u32 s11, 0
	s_cbranch_scc1 .LBB3_509
; %bb.508:                              ;   in Loop: Header=BB3_510 Depth=2
	s_sleep 1
	s_cbranch_execnz .LBB3_510
	s_branch .LBB3_512
.LBB3_509:                              ;   in Loop: Header=BB3_441 Depth=1
	s_branch .LBB3_512
.LBB3_510:                              ;   Parent Loop BB3_441 Depth=1
                                        ; =>  This Inner Loop Header: Depth=2
	v_mov_b32_e32 v2, 1
	s_and_saveexec_b32 s11, s0
	s_cbranch_execz .LBB3_507
; %bb.511:                              ;   in Loop: Header=BB3_510 Depth=2
	global_load_b32 v2, v[6:7], off offset:20 scope:SCOPE_SYS
	s_wait_loadcnt 0x0
	global_inv scope:SCOPE_SYS
	v_and_b32_e32 v2, 1, v2
	s_branch .LBB3_507
.LBB3_512:                              ;   in Loop: Header=BB3_441 Depth=1
	global_load_b128 v[0:3], v[0:1], off
	s_and_saveexec_b32 s11, s0
	s_cbranch_execz .LBB3_440
; %bb.513:                              ;   in Loop: Header=BB3_441 Depth=1
	s_clause 0x2
	global_load_b64 v[2:3], v12, s[22:23] offset:40
	global_load_b64 v[6:7], v12, s[22:23] offset:24 scope:SCOPE_SYS
	global_load_b64 v[17:18], v12, s[22:23]
	s_wait_loadcnt 0x2
	v_add_co_u32 v11, vcc_lo, v2, 1
	s_wait_alu 0xfffd
	v_add_co_ci_u32_e32 v19, vcc_lo, 0, v3, vcc_lo
	s_delay_alu instid0(VALU_DEP_2) | instskip(SKIP_1) | instid1(VALU_DEP_2)
	v_add_co_u32 v15, vcc_lo, v11, s10
	s_wait_alu 0xfffd
	v_add_co_ci_u32_e32 v16, vcc_lo, s1, v19, vcc_lo
	s_delay_alu instid0(VALU_DEP_1) | instskip(SKIP_3) | instid1(VALU_DEP_2)
	v_cmp_eq_u64_e32 vcc_lo, 0, v[15:16]
	s_wait_alu 0xfffd
	v_cndmask_b32_e32 v15, v15, v11, vcc_lo
	v_cndmask_b32_e32 v16, v16, v19, vcc_lo
	v_and_b32_e32 v2, v15, v2
	s_delay_alu instid0(VALU_DEP_1) | instskip(SKIP_3) | instid1(VALU_DEP_1)
	v_mul_lo_u32 v11, 0, v2
	v_mul_hi_u32 v19, 24, v2
	v_mul_lo_u32 v2, 24, v2
	s_wait_loadcnt 0x0
	v_add_co_u32 v2, vcc_lo, v17, v2
	v_mov_b32_e32 v17, v6
	v_and_b32_e32 v3, v16, v3
	s_delay_alu instid0(VALU_DEP_1) | instskip(NEXT) | instid1(VALU_DEP_1)
	v_mul_lo_u32 v3, 24, v3
	v_add_nc_u32_e32 v3, v3, v11
	s_delay_alu instid0(VALU_DEP_1) | instskip(SKIP_1) | instid1(VALU_DEP_1)
	v_add_nc_u32_e32 v3, v3, v19
	s_wait_alu 0xfffd
	v_add_co_ci_u32_e32 v3, vcc_lo, v18, v3, vcc_lo
	v_mov_b32_e32 v18, v7
	global_store_b64 v[2:3], v[6:7], off
	global_wb scope:SCOPE_SYS
	s_wait_storecnt 0x0
	global_atomic_cmpswap_b64 v[17:18], v12, v[15:18], s[22:23] offset:24 th:TH_ATOMIC_RETURN scope:SCOPE_SYS
	s_wait_loadcnt 0x0
	v_cmp_ne_u64_e32 vcc_lo, v[17:18], v[6:7]
	s_and_b32 exec_lo, exec_lo, vcc_lo
	s_cbranch_execz .LBB3_440
; %bb.514:                              ;   in Loop: Header=BB3_441 Depth=1
	s_mov_b32 s0, 0
.LBB3_515:                              ;   Parent Loop BB3_441 Depth=1
                                        ; =>  This Inner Loop Header: Depth=2
	s_sleep 1
	global_store_b64 v[2:3], v[17:18], off
	global_wb scope:SCOPE_SYS
	s_wait_storecnt 0x0
	global_atomic_cmpswap_b64 v[6:7], v12, v[15:18], s[22:23] offset:24 th:TH_ATOMIC_RETURN scope:SCOPE_SYS
	s_wait_loadcnt 0x0
	v_cmp_eq_u64_e32 vcc_lo, v[6:7], v[17:18]
	v_dual_mov_b32 v18, v7 :: v_dual_mov_b32 v17, v6
	s_wait_alu 0xfffe
	s_or_b32 s0, vcc_lo, s0
	s_wait_alu 0xfffe
	s_and_not1_b32 exec_lo, exec_lo, s0
	s_cbranch_execnz .LBB3_515
	s_branch .LBB3_440
.LBB3_516:
	s_branch .LBB3_545
.LBB3_517:
                                        ; implicit-def: $vgpr0_vgpr1
	s_cbranch_execz .LBB3_545
; %bb.518:
	v_readfirstlane_b32 s0, v50
	v_mov_b32_e32 v6, 0
	v_mov_b32_e32 v7, 0
	s_wait_alu 0xf1ff
	s_delay_alu instid0(VALU_DEP_3) | instskip(NEXT) | instid1(VALU_DEP_1)
	v_cmp_eq_u32_e64 s0, s0, v50
	s_and_saveexec_b32 s1, s0
	s_cbranch_execz .LBB3_524
; %bb.519:
	s_wait_loadcnt 0x0
	v_mov_b32_e32 v0, 0
	s_mov_b32 s2, exec_lo
	global_load_b64 v[13:14], v0, s[22:23] offset:24 scope:SCOPE_SYS
	s_wait_loadcnt 0x0
	global_inv scope:SCOPE_SYS
	s_clause 0x1
	global_load_b64 v[1:2], v0, s[22:23] offset:40
	global_load_b64 v[6:7], v0, s[22:23]
	s_wait_loadcnt 0x1
	v_and_b32_e32 v1, v1, v13
	v_and_b32_e32 v2, v2, v14
	s_delay_alu instid0(VALU_DEP_2) | instskip(NEXT) | instid1(VALU_DEP_2)
	v_mul_lo_u32 v3, 0, v1
	v_mul_lo_u32 v2, 24, v2
	v_mul_hi_u32 v11, 24, v1
	v_mul_lo_u32 v1, 24, v1
	s_delay_alu instid0(VALU_DEP_3) | instskip(SKIP_1) | instid1(VALU_DEP_2)
	v_add_nc_u32_e32 v2, v2, v3
	s_wait_loadcnt 0x0
	v_add_co_u32 v1, vcc_lo, v6, v1
	s_delay_alu instid0(VALU_DEP_2) | instskip(SKIP_1) | instid1(VALU_DEP_1)
	v_add_nc_u32_e32 v2, v2, v11
	s_wait_alu 0xfffd
	v_add_co_ci_u32_e32 v2, vcc_lo, v7, v2, vcc_lo
	global_load_b64 v[11:12], v[1:2], off scope:SCOPE_SYS
	s_wait_loadcnt 0x0
	global_atomic_cmpswap_b64 v[6:7], v0, v[11:14], s[22:23] offset:24 th:TH_ATOMIC_RETURN scope:SCOPE_SYS
	s_wait_loadcnt 0x0
	global_inv scope:SCOPE_SYS
	v_cmpx_ne_u64_e64 v[6:7], v[13:14]
	s_cbranch_execz .LBB3_523
; %bb.520:
	s_mov_b32 s3, 0
.LBB3_521:                              ; =>This Inner Loop Header: Depth=1
	s_sleep 1
	s_clause 0x1
	global_load_b64 v[1:2], v0, s[22:23] offset:40
	global_load_b64 v[11:12], v0, s[22:23]
	v_dual_mov_b32 v14, v7 :: v_dual_mov_b32 v13, v6
	s_wait_loadcnt 0x1
	s_delay_alu instid0(VALU_DEP_1) | instskip(SKIP_1) | instid1(VALU_DEP_1)
	v_and_b32_e32 v1, v1, v13
	s_wait_loadcnt 0x0
	v_mad_co_u64_u32 v[6:7], null, v1, 24, v[11:12]
	s_delay_alu instid0(VALU_DEP_1) | instskip(NEXT) | instid1(VALU_DEP_1)
	v_dual_mov_b32 v1, v7 :: v_dual_and_b32 v2, v2, v14
	v_mad_co_u64_u32 v[1:2], null, v2, 24, v[1:2]
	s_delay_alu instid0(VALU_DEP_1)
	v_mov_b32_e32 v7, v1
	global_load_b64 v[11:12], v[6:7], off scope:SCOPE_SYS
	s_wait_loadcnt 0x0
	global_atomic_cmpswap_b64 v[6:7], v0, v[11:14], s[22:23] offset:24 th:TH_ATOMIC_RETURN scope:SCOPE_SYS
	s_wait_loadcnt 0x0
	global_inv scope:SCOPE_SYS
	v_cmp_eq_u64_e32 vcc_lo, v[6:7], v[13:14]
	s_wait_alu 0xfffe
	s_or_b32 s3, vcc_lo, s3
	s_wait_alu 0xfffe
	s_and_not1_b32 exec_lo, exec_lo, s3
	s_cbranch_execnz .LBB3_521
; %bb.522:
	s_or_b32 exec_lo, exec_lo, s3
.LBB3_523:
	s_wait_alu 0xfffe
	s_or_b32 exec_lo, exec_lo, s2
.LBB3_524:
	s_wait_alu 0xfffe
	s_or_b32 exec_lo, exec_lo, s1
	v_readfirstlane_b32 s2, v6
	v_mov_b32_e32 v11, 0
	v_readfirstlane_b32 s1, v7
	s_mov_b32 s3, exec_lo
	s_clause 0x1
	global_load_b64 v[12:13], v11, s[22:23] offset:40
	global_load_b128 v[0:3], v11, s[22:23]
	s_wait_loadcnt 0x1
	s_wait_alu 0xf1ff
	v_and_b32_e32 v12, s2, v12
	v_and_b32_e32 v13, s1, v13
	s_delay_alu instid0(VALU_DEP_2) | instskip(NEXT) | instid1(VALU_DEP_2)
	v_mul_lo_u32 v7, 0, v12
	v_mul_lo_u32 v6, 24, v13
	v_mul_hi_u32 v14, 24, v12
	v_mul_lo_u32 v15, 24, v12
	s_delay_alu instid0(VALU_DEP_3) | instskip(NEXT) | instid1(VALU_DEP_1)
	v_add_nc_u32_e32 v6, v6, v7
	v_add_nc_u32_e32 v7, v6, v14
	s_wait_loadcnt 0x0
	s_delay_alu instid0(VALU_DEP_3) | instskip(SKIP_1) | instid1(VALU_DEP_2)
	v_add_co_u32 v6, vcc_lo, v0, v15
	s_wait_alu 0xfffd
	v_add_co_ci_u32_e32 v7, vcc_lo, v1, v7, vcc_lo
	s_and_saveexec_b32 s4, s0
	s_cbranch_execz .LBB3_526
; %bb.525:
	s_wait_alu 0xfffe
	v_dual_mov_b32 v14, s3 :: v_dual_mov_b32 v15, v11
	v_dual_mov_b32 v16, 2 :: v_dual_mov_b32 v17, 1
	global_store_b128 v[6:7], v[14:17], off offset:8
.LBB3_526:
	s_wait_alu 0xfffe
	s_or_b32 exec_lo, exec_lo, s4
	v_lshlrev_b64_e32 v[13:14], 12, v[12:13]
	s_mov_b32 s4, 0
	v_and_or_b32 v9, 0xffffff1f, v9, 32
	s_wait_alu 0xfffe
	s_mov_b32 s7, s4
	s_mov_b32 s5, s4
	;; [unrolled: 1-line block ×3, first 2 shown]
	v_add_co_u32 v2, vcc_lo, v2, v13
	s_wait_alu 0xfffd
	v_add_co_ci_u32_e32 v3, vcc_lo, v3, v14, vcc_lo
	v_mov_b32_e32 v12, v11
	s_delay_alu instid0(VALU_DEP_3) | instskip(SKIP_1) | instid1(VALU_DEP_4)
	v_add_co_u32 v13, vcc_lo, v2, v39
	v_readfirstlane_b32 s10, v2
	v_readfirstlane_b32 s11, v3
	s_wait_alu 0xfffe
	v_dual_mov_b32 v18, s7 :: v_dual_mov_b32 v15, s4
	s_wait_alu 0xfffd
	v_add_co_ci_u32_e32 v14, vcc_lo, 0, v3, vcc_lo
	v_dual_mov_b32 v17, s6 :: v_dual_mov_b32 v16, s5
	s_clause 0x3
	global_store_b128 v39, v[9:12], s[10:11]
	global_store_b128 v39, v[15:18], s[10:11] offset:16
	global_store_b128 v39, v[15:18], s[10:11] offset:32
	global_store_b128 v39, v[15:18], s[10:11] offset:48
	s_and_saveexec_b32 s3, s0
	s_cbranch_execz .LBB3_534
; %bb.527:
	v_mov_b32_e32 v11, 0
	v_mov_b32_e32 v15, s2
	s_mov_b32 s4, exec_lo
	s_clause 0x1
	global_load_b64 v[17:18], v11, s[22:23] offset:32 scope:SCOPE_SYS
	global_load_b64 v[2:3], v11, s[22:23] offset:40
	v_mov_b32_e32 v16, s1
	s_wait_loadcnt 0x0
	v_and_b32_e32 v2, s2, v2
	v_and_b32_e32 v3, s1, v3
	s_delay_alu instid0(VALU_DEP_2) | instskip(NEXT) | instid1(VALU_DEP_2)
	v_mul_lo_u32 v9, 0, v2
	v_mul_lo_u32 v3, 24, v3
	v_mul_hi_u32 v10, 24, v2
	v_mul_lo_u32 v2, 24, v2
	s_delay_alu instid0(VALU_DEP_3) | instskip(NEXT) | instid1(VALU_DEP_2)
	v_add_nc_u32_e32 v3, v3, v9
	v_add_co_u32 v9, vcc_lo, v0, v2
	s_delay_alu instid0(VALU_DEP_2) | instskip(SKIP_1) | instid1(VALU_DEP_1)
	v_add_nc_u32_e32 v3, v3, v10
	s_wait_alu 0xfffd
	v_add_co_ci_u32_e32 v10, vcc_lo, v1, v3, vcc_lo
	global_store_b64 v[9:10], v[17:18], off
	global_wb scope:SCOPE_SYS
	s_wait_storecnt 0x0
	global_atomic_cmpswap_b64 v[2:3], v11, v[15:18], s[22:23] offset:32 th:TH_ATOMIC_RETURN scope:SCOPE_SYS
	s_wait_loadcnt 0x0
	v_cmpx_ne_u64_e64 v[2:3], v[17:18]
	s_cbranch_execz .LBB3_530
; %bb.528:
	s_mov_b32 s5, 0
.LBB3_529:                              ; =>This Inner Loop Header: Depth=1
	v_dual_mov_b32 v0, s2 :: v_dual_mov_b32 v1, s1
	s_sleep 1
	global_store_b64 v[9:10], v[2:3], off
	global_wb scope:SCOPE_SYS
	s_wait_storecnt 0x0
	global_atomic_cmpswap_b64 v[0:1], v11, v[0:3], s[22:23] offset:32 th:TH_ATOMIC_RETURN scope:SCOPE_SYS
	s_wait_loadcnt 0x0
	v_cmp_eq_u64_e32 vcc_lo, v[0:1], v[2:3]
	v_dual_mov_b32 v3, v1 :: v_dual_mov_b32 v2, v0
	s_wait_alu 0xfffe
	s_or_b32 s5, vcc_lo, s5
	s_wait_alu 0xfffe
	s_and_not1_b32 exec_lo, exec_lo, s5
	s_cbranch_execnz .LBB3_529
.LBB3_530:
	s_wait_alu 0xfffe
	s_or_b32 exec_lo, exec_lo, s4
	v_mov_b32_e32 v3, 0
	s_mov_b32 s5, exec_lo
	s_mov_b32 s4, exec_lo
	s_wait_alu 0xfffe
	v_mbcnt_lo_u32_b32 v2, s5, 0
	global_load_b64 v[0:1], v3, s[22:23] offset:16
	v_cmpx_eq_u32_e32 0, v2
	s_cbranch_execz .LBB3_532
; %bb.531:
	s_bcnt1_i32_b32 s5, s5
	s_wait_alu 0xfffe
	v_mov_b32_e32 v2, s5
	global_wb scope:SCOPE_SYS
	s_wait_loadcnt 0x0
	global_atomic_add_u64 v[0:1], v[2:3], off offset:8 scope:SCOPE_SYS
.LBB3_532:
	s_or_b32 exec_lo, exec_lo, s4
	s_wait_loadcnt 0x0
	global_load_b64 v[2:3], v[0:1], off offset:16
	s_wait_loadcnt 0x0
	v_cmp_eq_u64_e32 vcc_lo, 0, v[2:3]
	s_cbranch_vccnz .LBB3_534
; %bb.533:
	global_load_b32 v0, v[0:1], off offset:24
	v_mov_b32_e32 v1, 0
	s_wait_loadcnt 0x0
	v_and_b32_e32 v9, 0xffffff, v0
	global_wb scope:SCOPE_SYS
	s_wait_storecnt 0x0
	global_store_b64 v[2:3], v[0:1], off scope:SCOPE_SYS
	v_readfirstlane_b32 m0, v9
	s_sendmsg sendmsg(MSG_INTERRUPT)
.LBB3_534:
	s_wait_alu 0xfffe
	s_or_b32 exec_lo, exec_lo, s3
	s_branch .LBB3_538
.LBB3_535:                              ;   in Loop: Header=BB3_538 Depth=1
	s_wait_alu 0xfffe
	s_or_b32 exec_lo, exec_lo, s3
	s_delay_alu instid0(VALU_DEP_1) | instskip(NEXT) | instid1(VALU_DEP_1)
	v_readfirstlane_b32 s3, v0
	s_cmp_eq_u32 s3, 0
	s_cbranch_scc1 .LBB3_537
; %bb.536:                              ;   in Loop: Header=BB3_538 Depth=1
	s_sleep 1
	s_cbranch_execnz .LBB3_538
	s_branch .LBB3_540
.LBB3_537:
	s_branch .LBB3_540
.LBB3_538:                              ; =>This Inner Loop Header: Depth=1
	v_mov_b32_e32 v0, 1
	s_and_saveexec_b32 s3, s0
	s_cbranch_execz .LBB3_535
; %bb.539:                              ;   in Loop: Header=BB3_538 Depth=1
	global_load_b32 v0, v[6:7], off offset:20 scope:SCOPE_SYS
	s_wait_loadcnt 0x0
	global_inv scope:SCOPE_SYS
	v_and_b32_e32 v0, 1, v0
	s_branch .LBB3_535
.LBB3_540:
	global_load_b64 v[0:1], v[13:14], off
	s_and_saveexec_b32 s3, s0
	s_cbranch_execz .LBB3_544
; %bb.541:
	v_mov_b32_e32 v6, 0
	s_clause 0x2
	global_load_b64 v[2:3], v6, s[22:23] offset:40
	global_load_b64 v[13:14], v6, s[22:23] offset:24 scope:SCOPE_SYS
	global_load_b64 v[11:12], v6, s[22:23]
	s_wait_loadcnt 0x2
	v_add_co_u32 v7, vcc_lo, v2, 1
	s_wait_alu 0xfffd
	v_add_co_ci_u32_e32 v15, vcc_lo, 0, v3, vcc_lo
	s_delay_alu instid0(VALU_DEP_2) | instskip(SKIP_1) | instid1(VALU_DEP_2)
	v_add_co_u32 v9, vcc_lo, v7, s2
	s_wait_alu 0xfffd
	v_add_co_ci_u32_e32 v10, vcc_lo, s1, v15, vcc_lo
	s_delay_alu instid0(VALU_DEP_1) | instskip(SKIP_3) | instid1(VALU_DEP_2)
	v_cmp_eq_u64_e32 vcc_lo, 0, v[9:10]
	s_wait_alu 0xfffd
	v_cndmask_b32_e32 v9, v9, v7, vcc_lo
	v_cndmask_b32_e32 v10, v10, v15, vcc_lo
	v_and_b32_e32 v2, v9, v2
	s_delay_alu instid0(VALU_DEP_1) | instskip(SKIP_3) | instid1(VALU_DEP_1)
	v_mul_lo_u32 v7, 0, v2
	v_mul_hi_u32 v15, 24, v2
	v_mul_lo_u32 v2, 24, v2
	s_wait_loadcnt 0x0
	v_add_co_u32 v2, vcc_lo, v11, v2
	v_mov_b32_e32 v11, v13
	v_and_b32_e32 v3, v10, v3
	s_delay_alu instid0(VALU_DEP_1) | instskip(NEXT) | instid1(VALU_DEP_1)
	v_mul_lo_u32 v3, 24, v3
	v_add_nc_u32_e32 v3, v3, v7
	s_delay_alu instid0(VALU_DEP_1) | instskip(SKIP_1) | instid1(VALU_DEP_1)
	v_add_nc_u32_e32 v3, v3, v15
	s_wait_alu 0xfffd
	v_add_co_ci_u32_e32 v3, vcc_lo, v12, v3, vcc_lo
	v_mov_b32_e32 v12, v14
	global_store_b64 v[2:3], v[13:14], off
	global_wb scope:SCOPE_SYS
	s_wait_storecnt 0x0
	global_atomic_cmpswap_b64 v[11:12], v6, v[9:12], s[22:23] offset:24 th:TH_ATOMIC_RETURN scope:SCOPE_SYS
	s_wait_loadcnt 0x0
	v_cmp_ne_u64_e32 vcc_lo, v[11:12], v[13:14]
	s_and_b32 exec_lo, exec_lo, vcc_lo
	s_cbranch_execz .LBB3_544
; %bb.542:
	s_mov_b32 s0, 0
.LBB3_543:                              ; =>This Inner Loop Header: Depth=1
	s_sleep 1
	global_store_b64 v[2:3], v[11:12], off
	global_wb scope:SCOPE_SYS
	s_wait_storecnt 0x0
	global_atomic_cmpswap_b64 v[13:14], v6, v[9:12], s[22:23] offset:24 th:TH_ATOMIC_RETURN scope:SCOPE_SYS
	s_wait_loadcnt 0x0
	v_cmp_eq_u64_e32 vcc_lo, v[13:14], v[11:12]
	v_dual_mov_b32 v11, v13 :: v_dual_mov_b32 v12, v14
	s_wait_alu 0xfffe
	s_or_b32 s0, vcc_lo, s0
	s_wait_alu 0xfffe
	s_and_not1_b32 exec_lo, exec_lo, s0
	s_cbranch_execnz .LBB3_543
.LBB3_544:
	s_wait_alu 0xfffe
	s_or_b32 exec_lo, exec_lo, s3
.LBB3_545:
	s_getpc_b64 s[2:3]
	s_wait_alu 0xfffe
	s_sext_i32_i16 s3, s3
	s_add_co_u32 s2, s2, .str.1@rel32@lo+12
	s_wait_alu 0xfffe
	s_add_co_ci_u32 s3, s3, .str.1@rel32@hi+24
	s_wait_alu 0xfffe
	s_cmp_lg_u64 s[2:3], 0
	s_cbranch_scc0 .LBB3_624
; %bb.546:
	s_wait_loadcnt 0x0
	v_dual_mov_b32 v14, v1 :: v_dual_and_b32 v13, -3, v0
	v_dual_mov_b32 v10, 0 :: v_dual_mov_b32 v11, 2
	v_mov_b32_e32 v12, 1
	s_mov_b64 s[4:5], 0x4f
	s_branch .LBB3_548
.LBB3_547:                              ;   in Loop: Header=BB3_548 Depth=1
	s_wait_alu 0xfffe
	s_or_b32 exec_lo, exec_lo, s11
	s_sub_nc_u64 s[4:5], s[4:5], s[6:7]
	s_add_nc_u64 s[2:3], s[2:3], s[6:7]
	s_wait_alu 0xfffe
	s_cmp_lg_u64 s[4:5], 0
	s_cbranch_scc0 .LBB3_623
.LBB3_548:                              ; =>This Loop Header: Depth=1
                                        ;     Child Loop BB3_557 Depth 2
                                        ;     Child Loop BB3_553 Depth 2
	;; [unrolled: 1-line block ×11, first 2 shown]
	s_wait_alu 0xfffe
	v_cmp_lt_u64_e64 s0, s[4:5], 56
	v_cmp_gt_u64_e64 s1, s[4:5], 7
                                        ; implicit-def: $sgpr18
	s_delay_alu instid0(VALU_DEP_2) | instskip(SKIP_2) | instid1(VALU_DEP_1)
	s_and_b32 s0, s0, exec_lo
	s_cselect_b32 s7, s5, 0
	s_cselect_b32 s6, s4, 56
	s_and_b32 vcc_lo, exec_lo, s1
	s_mov_b32 s0, -1
	s_wait_alu 0xfffe
	s_cbranch_vccz .LBB3_555
; %bb.549:                              ;   in Loop: Header=BB3_548 Depth=1
	s_and_not1_b32 vcc_lo, exec_lo, s0
	s_mov_b64 s[0:1], s[2:3]
	s_wait_alu 0xfffe
	s_cbranch_vccz .LBB3_559
.LBB3_550:                              ;   in Loop: Header=BB3_548 Depth=1
	s_wait_alu 0xfffe
	s_cmp_gt_u32 s18, 7
	s_cbranch_scc1 .LBB3_560
.LBB3_551:                              ;   in Loop: Header=BB3_548 Depth=1
	v_mov_b32_e32 v17, 0
	v_mov_b32_e32 v18, 0
	s_cmp_eq_u32 s18, 0
	s_cbranch_scc1 .LBB3_554
; %bb.552:                              ;   in Loop: Header=BB3_548 Depth=1
	s_mov_b64 s[10:11], 0
	s_mov_b64 s[16:17], 0
.LBB3_553:                              ;   Parent Loop BB3_548 Depth=1
                                        ; =>  This Inner Loop Header: Depth=2
	s_wait_alu 0xfffe
	s_add_nc_u64 s[20:21], s[0:1], s[16:17]
	s_add_nc_u64 s[16:17], s[16:17], 1
	global_load_u8 v2, v10, s[20:21]
	s_wait_alu 0xfffe
	s_cmp_lg_u32 s18, s16
	s_wait_loadcnt 0x0
	v_and_b32_e32 v9, 0xffff, v2
	s_delay_alu instid0(VALU_DEP_1) | instskip(SKIP_1) | instid1(VALU_DEP_1)
	v_lshlrev_b64_e32 v[2:3], s10, v[9:10]
	s_add_nc_u64 s[10:11], s[10:11], 8
	v_or_b32_e32 v17, v2, v17
	s_delay_alu instid0(VALU_DEP_2)
	v_or_b32_e32 v18, v3, v18
	s_cbranch_scc1 .LBB3_553
.LBB3_554:                              ;   in Loop: Header=BB3_548 Depth=1
	s_mov_b32 s19, 0
	s_cbranch_execz .LBB3_561
	s_branch .LBB3_562
.LBB3_555:                              ;   in Loop: Header=BB3_548 Depth=1
	s_wait_loadcnt 0x0
	v_mov_b32_e32 v15, 0
	v_mov_b32_e32 v16, 0
	s_cmp_eq_u64 s[4:5], 0
	s_mov_b64 s[0:1], 0
	s_cbranch_scc1 .LBB3_558
; %bb.556:                              ;   in Loop: Header=BB3_548 Depth=1
	v_mov_b32_e32 v15, 0
	v_mov_b32_e32 v16, 0
	s_mov_b64 s[10:11], 0
.LBB3_557:                              ;   Parent Loop BB3_548 Depth=1
                                        ; =>  This Inner Loop Header: Depth=2
	s_wait_alu 0xfffe
	s_add_nc_u64 s[16:17], s[2:3], s[10:11]
	s_add_nc_u64 s[10:11], s[10:11], 1
	global_load_u8 v2, v10, s[16:17]
	s_wait_alu 0xfffe
	s_cmp_lg_u32 s6, s10
	s_wait_loadcnt 0x0
	v_and_b32_e32 v9, 0xffff, v2
	s_delay_alu instid0(VALU_DEP_1) | instskip(SKIP_1) | instid1(VALU_DEP_1)
	v_lshlrev_b64_e32 v[2:3], s0, v[9:10]
	s_add_nc_u64 s[0:1], s[0:1], 8
	v_or_b32_e32 v15, v2, v15
	s_delay_alu instid0(VALU_DEP_2)
	v_or_b32_e32 v16, v3, v16
	s_cbranch_scc1 .LBB3_557
.LBB3_558:                              ;   in Loop: Header=BB3_548 Depth=1
	s_mov_b32 s18, 0
	s_mov_b64 s[0:1], s[2:3]
	s_cbranch_execnz .LBB3_550
.LBB3_559:                              ;   in Loop: Header=BB3_548 Depth=1
	global_load_b64 v[15:16], v10, s[2:3]
	s_add_co_i32 s18, s6, -8
	s_add_nc_u64 s[0:1], s[2:3], 8
	s_wait_alu 0xfffe
	s_cmp_gt_u32 s18, 7
	s_cbranch_scc0 .LBB3_551
.LBB3_560:                              ;   in Loop: Header=BB3_548 Depth=1
                                        ; implicit-def: $vgpr17_vgpr18
                                        ; implicit-def: $sgpr19
.LBB3_561:                              ;   in Loop: Header=BB3_548 Depth=1
	global_load_b64 v[17:18], v10, s[0:1]
	s_add_co_i32 s19, s18, -8
	s_add_nc_u64 s[0:1], s[0:1], 8
.LBB3_562:                              ;   in Loop: Header=BB3_548 Depth=1
	s_wait_alu 0xfffe
	s_cmp_gt_u32 s19, 7
	s_cbranch_scc1 .LBB3_567
; %bb.563:                              ;   in Loop: Header=BB3_548 Depth=1
	v_mov_b32_e32 v19, 0
	v_mov_b32_e32 v20, 0
	s_cmp_eq_u32 s19, 0
	s_cbranch_scc1 .LBB3_566
; %bb.564:                              ;   in Loop: Header=BB3_548 Depth=1
	s_mov_b64 s[10:11], 0
	s_mov_b64 s[16:17], 0
.LBB3_565:                              ;   Parent Loop BB3_548 Depth=1
                                        ; =>  This Inner Loop Header: Depth=2
	s_wait_alu 0xfffe
	s_add_nc_u64 s[20:21], s[0:1], s[16:17]
	s_add_nc_u64 s[16:17], s[16:17], 1
	global_load_u8 v2, v10, s[20:21]
	s_wait_alu 0xfffe
	s_cmp_lg_u32 s19, s16
	s_wait_loadcnt 0x0
	v_and_b32_e32 v9, 0xffff, v2
	s_delay_alu instid0(VALU_DEP_1) | instskip(SKIP_1) | instid1(VALU_DEP_1)
	v_lshlrev_b64_e32 v[2:3], s10, v[9:10]
	s_add_nc_u64 s[10:11], s[10:11], 8
	v_or_b32_e32 v19, v2, v19
	s_delay_alu instid0(VALU_DEP_2)
	v_or_b32_e32 v20, v3, v20
	s_cbranch_scc1 .LBB3_565
.LBB3_566:                              ;   in Loop: Header=BB3_548 Depth=1
	s_mov_b32 s18, 0
	s_cbranch_execz .LBB3_568
	s_branch .LBB3_569
.LBB3_567:                              ;   in Loop: Header=BB3_548 Depth=1
                                        ; implicit-def: $sgpr18
.LBB3_568:                              ;   in Loop: Header=BB3_548 Depth=1
	global_load_b64 v[19:20], v10, s[0:1]
	s_add_co_i32 s18, s19, -8
	s_add_nc_u64 s[0:1], s[0:1], 8
.LBB3_569:                              ;   in Loop: Header=BB3_548 Depth=1
	s_wait_alu 0xfffe
	s_cmp_gt_u32 s18, 7
	s_cbranch_scc1 .LBB3_574
; %bb.570:                              ;   in Loop: Header=BB3_548 Depth=1
	v_mov_b32_e32 v21, 0
	v_mov_b32_e32 v22, 0
	s_cmp_eq_u32 s18, 0
	s_cbranch_scc1 .LBB3_573
; %bb.571:                              ;   in Loop: Header=BB3_548 Depth=1
	s_mov_b64 s[10:11], 0
	s_mov_b64 s[16:17], 0
.LBB3_572:                              ;   Parent Loop BB3_548 Depth=1
                                        ; =>  This Inner Loop Header: Depth=2
	s_wait_alu 0xfffe
	s_add_nc_u64 s[20:21], s[0:1], s[16:17]
	s_add_nc_u64 s[16:17], s[16:17], 1
	global_load_u8 v2, v10, s[20:21]
	s_wait_alu 0xfffe
	s_cmp_lg_u32 s18, s16
	s_wait_loadcnt 0x0
	v_and_b32_e32 v9, 0xffff, v2
	s_delay_alu instid0(VALU_DEP_1) | instskip(SKIP_1) | instid1(VALU_DEP_1)
	v_lshlrev_b64_e32 v[2:3], s10, v[9:10]
	s_add_nc_u64 s[10:11], s[10:11], 8
	v_or_b32_e32 v21, v2, v21
	s_delay_alu instid0(VALU_DEP_2)
	v_or_b32_e32 v22, v3, v22
	s_cbranch_scc1 .LBB3_572
.LBB3_573:                              ;   in Loop: Header=BB3_548 Depth=1
	s_mov_b32 s19, 0
	s_cbranch_execz .LBB3_575
	s_branch .LBB3_576
.LBB3_574:                              ;   in Loop: Header=BB3_548 Depth=1
                                        ; implicit-def: $vgpr21_vgpr22
                                        ; implicit-def: $sgpr19
.LBB3_575:                              ;   in Loop: Header=BB3_548 Depth=1
	global_load_b64 v[21:22], v10, s[0:1]
	s_add_co_i32 s19, s18, -8
	s_add_nc_u64 s[0:1], s[0:1], 8
.LBB3_576:                              ;   in Loop: Header=BB3_548 Depth=1
	s_wait_alu 0xfffe
	s_cmp_gt_u32 s19, 7
	s_cbranch_scc1 .LBB3_581
; %bb.577:                              ;   in Loop: Header=BB3_548 Depth=1
	v_mov_b32_e32 v23, 0
	v_mov_b32_e32 v24, 0
	s_cmp_eq_u32 s19, 0
	s_cbranch_scc1 .LBB3_580
; %bb.578:                              ;   in Loop: Header=BB3_548 Depth=1
	s_mov_b64 s[10:11], 0
	s_mov_b64 s[16:17], 0
.LBB3_579:                              ;   Parent Loop BB3_548 Depth=1
                                        ; =>  This Inner Loop Header: Depth=2
	s_wait_alu 0xfffe
	s_add_nc_u64 s[20:21], s[0:1], s[16:17]
	s_add_nc_u64 s[16:17], s[16:17], 1
	global_load_u8 v2, v10, s[20:21]
	s_wait_alu 0xfffe
	s_cmp_lg_u32 s19, s16
	s_wait_loadcnt 0x0
	v_and_b32_e32 v9, 0xffff, v2
	s_delay_alu instid0(VALU_DEP_1) | instskip(SKIP_1) | instid1(VALU_DEP_1)
	v_lshlrev_b64_e32 v[2:3], s10, v[9:10]
	s_add_nc_u64 s[10:11], s[10:11], 8
	v_or_b32_e32 v23, v2, v23
	s_delay_alu instid0(VALU_DEP_2)
	v_or_b32_e32 v24, v3, v24
	s_cbranch_scc1 .LBB3_579
.LBB3_580:                              ;   in Loop: Header=BB3_548 Depth=1
	s_mov_b32 s18, 0
	s_cbranch_execz .LBB3_582
	s_branch .LBB3_583
.LBB3_581:                              ;   in Loop: Header=BB3_548 Depth=1
                                        ; implicit-def: $sgpr18
.LBB3_582:                              ;   in Loop: Header=BB3_548 Depth=1
	global_load_b64 v[23:24], v10, s[0:1]
	s_add_co_i32 s18, s19, -8
	s_add_nc_u64 s[0:1], s[0:1], 8
.LBB3_583:                              ;   in Loop: Header=BB3_548 Depth=1
	s_wait_alu 0xfffe
	s_cmp_gt_u32 s18, 7
	s_cbranch_scc1 .LBB3_588
; %bb.584:                              ;   in Loop: Header=BB3_548 Depth=1
	v_mov_b32_e32 v25, 0
	v_mov_b32_e32 v26, 0
	s_cmp_eq_u32 s18, 0
	s_cbranch_scc1 .LBB3_587
; %bb.585:                              ;   in Loop: Header=BB3_548 Depth=1
	s_mov_b64 s[10:11], 0
	s_mov_b64 s[16:17], 0
.LBB3_586:                              ;   Parent Loop BB3_548 Depth=1
                                        ; =>  This Inner Loop Header: Depth=2
	s_wait_alu 0xfffe
	s_add_nc_u64 s[20:21], s[0:1], s[16:17]
	s_add_nc_u64 s[16:17], s[16:17], 1
	global_load_u8 v2, v10, s[20:21]
	s_wait_alu 0xfffe
	s_cmp_lg_u32 s18, s16
	s_wait_loadcnt 0x0
	v_and_b32_e32 v9, 0xffff, v2
	s_delay_alu instid0(VALU_DEP_1) | instskip(SKIP_1) | instid1(VALU_DEP_1)
	v_lshlrev_b64_e32 v[2:3], s10, v[9:10]
	s_add_nc_u64 s[10:11], s[10:11], 8
	v_or_b32_e32 v25, v2, v25
	s_delay_alu instid0(VALU_DEP_2)
	v_or_b32_e32 v26, v3, v26
	s_cbranch_scc1 .LBB3_586
.LBB3_587:                              ;   in Loop: Header=BB3_548 Depth=1
	s_mov_b32 s19, 0
	s_cbranch_execz .LBB3_589
	s_branch .LBB3_590
.LBB3_588:                              ;   in Loop: Header=BB3_548 Depth=1
                                        ; implicit-def: $vgpr25_vgpr26
                                        ; implicit-def: $sgpr19
.LBB3_589:                              ;   in Loop: Header=BB3_548 Depth=1
	global_load_b64 v[25:26], v10, s[0:1]
	s_add_co_i32 s19, s18, -8
	s_add_nc_u64 s[0:1], s[0:1], 8
.LBB3_590:                              ;   in Loop: Header=BB3_548 Depth=1
	s_wait_alu 0xfffe
	s_cmp_gt_u32 s19, 7
	s_cbranch_scc1 .LBB3_595
; %bb.591:                              ;   in Loop: Header=BB3_548 Depth=1
	v_mov_b32_e32 v27, 0
	v_mov_b32_e32 v28, 0
	s_cmp_eq_u32 s19, 0
	s_cbranch_scc1 .LBB3_594
; %bb.592:                              ;   in Loop: Header=BB3_548 Depth=1
	s_mov_b64 s[10:11], 0
	s_mov_b64 s[16:17], s[0:1]
.LBB3_593:                              ;   Parent Loop BB3_548 Depth=1
                                        ; =>  This Inner Loop Header: Depth=2
	global_load_u8 v2, v10, s[16:17]
	s_add_co_i32 s19, s19, -1
	s_wait_alu 0xfffe
	s_add_nc_u64 s[16:17], s[16:17], 1
	s_cmp_lg_u32 s19, 0
	s_wait_loadcnt 0x0
	v_and_b32_e32 v9, 0xffff, v2
	s_delay_alu instid0(VALU_DEP_1) | instskip(SKIP_1) | instid1(VALU_DEP_1)
	v_lshlrev_b64_e32 v[2:3], s10, v[9:10]
	s_add_nc_u64 s[10:11], s[10:11], 8
	v_or_b32_e32 v27, v2, v27
	s_delay_alu instid0(VALU_DEP_2)
	v_or_b32_e32 v28, v3, v28
	s_cbranch_scc1 .LBB3_593
.LBB3_594:                              ;   in Loop: Header=BB3_548 Depth=1
	s_cbranch_execz .LBB3_596
	s_branch .LBB3_597
.LBB3_595:                              ;   in Loop: Header=BB3_548 Depth=1
.LBB3_596:                              ;   in Loop: Header=BB3_548 Depth=1
	global_load_b64 v[27:28], v10, s[0:1]
.LBB3_597:                              ;   in Loop: Header=BB3_548 Depth=1
	v_readfirstlane_b32 s0, v50
	v_mov_b32_e32 v2, 0
	v_mov_b32_e32 v3, 0
	s_wait_alu 0xf1ff
	s_delay_alu instid0(VALU_DEP_3) | instskip(NEXT) | instid1(VALU_DEP_1)
	v_cmp_eq_u32_e64 s0, s0, v50
	s_and_saveexec_b32 s1, s0
	s_cbranch_execz .LBB3_603
; %bb.598:                              ;   in Loop: Header=BB3_548 Depth=1
	global_load_b64 v[31:32], v10, s[22:23] offset:24 scope:SCOPE_SYS
	s_wait_loadcnt 0x0
	global_inv scope:SCOPE_SYS
	s_clause 0x1
	global_load_b64 v[2:3], v10, s[22:23] offset:40
	global_load_b64 v[6:7], v10, s[22:23]
	s_mov_b32 s10, exec_lo
	s_wait_loadcnt 0x1
	v_and_b32_e32 v3, v3, v32
	v_and_b32_e32 v2, v2, v31
	s_delay_alu instid0(VALU_DEP_2) | instskip(NEXT) | instid1(VALU_DEP_2)
	v_mul_lo_u32 v3, 24, v3
	v_mul_lo_u32 v9, 0, v2
	v_mul_hi_u32 v29, 24, v2
	v_mul_lo_u32 v2, 24, v2
	s_delay_alu instid0(VALU_DEP_3) | instskip(SKIP_1) | instid1(VALU_DEP_2)
	v_add_nc_u32_e32 v3, v3, v9
	s_wait_loadcnt 0x0
	v_add_co_u32 v2, vcc_lo, v6, v2
	s_delay_alu instid0(VALU_DEP_2) | instskip(SKIP_1) | instid1(VALU_DEP_1)
	v_add_nc_u32_e32 v3, v3, v29
	s_wait_alu 0xfffd
	v_add_co_ci_u32_e32 v3, vcc_lo, v7, v3, vcc_lo
	global_load_b64 v[29:30], v[2:3], off scope:SCOPE_SYS
	s_wait_loadcnt 0x0
	global_atomic_cmpswap_b64 v[2:3], v10, v[29:32], s[22:23] offset:24 th:TH_ATOMIC_RETURN scope:SCOPE_SYS
	s_wait_loadcnt 0x0
	global_inv scope:SCOPE_SYS
	v_cmpx_ne_u64_e64 v[2:3], v[31:32]
	s_cbranch_execz .LBB3_602
; %bb.599:                              ;   in Loop: Header=BB3_548 Depth=1
	s_mov_b32 s11, 0
.LBB3_600:                              ;   Parent Loop BB3_548 Depth=1
                                        ; =>  This Inner Loop Header: Depth=2
	s_sleep 1
	s_clause 0x1
	global_load_b64 v[6:7], v10, s[22:23] offset:40
	global_load_b64 v[29:30], v10, s[22:23]
	v_dual_mov_b32 v32, v3 :: v_dual_mov_b32 v31, v2
	s_wait_loadcnt 0x1
	s_delay_alu instid0(VALU_DEP_1) | instskip(NEXT) | instid1(VALU_DEP_2)
	v_and_b32_e32 v2, v6, v31
	v_and_b32_e32 v6, v7, v32
	s_wait_loadcnt 0x0
	s_delay_alu instid0(VALU_DEP_2) | instskip(NEXT) | instid1(VALU_DEP_1)
	v_mad_co_u64_u32 v[2:3], null, v2, 24, v[29:30]
	v_mad_co_u64_u32 v[6:7], null, v6, 24, v[3:4]
	s_delay_alu instid0(VALU_DEP_1)
	v_mov_b32_e32 v3, v6
	global_load_b64 v[29:30], v[2:3], off scope:SCOPE_SYS
	s_wait_loadcnt 0x0
	global_atomic_cmpswap_b64 v[2:3], v10, v[29:32], s[22:23] offset:24 th:TH_ATOMIC_RETURN scope:SCOPE_SYS
	s_wait_loadcnt 0x0
	global_inv scope:SCOPE_SYS
	v_cmp_eq_u64_e32 vcc_lo, v[2:3], v[31:32]
	s_wait_alu 0xfffe
	s_or_b32 s11, vcc_lo, s11
	s_wait_alu 0xfffe
	s_and_not1_b32 exec_lo, exec_lo, s11
	s_cbranch_execnz .LBB3_600
; %bb.601:                              ;   in Loop: Header=BB3_548 Depth=1
	s_or_b32 exec_lo, exec_lo, s11
.LBB3_602:                              ;   in Loop: Header=BB3_548 Depth=1
	s_wait_alu 0xfffe
	s_or_b32 exec_lo, exec_lo, s10
.LBB3_603:                              ;   in Loop: Header=BB3_548 Depth=1
	s_wait_alu 0xfffe
	s_or_b32 exec_lo, exec_lo, s1
	s_clause 0x1
	global_load_b64 v[6:7], v10, s[22:23] offset:40
	global_load_b128 v[29:32], v10, s[22:23]
	v_readfirstlane_b32 s1, v3
	v_readfirstlane_b32 s10, v2
	s_mov_b32 s11, exec_lo
	s_wait_loadcnt 0x1
	s_wait_alu 0xf1ff
	v_and_b32_e32 v7, s1, v7
	v_and_b32_e32 v6, s10, v6
	s_delay_alu instid0(VALU_DEP_2) | instskip(NEXT) | instid1(VALU_DEP_2)
	v_mul_lo_u32 v2, 24, v7
	v_mul_lo_u32 v3, 0, v6
	v_mul_hi_u32 v9, 24, v6
	v_mul_lo_u32 v33, 24, v6
	s_delay_alu instid0(VALU_DEP_3) | instskip(NEXT) | instid1(VALU_DEP_1)
	v_add_nc_u32_e32 v2, v2, v3
	v_add_nc_u32_e32 v3, v2, v9
	s_wait_loadcnt 0x0
	s_delay_alu instid0(VALU_DEP_3) | instskip(SKIP_1) | instid1(VALU_DEP_2)
	v_add_co_u32 v2, vcc_lo, v29, v33
	s_wait_alu 0xfffd
	v_add_co_ci_u32_e32 v3, vcc_lo, v30, v3, vcc_lo
	s_and_saveexec_b32 s16, s0
	s_cbranch_execz .LBB3_605
; %bb.604:                              ;   in Loop: Header=BB3_548 Depth=1
	s_wait_alu 0xfffe
	v_mov_b32_e32 v9, s11
	global_store_b128 v[2:3], v[9:12], off offset:8
.LBB3_605:                              ;   in Loop: Header=BB3_548 Depth=1
	s_wait_alu 0xfffe
	s_or_b32 exec_lo, exec_lo, s16
	v_lshlrev_b64_e32 v[6:7], 12, v[6:7]
	v_cmp_gt_u64_e64 vcc_lo, s[4:5], 56
	v_or_b32_e32 v9, 2, v13
	s_lshl_b32 s11, s6, 2
	s_wait_alu 0xfffe
	s_add_co_i32 s11, s11, 28
	s_wait_alu 0xfffd
	v_cndmask_b32_e32 v9, v9, v13, vcc_lo
	v_add_co_u32 v31, vcc_lo, v31, v6
	s_wait_alu 0xfffd
	v_add_co_ci_u32_e32 v32, vcc_lo, v32, v7, vcc_lo
	s_wait_alu 0xfffe
	s_and_b32 s11, s11, 0x1e0
	v_readfirstlane_b32 s16, v31
	s_wait_alu 0xfffe
	v_and_or_b32 v13, 0xffffff1f, v9, s11
	v_readfirstlane_b32 s17, v32
	s_clause 0x3
	global_store_b128 v39, v[13:16], s[16:17]
	global_store_b128 v39, v[17:20], s[16:17] offset:16
	global_store_b128 v39, v[21:24], s[16:17] offset:32
	;; [unrolled: 1-line block ×3, first 2 shown]
	s_and_saveexec_b32 s11, s0
	s_cbranch_execz .LBB3_613
; %bb.606:                              ;   in Loop: Header=BB3_548 Depth=1
	s_clause 0x1
	global_load_b64 v[17:18], v10, s[22:23] offset:32 scope:SCOPE_SYS
	global_load_b64 v[6:7], v10, s[22:23] offset:40
	s_mov_b32 s16, exec_lo
	v_dual_mov_b32 v15, s10 :: v_dual_mov_b32 v16, s1
	s_wait_loadcnt 0x0
	v_and_b32_e32 v7, s1, v7
	v_and_b32_e32 v6, s10, v6
	s_delay_alu instid0(VALU_DEP_2) | instskip(NEXT) | instid1(VALU_DEP_2)
	v_mul_lo_u32 v7, 24, v7
	v_mul_lo_u32 v9, 0, v6
	v_mul_hi_u32 v13, 24, v6
	v_mul_lo_u32 v6, 24, v6
	s_delay_alu instid0(VALU_DEP_3) | instskip(NEXT) | instid1(VALU_DEP_2)
	v_add_nc_u32_e32 v7, v7, v9
	v_add_co_u32 v6, vcc_lo, v29, v6
	s_delay_alu instid0(VALU_DEP_2) | instskip(SKIP_1) | instid1(VALU_DEP_1)
	v_add_nc_u32_e32 v7, v7, v13
	s_wait_alu 0xfffd
	v_add_co_ci_u32_e32 v7, vcc_lo, v30, v7, vcc_lo
	global_store_b64 v[6:7], v[17:18], off
	global_wb scope:SCOPE_SYS
	s_wait_storecnt 0x0
	global_atomic_cmpswap_b64 v[15:16], v10, v[15:18], s[22:23] offset:32 th:TH_ATOMIC_RETURN scope:SCOPE_SYS
	s_wait_loadcnt 0x0
	v_cmpx_ne_u64_e64 v[15:16], v[17:18]
	s_cbranch_execz .LBB3_609
; %bb.607:                              ;   in Loop: Header=BB3_548 Depth=1
	s_mov_b32 s17, 0
.LBB3_608:                              ;   Parent Loop BB3_548 Depth=1
                                        ; =>  This Inner Loop Header: Depth=2
	v_dual_mov_b32 v13, s10 :: v_dual_mov_b32 v14, s1
	s_sleep 1
	global_store_b64 v[6:7], v[15:16], off
	global_wb scope:SCOPE_SYS
	s_wait_storecnt 0x0
	global_atomic_cmpswap_b64 v[13:14], v10, v[13:16], s[22:23] offset:32 th:TH_ATOMIC_RETURN scope:SCOPE_SYS
	s_wait_loadcnt 0x0
	v_cmp_eq_u64_e32 vcc_lo, v[13:14], v[15:16]
	v_dual_mov_b32 v16, v14 :: v_dual_mov_b32 v15, v13
	s_wait_alu 0xfffe
	s_or_b32 s17, vcc_lo, s17
	s_wait_alu 0xfffe
	s_and_not1_b32 exec_lo, exec_lo, s17
	s_cbranch_execnz .LBB3_608
.LBB3_609:                              ;   in Loop: Header=BB3_548 Depth=1
	s_wait_alu 0xfffe
	s_or_b32 exec_lo, exec_lo, s16
	global_load_b64 v[6:7], v10, s[22:23] offset:16
	s_mov_b32 s17, exec_lo
	s_mov_b32 s16, exec_lo
	s_wait_alu 0xfffe
	v_mbcnt_lo_u32_b32 v9, s17, 0
	s_delay_alu instid0(VALU_DEP_1)
	v_cmpx_eq_u32_e32 0, v9
	s_cbranch_execz .LBB3_611
; %bb.610:                              ;   in Loop: Header=BB3_548 Depth=1
	s_bcnt1_i32_b32 s17, s17
	s_wait_alu 0xfffe
	v_mov_b32_e32 v9, s17
	global_wb scope:SCOPE_SYS
	s_wait_loadcnt 0x0
	global_atomic_add_u64 v[6:7], v[9:10], off offset:8 scope:SCOPE_SYS
.LBB3_611:                              ;   in Loop: Header=BB3_548 Depth=1
	s_or_b32 exec_lo, exec_lo, s16
	s_wait_loadcnt 0x0
	global_load_b64 v[13:14], v[6:7], off offset:16
	s_wait_loadcnt 0x0
	v_cmp_eq_u64_e32 vcc_lo, 0, v[13:14]
	s_cbranch_vccnz .LBB3_613
; %bb.612:                              ;   in Loop: Header=BB3_548 Depth=1
	global_load_b32 v9, v[6:7], off offset:24
	s_wait_loadcnt 0x0
	v_and_b32_e32 v6, 0xffffff, v9
	global_wb scope:SCOPE_SYS
	s_wait_storecnt 0x0
	global_store_b64 v[13:14], v[9:10], off scope:SCOPE_SYS
	v_readfirstlane_b32 m0, v6
	s_sendmsg sendmsg(MSG_INTERRUPT)
.LBB3_613:                              ;   in Loop: Header=BB3_548 Depth=1
	s_wait_alu 0xfffe
	s_or_b32 exec_lo, exec_lo, s11
	v_add_co_u32 v6, vcc_lo, v31, v39
	s_wait_alu 0xfffd
	v_add_co_ci_u32_e32 v7, vcc_lo, 0, v32, vcc_lo
	s_branch .LBB3_617
.LBB3_614:                              ;   in Loop: Header=BB3_617 Depth=2
	s_wait_alu 0xfffe
	s_or_b32 exec_lo, exec_lo, s11
	s_delay_alu instid0(VALU_DEP_1) | instskip(NEXT) | instid1(VALU_DEP_1)
	v_readfirstlane_b32 s11, v9
	s_cmp_eq_u32 s11, 0
	s_cbranch_scc1 .LBB3_616
; %bb.615:                              ;   in Loop: Header=BB3_617 Depth=2
	s_sleep 1
	s_cbranch_execnz .LBB3_617
	s_branch .LBB3_619
.LBB3_616:                              ;   in Loop: Header=BB3_548 Depth=1
	s_branch .LBB3_619
.LBB3_617:                              ;   Parent Loop BB3_548 Depth=1
                                        ; =>  This Inner Loop Header: Depth=2
	v_mov_b32_e32 v9, 1
	s_and_saveexec_b32 s11, s0
	s_cbranch_execz .LBB3_614
; %bb.618:                              ;   in Loop: Header=BB3_617 Depth=2
	global_load_b32 v9, v[2:3], off offset:20 scope:SCOPE_SYS
	s_wait_loadcnt 0x0
	global_inv scope:SCOPE_SYS
	v_and_b32_e32 v9, 1, v9
	s_branch .LBB3_614
.LBB3_619:                              ;   in Loop: Header=BB3_548 Depth=1
	global_load_b128 v[13:16], v[6:7], off
	s_and_saveexec_b32 s11, s0
	s_cbranch_execz .LBB3_547
; %bb.620:                              ;   in Loop: Header=BB3_548 Depth=1
	s_clause 0x2
	global_load_b64 v[2:3], v10, s[22:23] offset:40
	global_load_b64 v[6:7], v10, s[22:23] offset:24 scope:SCOPE_SYS
	global_load_b64 v[17:18], v10, s[22:23]
	s_wait_loadcnt 0x2
	v_add_co_u32 v9, vcc_lo, v2, 1
	s_wait_alu 0xfffd
	v_add_co_ci_u32_e32 v19, vcc_lo, 0, v3, vcc_lo
	s_delay_alu instid0(VALU_DEP_2) | instskip(SKIP_1) | instid1(VALU_DEP_2)
	v_add_co_u32 v15, vcc_lo, v9, s10
	s_wait_alu 0xfffd
	v_add_co_ci_u32_e32 v16, vcc_lo, s1, v19, vcc_lo
	s_delay_alu instid0(VALU_DEP_1) | instskip(SKIP_2) | instid1(VALU_DEP_1)
	v_cmp_eq_u64_e32 vcc_lo, 0, v[15:16]
	s_wait_alu 0xfffd
	v_dual_cndmask_b32 v16, v16, v19 :: v_dual_cndmask_b32 v15, v15, v9
	v_and_b32_e32 v3, v16, v3
	s_delay_alu instid0(VALU_DEP_2) | instskip(NEXT) | instid1(VALU_DEP_2)
	v_and_b32_e32 v2, v15, v2
	v_mul_lo_u32 v3, 24, v3
	s_delay_alu instid0(VALU_DEP_2) | instskip(SKIP_2) | instid1(VALU_DEP_3)
	v_mul_lo_u32 v9, 0, v2
	v_mul_hi_u32 v19, 24, v2
	v_mul_lo_u32 v2, 24, v2
	v_add_nc_u32_e32 v3, v3, v9
	s_wait_loadcnt 0x0
	s_delay_alu instid0(VALU_DEP_2) | instskip(SKIP_1) | instid1(VALU_DEP_3)
	v_add_co_u32 v2, vcc_lo, v17, v2
	v_mov_b32_e32 v17, v6
	v_add_nc_u32_e32 v3, v3, v19
	s_wait_alu 0xfffd
	s_delay_alu instid0(VALU_DEP_1)
	v_add_co_ci_u32_e32 v3, vcc_lo, v18, v3, vcc_lo
	v_mov_b32_e32 v18, v7
	global_store_b64 v[2:3], v[6:7], off
	global_wb scope:SCOPE_SYS
	s_wait_storecnt 0x0
	global_atomic_cmpswap_b64 v[17:18], v10, v[15:18], s[22:23] offset:24 th:TH_ATOMIC_RETURN scope:SCOPE_SYS
	s_wait_loadcnt 0x0
	v_cmp_ne_u64_e32 vcc_lo, v[17:18], v[6:7]
	s_and_b32 exec_lo, exec_lo, vcc_lo
	s_cbranch_execz .LBB3_547
; %bb.621:                              ;   in Loop: Header=BB3_548 Depth=1
	s_mov_b32 s0, 0
.LBB3_622:                              ;   Parent Loop BB3_548 Depth=1
                                        ; =>  This Inner Loop Header: Depth=2
	s_sleep 1
	global_store_b64 v[2:3], v[17:18], off
	global_wb scope:SCOPE_SYS
	s_wait_storecnt 0x0
	global_atomic_cmpswap_b64 v[6:7], v10, v[15:18], s[22:23] offset:24 th:TH_ATOMIC_RETURN scope:SCOPE_SYS
	s_wait_loadcnt 0x0
	v_cmp_eq_u64_e32 vcc_lo, v[6:7], v[17:18]
	v_dual_mov_b32 v18, v7 :: v_dual_mov_b32 v17, v6
	s_wait_alu 0xfffe
	s_or_b32 s0, vcc_lo, s0
	s_wait_alu 0xfffe
	s_and_not1_b32 exec_lo, exec_lo, s0
	s_cbranch_execnz .LBB3_622
	s_branch .LBB3_547
.LBB3_623:
	s_branch .LBB3_652
.LBB3_624:
	s_cbranch_execz .LBB3_652
; %bb.625:
	v_readfirstlane_b32 s0, v50
	v_mov_b32_e32 v6, 0
	v_mov_b32_e32 v7, 0
	s_wait_alu 0xf1ff
	s_delay_alu instid0(VALU_DEP_3) | instskip(NEXT) | instid1(VALU_DEP_1)
	v_cmp_eq_u32_e64 s0, s0, v50
	s_and_saveexec_b32 s1, s0
	s_cbranch_execz .LBB3_631
; %bb.626:
	s_wait_loadcnt 0x0
	v_mov_b32_e32 v2, 0
	s_mov_b32 s2, exec_lo
	global_load_b64 v[11:12], v2, s[22:23] offset:24 scope:SCOPE_SYS
	s_wait_loadcnt 0x0
	global_inv scope:SCOPE_SYS
	s_clause 0x1
	global_load_b64 v[6:7], v2, s[22:23] offset:40
	global_load_b64 v[9:10], v2, s[22:23]
	s_wait_loadcnt 0x1
	v_and_b32_e32 v3, v7, v12
	v_and_b32_e32 v6, v6, v11
	s_delay_alu instid0(VALU_DEP_2) | instskip(NEXT) | instid1(VALU_DEP_2)
	v_mul_lo_u32 v3, 24, v3
	v_mul_lo_u32 v7, 0, v6
	v_mul_hi_u32 v13, 24, v6
	v_mul_lo_u32 v6, 24, v6
	s_delay_alu instid0(VALU_DEP_3) | instskip(SKIP_1) | instid1(VALU_DEP_2)
	v_add_nc_u32_e32 v3, v3, v7
	s_wait_loadcnt 0x0
	v_add_co_u32 v6, vcc_lo, v9, v6
	s_delay_alu instid0(VALU_DEP_2) | instskip(SKIP_1) | instid1(VALU_DEP_1)
	v_add_nc_u32_e32 v3, v3, v13
	s_wait_alu 0xfffd
	v_add_co_ci_u32_e32 v7, vcc_lo, v10, v3, vcc_lo
	global_load_b64 v[9:10], v[6:7], off scope:SCOPE_SYS
	s_wait_loadcnt 0x0
	global_atomic_cmpswap_b64 v[6:7], v2, v[9:12], s[22:23] offset:24 th:TH_ATOMIC_RETURN scope:SCOPE_SYS
	s_wait_loadcnt 0x0
	global_inv scope:SCOPE_SYS
	v_cmpx_ne_u64_e64 v[6:7], v[11:12]
	s_cbranch_execz .LBB3_630
; %bb.627:
	s_mov_b32 s3, 0
.LBB3_628:                              ; =>This Inner Loop Header: Depth=1
	s_sleep 1
	s_clause 0x1
	global_load_b64 v[9:10], v2, s[22:23] offset:40
	global_load_b64 v[13:14], v2, s[22:23]
	v_dual_mov_b32 v12, v7 :: v_dual_mov_b32 v11, v6
	s_wait_loadcnt 0x1
	s_delay_alu instid0(VALU_DEP_1) | instskip(NEXT) | instid1(VALU_DEP_2)
	v_and_b32_e32 v3, v9, v11
	v_and_b32_e32 v9, v10, v12
	s_wait_loadcnt 0x0
	s_delay_alu instid0(VALU_DEP_2) | instskip(NEXT) | instid1(VALU_DEP_1)
	v_mad_co_u64_u32 v[6:7], null, v3, 24, v[13:14]
	v_mov_b32_e32 v3, v7
	s_delay_alu instid0(VALU_DEP_1) | instskip(NEXT) | instid1(VALU_DEP_1)
	v_mad_co_u64_u32 v[9:10], null, v9, 24, v[3:4]
	v_mov_b32_e32 v7, v9
	global_load_b64 v[9:10], v[6:7], off scope:SCOPE_SYS
	s_wait_loadcnt 0x0
	global_atomic_cmpswap_b64 v[6:7], v2, v[9:12], s[22:23] offset:24 th:TH_ATOMIC_RETURN scope:SCOPE_SYS
	s_wait_loadcnt 0x0
	global_inv scope:SCOPE_SYS
	v_cmp_eq_u64_e32 vcc_lo, v[6:7], v[11:12]
	s_wait_alu 0xfffe
	s_or_b32 s3, vcc_lo, s3
	s_wait_alu 0xfffe
	s_and_not1_b32 exec_lo, exec_lo, s3
	s_cbranch_execnz .LBB3_628
; %bb.629:
	s_or_b32 exec_lo, exec_lo, s3
.LBB3_630:
	s_wait_alu 0xfffe
	s_or_b32 exec_lo, exec_lo, s2
.LBB3_631:
	s_wait_alu 0xfffe
	s_or_b32 exec_lo, exec_lo, s1
	v_readfirstlane_b32 s2, v6
	s_wait_loadcnt 0x0
	v_mov_b32_e32 v2, 0
	v_readfirstlane_b32 s1, v7
	s_mov_b32 s3, exec_lo
	s_clause 0x1
	global_load_b64 v[13:14], v2, s[22:23] offset:40
	global_load_b128 v[9:12], v2, s[22:23]
	s_wait_loadcnt 0x1
	s_wait_alu 0xf1ff
	v_and_b32_e32 v13, s2, v13
	v_and_b32_e32 v14, s1, v14
	s_delay_alu instid0(VALU_DEP_2) | instskip(NEXT) | instid1(VALU_DEP_2)
	v_mul_lo_u32 v6, 0, v13
	v_mul_lo_u32 v3, 24, v14
	v_mul_hi_u32 v7, 24, v13
	v_mul_lo_u32 v15, 24, v13
	s_delay_alu instid0(VALU_DEP_3) | instskip(SKIP_1) | instid1(VALU_DEP_2)
	v_add_nc_u32_e32 v3, v3, v6
	s_wait_loadcnt 0x0
	v_add_co_u32 v6, vcc_lo, v9, v15
	s_delay_alu instid0(VALU_DEP_2) | instskip(SKIP_1) | instid1(VALU_DEP_1)
	v_add_nc_u32_e32 v3, v3, v7
	s_wait_alu 0xfffd
	v_add_co_ci_u32_e32 v7, vcc_lo, v10, v3, vcc_lo
	s_and_saveexec_b32 s4, s0
	s_cbranch_execz .LBB3_633
; %bb.632:
	s_wait_alu 0xfffe
	v_dual_mov_b32 v15, s3 :: v_dual_mov_b32 v16, v2
	v_dual_mov_b32 v17, 2 :: v_dual_mov_b32 v18, 1
	global_store_b128 v[6:7], v[15:18], off offset:8
.LBB3_633:
	s_wait_alu 0xfffe
	s_or_b32 exec_lo, exec_lo, s4
	v_lshlrev_b64_e32 v[13:14], 12, v[13:14]
	s_mov_b32 s4, 0
	v_and_or_b32 v0, 0xffffff1d, v0, 34
	s_wait_alu 0xfffe
	s_mov_b32 s7, s4
	s_mov_b32 s5, s4
	;; [unrolled: 1-line block ×3, first 2 shown]
	v_add_co_u32 v11, vcc_lo, v11, v13
	s_wait_alu 0xfffd
	v_add_co_ci_u32_e32 v12, vcc_lo, v12, v14, vcc_lo
	v_mov_b32_e32 v3, v2
	s_delay_alu instid0(VALU_DEP_3) | instskip(NEXT) | instid1(VALU_DEP_3)
	v_readfirstlane_b32 s10, v11
	v_readfirstlane_b32 s11, v12
	s_wait_alu 0xfffe
	v_dual_mov_b32 v14, s7 :: v_dual_mov_b32 v13, s6
	v_dual_mov_b32 v12, s5 :: v_dual_mov_b32 v11, s4
	s_clause 0x3
	global_store_b128 v39, v[0:3], s[10:11]
	global_store_b128 v39, v[11:14], s[10:11] offset:16
	global_store_b128 v39, v[11:14], s[10:11] offset:32
	;; [unrolled: 1-line block ×3, first 2 shown]
	s_and_saveexec_b32 s3, s0
	s_cbranch_execz .LBB3_641
; %bb.634:
	v_mov_b32_e32 v11, 0
	v_mov_b32_e32 v13, s1
	s_mov_b32 s4, exec_lo
	s_clause 0x1
	global_load_b64 v[14:15], v11, s[22:23] offset:32 scope:SCOPE_SYS
	global_load_b64 v[0:1], v11, s[22:23] offset:40
	v_mov_b32_e32 v12, s2
	s_wait_loadcnt 0x0
	v_and_b32_e32 v0, s2, v0
	v_and_b32_e32 v1, s1, v1
	s_delay_alu instid0(VALU_DEP_2) | instskip(NEXT) | instid1(VALU_DEP_2)
	v_mul_lo_u32 v2, 0, v0
	v_mul_lo_u32 v1, 24, v1
	v_mul_hi_u32 v3, 24, v0
	v_mul_lo_u32 v0, 24, v0
	s_delay_alu instid0(VALU_DEP_3) | instskip(NEXT) | instid1(VALU_DEP_2)
	v_add_nc_u32_e32 v1, v1, v2
	v_add_co_u32 v9, vcc_lo, v9, v0
	s_delay_alu instid0(VALU_DEP_2) | instskip(SKIP_1) | instid1(VALU_DEP_1)
	v_add_nc_u32_e32 v1, v1, v3
	s_wait_alu 0xfffd
	v_add_co_ci_u32_e32 v10, vcc_lo, v10, v1, vcc_lo
	global_store_b64 v[9:10], v[14:15], off
	global_wb scope:SCOPE_SYS
	s_wait_storecnt 0x0
	global_atomic_cmpswap_b64 v[2:3], v11, v[12:15], s[22:23] offset:32 th:TH_ATOMIC_RETURN scope:SCOPE_SYS
	s_wait_loadcnt 0x0
	v_cmpx_ne_u64_e64 v[2:3], v[14:15]
	s_cbranch_execz .LBB3_637
; %bb.635:
	s_mov_b32 s5, 0
.LBB3_636:                              ; =>This Inner Loop Header: Depth=1
	v_dual_mov_b32 v0, s2 :: v_dual_mov_b32 v1, s1
	s_sleep 1
	global_store_b64 v[9:10], v[2:3], off
	global_wb scope:SCOPE_SYS
	s_wait_storecnt 0x0
	global_atomic_cmpswap_b64 v[0:1], v11, v[0:3], s[22:23] offset:32 th:TH_ATOMIC_RETURN scope:SCOPE_SYS
	s_wait_loadcnt 0x0
	v_cmp_eq_u64_e32 vcc_lo, v[0:1], v[2:3]
	v_dual_mov_b32 v3, v1 :: v_dual_mov_b32 v2, v0
	s_wait_alu 0xfffe
	s_or_b32 s5, vcc_lo, s5
	s_wait_alu 0xfffe
	s_and_not1_b32 exec_lo, exec_lo, s5
	s_cbranch_execnz .LBB3_636
.LBB3_637:
	s_wait_alu 0xfffe
	s_or_b32 exec_lo, exec_lo, s4
	v_mov_b32_e32 v3, 0
	s_mov_b32 s5, exec_lo
	s_mov_b32 s4, exec_lo
	s_wait_alu 0xfffe
	v_mbcnt_lo_u32_b32 v2, s5, 0
	global_load_b64 v[0:1], v3, s[22:23] offset:16
	v_cmpx_eq_u32_e32 0, v2
	s_cbranch_execz .LBB3_639
; %bb.638:
	s_bcnt1_i32_b32 s5, s5
	s_wait_alu 0xfffe
	v_mov_b32_e32 v2, s5
	global_wb scope:SCOPE_SYS
	s_wait_loadcnt 0x0
	global_atomic_add_u64 v[0:1], v[2:3], off offset:8 scope:SCOPE_SYS
.LBB3_639:
	s_or_b32 exec_lo, exec_lo, s4
	s_wait_loadcnt 0x0
	global_load_b64 v[2:3], v[0:1], off offset:16
	s_wait_loadcnt 0x0
	v_cmp_eq_u64_e32 vcc_lo, 0, v[2:3]
	s_cbranch_vccnz .LBB3_641
; %bb.640:
	global_load_b32 v0, v[0:1], off offset:24
	v_mov_b32_e32 v1, 0
	s_wait_loadcnt 0x0
	v_and_b32_e32 v9, 0xffffff, v0
	global_wb scope:SCOPE_SYS
	s_wait_storecnt 0x0
	global_store_b64 v[2:3], v[0:1], off scope:SCOPE_SYS
	v_readfirstlane_b32 m0, v9
	s_sendmsg sendmsg(MSG_INTERRUPT)
.LBB3_641:
	s_wait_alu 0xfffe
	s_or_b32 exec_lo, exec_lo, s3
	s_branch .LBB3_645
.LBB3_642:                              ;   in Loop: Header=BB3_645 Depth=1
	s_wait_alu 0xfffe
	s_or_b32 exec_lo, exec_lo, s3
	s_delay_alu instid0(VALU_DEP_1) | instskip(NEXT) | instid1(VALU_DEP_1)
	v_readfirstlane_b32 s3, v0
	s_cmp_eq_u32 s3, 0
	s_cbranch_scc1 .LBB3_644
; %bb.643:                              ;   in Loop: Header=BB3_645 Depth=1
	s_sleep 1
	s_cbranch_execnz .LBB3_645
	s_branch .LBB3_647
.LBB3_644:
	s_branch .LBB3_647
.LBB3_645:                              ; =>This Inner Loop Header: Depth=1
	v_mov_b32_e32 v0, 1
	s_and_saveexec_b32 s3, s0
	s_cbranch_execz .LBB3_642
; %bb.646:                              ;   in Loop: Header=BB3_645 Depth=1
	global_load_b32 v0, v[6:7], off offset:20 scope:SCOPE_SYS
	s_wait_loadcnt 0x0
	global_inv scope:SCOPE_SYS
	v_and_b32_e32 v0, 1, v0
	s_branch .LBB3_642
.LBB3_647:
	s_and_saveexec_b32 s3, s0
	s_cbranch_execz .LBB3_651
; %bb.648:
	v_mov_b32_e32 v9, 0
	s_clause 0x2
	global_load_b64 v[2:3], v9, s[22:23] offset:40
	global_load_b64 v[10:11], v9, s[22:23] offset:24 scope:SCOPE_SYS
	global_load_b64 v[6:7], v9, s[22:23]
	s_wait_loadcnt 0x2
	v_add_co_u32 v12, vcc_lo, v2, 1
	s_wait_alu 0xfffd
	v_add_co_ci_u32_e32 v13, vcc_lo, 0, v3, vcc_lo
	s_delay_alu instid0(VALU_DEP_2) | instskip(SKIP_1) | instid1(VALU_DEP_2)
	v_add_co_u32 v0, vcc_lo, v12, s2
	s_wait_alu 0xfffd
	v_add_co_ci_u32_e32 v1, vcc_lo, s1, v13, vcc_lo
	s_delay_alu instid0(VALU_DEP_1) | instskip(SKIP_2) | instid1(VALU_DEP_1)
	v_cmp_eq_u64_e32 vcc_lo, 0, v[0:1]
	s_wait_alu 0xfffd
	v_dual_cndmask_b32 v0, v0, v12 :: v_dual_cndmask_b32 v1, v1, v13
	v_and_b32_e32 v2, v0, v2
	s_delay_alu instid0(VALU_DEP_2) | instskip(NEXT) | instid1(VALU_DEP_2)
	v_and_b32_e32 v3, v1, v3
	v_mul_lo_u32 v12, 0, v2
	v_mul_hi_u32 v13, 24, v2
	v_mul_lo_u32 v2, 24, v2
	s_wait_loadcnt 0x0
	s_delay_alu instid0(VALU_DEP_1) | instskip(SKIP_2) | instid1(VALU_DEP_1)
	v_add_co_u32 v6, vcc_lo, v6, v2
	v_mov_b32_e32 v2, v10
	v_mul_lo_u32 v3, 24, v3
	v_add_nc_u32_e32 v3, v3, v12
	s_delay_alu instid0(VALU_DEP_1) | instskip(SKIP_1) | instid1(VALU_DEP_1)
	v_add_nc_u32_e32 v3, v3, v13
	s_wait_alu 0xfffd
	v_add_co_ci_u32_e32 v7, vcc_lo, v7, v3, vcc_lo
	v_mov_b32_e32 v3, v11
	global_store_b64 v[6:7], v[10:11], off
	global_wb scope:SCOPE_SYS
	s_wait_storecnt 0x0
	global_atomic_cmpswap_b64 v[2:3], v9, v[0:3], s[22:23] offset:24 th:TH_ATOMIC_RETURN scope:SCOPE_SYS
	s_wait_loadcnt 0x0
	v_cmp_ne_u64_e32 vcc_lo, v[2:3], v[10:11]
	s_and_b32 exec_lo, exec_lo, vcc_lo
	s_cbranch_execz .LBB3_651
; %bb.649:
	s_mov_b32 s0, 0
.LBB3_650:                              ; =>This Inner Loop Header: Depth=1
	s_sleep 1
	global_store_b64 v[6:7], v[2:3], off
	global_wb scope:SCOPE_SYS
	s_wait_storecnt 0x0
	global_atomic_cmpswap_b64 v[10:11], v9, v[0:3], s[22:23] offset:24 th:TH_ATOMIC_RETURN scope:SCOPE_SYS
	s_wait_loadcnt 0x0
	v_cmp_eq_u64_e32 vcc_lo, v[10:11], v[2:3]
	v_dual_mov_b32 v2, v10 :: v_dual_mov_b32 v3, v11
	s_wait_alu 0xfffe
	s_or_b32 s0, vcc_lo, s0
	s_wait_alu 0xfffe
	s_and_not1_b32 exec_lo, exec_lo, s0
	s_cbranch_execnz .LBB3_650
.LBB3_651:
	s_wait_alu 0xfffe
	s_or_b32 exec_lo, exec_lo, s3
.LBB3_652:
	v_readfirstlane_b32 s0, v50
	v_mov_b32_e32 v6, 0
	v_mov_b32_e32 v7, 0
	s_wait_alu 0xf1ff
	s_delay_alu instid0(VALU_DEP_3) | instskip(NEXT) | instid1(VALU_DEP_1)
	v_cmp_eq_u32_e64 s0, s0, v50
	s_and_saveexec_b32 s1, s0
	s_cbranch_execz .LBB3_658
; %bb.653:
	s_wait_loadcnt 0x0
	v_mov_b32_e32 v0, 0
	s_mov_b32 s2, exec_lo
	global_load_b64 v[11:12], v0, s[22:23] offset:24 scope:SCOPE_SYS
	s_wait_loadcnt 0x0
	global_inv scope:SCOPE_SYS
	s_clause 0x1
	global_load_b64 v[1:2], v0, s[22:23] offset:40
	global_load_b64 v[6:7], v0, s[22:23]
	s_wait_loadcnt 0x1
	v_and_b32_e32 v1, v1, v11
	v_and_b32_e32 v2, v2, v12
	s_delay_alu instid0(VALU_DEP_2) | instskip(NEXT) | instid1(VALU_DEP_2)
	v_mul_lo_u32 v3, 0, v1
	v_mul_lo_u32 v2, 24, v2
	v_mul_hi_u32 v9, 24, v1
	v_mul_lo_u32 v1, 24, v1
	s_delay_alu instid0(VALU_DEP_3) | instskip(SKIP_1) | instid1(VALU_DEP_2)
	v_add_nc_u32_e32 v2, v2, v3
	s_wait_loadcnt 0x0
	v_add_co_u32 v1, vcc_lo, v6, v1
	s_delay_alu instid0(VALU_DEP_2) | instskip(SKIP_1) | instid1(VALU_DEP_1)
	v_add_nc_u32_e32 v2, v2, v9
	s_wait_alu 0xfffd
	v_add_co_ci_u32_e32 v2, vcc_lo, v7, v2, vcc_lo
	global_load_b64 v[9:10], v[1:2], off scope:SCOPE_SYS
	s_wait_loadcnt 0x0
	global_atomic_cmpswap_b64 v[6:7], v0, v[9:12], s[22:23] offset:24 th:TH_ATOMIC_RETURN scope:SCOPE_SYS
	s_wait_loadcnt 0x0
	global_inv scope:SCOPE_SYS
	v_cmpx_ne_u64_e64 v[6:7], v[11:12]
	s_cbranch_execz .LBB3_657
; %bb.654:
	s_mov_b32 s3, 0
.LBB3_655:                              ; =>This Inner Loop Header: Depth=1
	s_sleep 1
	s_clause 0x1
	global_load_b64 v[1:2], v0, s[22:23] offset:40
	global_load_b64 v[9:10], v0, s[22:23]
	v_dual_mov_b32 v12, v7 :: v_dual_mov_b32 v11, v6
	s_wait_loadcnt 0x1
	s_delay_alu instid0(VALU_DEP_1) | instskip(SKIP_1) | instid1(VALU_DEP_1)
	v_and_b32_e32 v1, v1, v11
	s_wait_loadcnt 0x0
	v_mad_co_u64_u32 v[6:7], null, v1, 24, v[9:10]
	s_delay_alu instid0(VALU_DEP_1) | instskip(NEXT) | instid1(VALU_DEP_1)
	v_dual_mov_b32 v1, v7 :: v_dual_and_b32 v2, v2, v12
	v_mad_co_u64_u32 v[1:2], null, v2, 24, v[1:2]
	s_delay_alu instid0(VALU_DEP_1)
	v_mov_b32_e32 v7, v1
	global_load_b64 v[9:10], v[6:7], off scope:SCOPE_SYS
	s_wait_loadcnt 0x0
	global_atomic_cmpswap_b64 v[6:7], v0, v[9:12], s[22:23] offset:24 th:TH_ATOMIC_RETURN scope:SCOPE_SYS
	s_wait_loadcnt 0x0
	global_inv scope:SCOPE_SYS
	v_cmp_eq_u64_e32 vcc_lo, v[6:7], v[11:12]
	s_wait_alu 0xfffe
	s_or_b32 s3, vcc_lo, s3
	s_wait_alu 0xfffe
	s_and_not1_b32 exec_lo, exec_lo, s3
	s_cbranch_execnz .LBB3_655
; %bb.656:
	s_or_b32 exec_lo, exec_lo, s3
.LBB3_657:
	s_wait_alu 0xfffe
	s_or_b32 exec_lo, exec_lo, s2
.LBB3_658:
	s_wait_alu 0xfffe
	s_or_b32 exec_lo, exec_lo, s1
	v_readfirstlane_b32 s2, v6
	s_wait_loadcnt 0x0
	v_mov_b32_e32 v10, 0
	v_readfirstlane_b32 s1, v7
	s_mov_b32 s3, exec_lo
	s_clause 0x1
	global_load_b64 v[11:12], v10, s[22:23] offset:40
	global_load_b128 v[0:3], v10, s[22:23]
	s_wait_loadcnt 0x1
	s_wait_alu 0xf1ff
	v_and_b32_e32 v13, s2, v11
	v_and_b32_e32 v14, s1, v12
	s_delay_alu instid0(VALU_DEP_2) | instskip(NEXT) | instid1(VALU_DEP_2)
	v_mul_lo_u32 v7, 0, v13
	v_mul_lo_u32 v6, 24, v14
	v_mul_hi_u32 v9, 24, v13
	v_mul_lo_u32 v11, 24, v13
	s_delay_alu instid0(VALU_DEP_3) | instskip(NEXT) | instid1(VALU_DEP_1)
	v_add_nc_u32_e32 v6, v6, v7
	v_add_nc_u32_e32 v7, v6, v9
	s_wait_loadcnt 0x0
	s_delay_alu instid0(VALU_DEP_3) | instskip(SKIP_1) | instid1(VALU_DEP_2)
	v_add_co_u32 v6, vcc_lo, v0, v11
	s_wait_alu 0xfffd
	v_add_co_ci_u32_e32 v7, vcc_lo, v1, v7, vcc_lo
	s_and_saveexec_b32 s4, s0
	s_cbranch_execz .LBB3_660
; %bb.659:
	s_wait_alu 0xfffe
	v_dual_mov_b32 v9, s3 :: v_dual_mov_b32 v12, 1
	v_mov_b32_e32 v11, 2
	global_store_b128 v[6:7], v[9:12], off offset:8
.LBB3_660:
	s_wait_alu 0xfffe
	s_or_b32 exec_lo, exec_lo, s4
	v_lshlrev_b64_e32 v[13:14], 12, v[13:14]
	s_mov_b32 s4, 0
	v_dual_mov_b32 v9, 33 :: v_dual_mov_b32 v12, v10
	s_wait_alu 0xfffe
	s_mov_b32 s7, s4
	s_mov_b32 s5, s4
	v_add_co_u32 v2, vcc_lo, v2, v13
	s_wait_alu 0xfffd
	v_add_co_ci_u32_e32 v3, vcc_lo, v3, v14, vcc_lo
	s_mov_b32 s6, s4
	s_delay_alu instid0(VALU_DEP_2)
	v_add_co_u32 v13, vcc_lo, v2, v39
	s_wait_alu 0xfffe
	v_dual_mov_b32 v11, v10 :: v_dual_mov_b32 v18, s7
	v_readfirstlane_b32 s10, v2
	v_readfirstlane_b32 s11, v3
	s_wait_alu 0xfffd
	v_add_co_ci_u32_e32 v14, vcc_lo, 0, v3, vcc_lo
	v_dual_mov_b32 v17, s6 :: v_dual_mov_b32 v16, s5
	v_mov_b32_e32 v15, s4
	s_clause 0x3
	global_store_b128 v39, v[9:12], s[10:11]
	global_store_b128 v39, v[15:18], s[10:11] offset:16
	global_store_b128 v39, v[15:18], s[10:11] offset:32
	;; [unrolled: 1-line block ×3, first 2 shown]
	s_and_saveexec_b32 s3, s0
	s_cbranch_execz .LBB3_668
; %bb.661:
	v_mov_b32_e32 v11, 0
	v_mov_b32_e32 v15, s2
	s_mov_b32 s4, exec_lo
	s_clause 0x1
	global_load_b64 v[17:18], v11, s[22:23] offset:32 scope:SCOPE_SYS
	global_load_b64 v[2:3], v11, s[22:23] offset:40
	v_mov_b32_e32 v16, s1
	s_wait_loadcnt 0x0
	v_and_b32_e32 v2, s2, v2
	v_and_b32_e32 v3, s1, v3
	s_delay_alu instid0(VALU_DEP_2) | instskip(NEXT) | instid1(VALU_DEP_2)
	v_mul_lo_u32 v9, 0, v2
	v_mul_lo_u32 v3, 24, v3
	v_mul_hi_u32 v10, 24, v2
	v_mul_lo_u32 v2, 24, v2
	s_delay_alu instid0(VALU_DEP_3) | instskip(NEXT) | instid1(VALU_DEP_2)
	v_add_nc_u32_e32 v3, v3, v9
	v_add_co_u32 v9, vcc_lo, v0, v2
	s_delay_alu instid0(VALU_DEP_2) | instskip(SKIP_1) | instid1(VALU_DEP_1)
	v_add_nc_u32_e32 v3, v3, v10
	s_wait_alu 0xfffd
	v_add_co_ci_u32_e32 v10, vcc_lo, v1, v3, vcc_lo
	global_store_b64 v[9:10], v[17:18], off
	global_wb scope:SCOPE_SYS
	s_wait_storecnt 0x0
	global_atomic_cmpswap_b64 v[2:3], v11, v[15:18], s[22:23] offset:32 th:TH_ATOMIC_RETURN scope:SCOPE_SYS
	s_wait_loadcnt 0x0
	v_cmpx_ne_u64_e64 v[2:3], v[17:18]
	s_cbranch_execz .LBB3_664
; %bb.662:
	s_mov_b32 s5, 0
.LBB3_663:                              ; =>This Inner Loop Header: Depth=1
	v_dual_mov_b32 v0, s2 :: v_dual_mov_b32 v1, s1
	s_sleep 1
	global_store_b64 v[9:10], v[2:3], off
	global_wb scope:SCOPE_SYS
	s_wait_storecnt 0x0
	global_atomic_cmpswap_b64 v[0:1], v11, v[0:3], s[22:23] offset:32 th:TH_ATOMIC_RETURN scope:SCOPE_SYS
	s_wait_loadcnt 0x0
	v_cmp_eq_u64_e32 vcc_lo, v[0:1], v[2:3]
	v_dual_mov_b32 v3, v1 :: v_dual_mov_b32 v2, v0
	s_wait_alu 0xfffe
	s_or_b32 s5, vcc_lo, s5
	s_wait_alu 0xfffe
	s_and_not1_b32 exec_lo, exec_lo, s5
	s_cbranch_execnz .LBB3_663
.LBB3_664:
	s_wait_alu 0xfffe
	s_or_b32 exec_lo, exec_lo, s4
	v_mov_b32_e32 v3, 0
	s_mov_b32 s5, exec_lo
	s_mov_b32 s4, exec_lo
	s_wait_alu 0xfffe
	v_mbcnt_lo_u32_b32 v2, s5, 0
	global_load_b64 v[0:1], v3, s[22:23] offset:16
	v_cmpx_eq_u32_e32 0, v2
	s_cbranch_execz .LBB3_666
; %bb.665:
	s_bcnt1_i32_b32 s5, s5
	s_wait_alu 0xfffe
	v_mov_b32_e32 v2, s5
	global_wb scope:SCOPE_SYS
	s_wait_loadcnt 0x0
	global_atomic_add_u64 v[0:1], v[2:3], off offset:8 scope:SCOPE_SYS
.LBB3_666:
	s_or_b32 exec_lo, exec_lo, s4
	s_wait_loadcnt 0x0
	global_load_b64 v[2:3], v[0:1], off offset:16
	s_wait_loadcnt 0x0
	v_cmp_eq_u64_e32 vcc_lo, 0, v[2:3]
	s_cbranch_vccnz .LBB3_668
; %bb.667:
	global_load_b32 v0, v[0:1], off offset:24
	v_mov_b32_e32 v1, 0
	s_wait_loadcnt 0x0
	v_and_b32_e32 v9, 0xffffff, v0
	global_wb scope:SCOPE_SYS
	s_wait_storecnt 0x0
	global_store_b64 v[2:3], v[0:1], off scope:SCOPE_SYS
	v_readfirstlane_b32 m0, v9
	s_sendmsg sendmsg(MSG_INTERRUPT)
.LBB3_668:
	s_wait_alu 0xfffe
	s_or_b32 exec_lo, exec_lo, s3
	s_branch .LBB3_672
.LBB3_669:                              ;   in Loop: Header=BB3_672 Depth=1
	s_wait_alu 0xfffe
	s_or_b32 exec_lo, exec_lo, s3
	s_delay_alu instid0(VALU_DEP_1) | instskip(NEXT) | instid1(VALU_DEP_1)
	v_readfirstlane_b32 s3, v0
	s_cmp_eq_u32 s3, 0
	s_cbranch_scc1 .LBB3_671
; %bb.670:                              ;   in Loop: Header=BB3_672 Depth=1
	s_sleep 1
	s_cbranch_execnz .LBB3_672
	s_branch .LBB3_674
.LBB3_671:
	s_branch .LBB3_674
.LBB3_672:                              ; =>This Inner Loop Header: Depth=1
	v_mov_b32_e32 v0, 1
	s_and_saveexec_b32 s3, s0
	s_cbranch_execz .LBB3_669
; %bb.673:                              ;   in Loop: Header=BB3_672 Depth=1
	global_load_b32 v0, v[6:7], off offset:20 scope:SCOPE_SYS
	s_wait_loadcnt 0x0
	global_inv scope:SCOPE_SYS
	v_and_b32_e32 v0, 1, v0
	s_branch .LBB3_669
.LBB3_674:
	global_load_b64 v[0:1], v[13:14], off
	s_and_saveexec_b32 s3, s0
	s_cbranch_execz .LBB3_678
; %bb.675:
	v_mov_b32_e32 v6, 0
	s_clause 0x2
	global_load_b64 v[2:3], v6, s[22:23] offset:40
	global_load_b64 v[13:14], v6, s[22:23] offset:24 scope:SCOPE_SYS
	global_load_b64 v[11:12], v6, s[22:23]
	s_wait_loadcnt 0x2
	v_add_co_u32 v7, vcc_lo, v2, 1
	s_wait_alu 0xfffd
	v_add_co_ci_u32_e32 v15, vcc_lo, 0, v3, vcc_lo
	s_delay_alu instid0(VALU_DEP_2) | instskip(SKIP_1) | instid1(VALU_DEP_2)
	v_add_co_u32 v9, vcc_lo, v7, s2
	s_wait_alu 0xfffd
	v_add_co_ci_u32_e32 v10, vcc_lo, s1, v15, vcc_lo
	s_delay_alu instid0(VALU_DEP_1) | instskip(SKIP_3) | instid1(VALU_DEP_2)
	v_cmp_eq_u64_e32 vcc_lo, 0, v[9:10]
	s_wait_alu 0xfffd
	v_cndmask_b32_e32 v9, v9, v7, vcc_lo
	v_cndmask_b32_e32 v10, v10, v15, vcc_lo
	v_and_b32_e32 v2, v9, v2
	s_delay_alu instid0(VALU_DEP_1) | instskip(SKIP_3) | instid1(VALU_DEP_1)
	v_mul_lo_u32 v7, 0, v2
	v_mul_hi_u32 v15, 24, v2
	v_mul_lo_u32 v2, 24, v2
	s_wait_loadcnt 0x0
	v_add_co_u32 v2, vcc_lo, v11, v2
	v_mov_b32_e32 v11, v13
	v_and_b32_e32 v3, v10, v3
	s_delay_alu instid0(VALU_DEP_1) | instskip(NEXT) | instid1(VALU_DEP_1)
	v_mul_lo_u32 v3, 24, v3
	v_add_nc_u32_e32 v3, v3, v7
	s_delay_alu instid0(VALU_DEP_1) | instskip(SKIP_1) | instid1(VALU_DEP_1)
	v_add_nc_u32_e32 v3, v3, v15
	s_wait_alu 0xfffd
	v_add_co_ci_u32_e32 v3, vcc_lo, v12, v3, vcc_lo
	v_mov_b32_e32 v12, v14
	global_store_b64 v[2:3], v[13:14], off
	global_wb scope:SCOPE_SYS
	s_wait_storecnt 0x0
	global_atomic_cmpswap_b64 v[11:12], v6, v[9:12], s[22:23] offset:24 th:TH_ATOMIC_RETURN scope:SCOPE_SYS
	s_wait_loadcnt 0x0
	v_cmp_ne_u64_e32 vcc_lo, v[11:12], v[13:14]
	s_and_b32 exec_lo, exec_lo, vcc_lo
	s_cbranch_execz .LBB3_678
; %bb.676:
	s_mov_b32 s0, 0
.LBB3_677:                              ; =>This Inner Loop Header: Depth=1
	s_sleep 1
	global_store_b64 v[2:3], v[11:12], off
	global_wb scope:SCOPE_SYS
	s_wait_storecnt 0x0
	global_atomic_cmpswap_b64 v[13:14], v6, v[9:12], s[22:23] offset:24 th:TH_ATOMIC_RETURN scope:SCOPE_SYS
	s_wait_loadcnt 0x0
	v_cmp_eq_u64_e32 vcc_lo, v[13:14], v[11:12]
	v_dual_mov_b32 v11, v13 :: v_dual_mov_b32 v12, v14
	s_wait_alu 0xfffe
	s_or_b32 s0, vcc_lo, s0
	s_wait_alu 0xfffe
	s_and_not1_b32 exec_lo, exec_lo, s0
	s_cbranch_execnz .LBB3_677
.LBB3_678:
	s_wait_alu 0xfffe
	s_or_b32 exec_lo, exec_lo, s3
	s_delay_alu instid0(SALU_CYCLE_1)
	s_and_b32 vcc_lo, exec_lo, s26
	s_wait_alu 0xfffe
	s_cbranch_vccz .LBB3_757
; %bb.679:
	s_wait_loadcnt 0x0
	v_dual_mov_b32 v13, 0 :: v_dual_and_b32 v36, 2, v0
	v_dual_mov_b32 v10, v1 :: v_dual_and_b32 v9, -3, v0
	v_dual_mov_b32 v14, 2 :: v_dual_mov_b32 v15, 1
	s_mov_b64 s[4:5], 3
	s_getpc_b64 s[2:3]
	s_wait_alu 0xfffe
	s_sext_i32_i16 s3, s3
	s_add_co_u32 s2, s2, .str.8@rel32@lo+12
	s_wait_alu 0xfffe
	s_add_co_ci_u32 s3, s3, .str.8@rel32@hi+24
	s_branch .LBB3_681
.LBB3_680:                              ;   in Loop: Header=BB3_681 Depth=1
	s_wait_alu 0xfffe
	s_or_b32 exec_lo, exec_lo, s11
	s_sub_nc_u64 s[4:5], s[4:5], s[6:7]
	s_add_nc_u64 s[2:3], s[2:3], s[6:7]
	s_wait_alu 0xfffe
	s_cmp_lg_u64 s[4:5], 0
	s_cbranch_scc0 .LBB3_756
.LBB3_681:                              ; =>This Loop Header: Depth=1
                                        ;     Child Loop BB3_690 Depth 2
                                        ;     Child Loop BB3_686 Depth 2
	;; [unrolled: 1-line block ×11, first 2 shown]
	v_cmp_lt_u64_e64 s0, s[4:5], 56
	v_cmp_gt_u64_e64 s1, s[4:5], 7
                                        ; implicit-def: $vgpr18_vgpr19
                                        ; implicit-def: $sgpr18
	s_delay_alu instid0(VALU_DEP_2) | instskip(SKIP_2) | instid1(VALU_DEP_1)
	s_and_b32 s0, s0, exec_lo
	s_cselect_b32 s7, s5, 0
	s_cselect_b32 s6, s4, 56
	s_and_b32 vcc_lo, exec_lo, s1
	s_mov_b32 s0, -1
	s_wait_alu 0xfffe
	s_cbranch_vccz .LBB3_688
; %bb.682:                              ;   in Loop: Header=BB3_681 Depth=1
	s_and_not1_b32 vcc_lo, exec_lo, s0
	s_mov_b64 s[0:1], s[2:3]
	s_wait_alu 0xfffe
	s_cbranch_vccz .LBB3_692
.LBB3_683:                              ;   in Loop: Header=BB3_681 Depth=1
	s_wait_alu 0xfffe
	s_cmp_gt_u32 s18, 7
	s_cbranch_scc1 .LBB3_693
.LBB3_684:                              ;   in Loop: Header=BB3_681 Depth=1
	v_mov_b32_e32 v20, 0
	v_mov_b32_e32 v21, 0
	s_cmp_eq_u32 s18, 0
	s_cbranch_scc1 .LBB3_687
; %bb.685:                              ;   in Loop: Header=BB3_681 Depth=1
	s_mov_b64 s[10:11], 0
	s_mov_b64 s[16:17], 0
.LBB3_686:                              ;   Parent Loop BB3_681 Depth=1
                                        ; =>  This Inner Loop Header: Depth=2
	s_wait_alu 0xfffe
	s_add_nc_u64 s[20:21], s[0:1], s[16:17]
	s_add_nc_u64 s[16:17], s[16:17], 1
	global_load_u8 v2, v13, s[20:21]
	s_wait_alu 0xfffe
	s_cmp_lg_u32 s18, s16
	s_wait_loadcnt 0x0
	v_and_b32_e32 v12, 0xffff, v2
	s_delay_alu instid0(VALU_DEP_1) | instskip(SKIP_1) | instid1(VALU_DEP_1)
	v_lshlrev_b64_e32 v[2:3], s10, v[12:13]
	s_add_nc_u64 s[10:11], s[10:11], 8
	v_or_b32_e32 v20, v2, v20
	s_delay_alu instid0(VALU_DEP_2)
	v_or_b32_e32 v21, v3, v21
	s_cbranch_scc1 .LBB3_686
.LBB3_687:                              ;   in Loop: Header=BB3_681 Depth=1
	s_mov_b32 s19, 0
	s_cbranch_execz .LBB3_694
	s_branch .LBB3_695
.LBB3_688:                              ;   in Loop: Header=BB3_681 Depth=1
	v_mov_b32_e32 v18, 0
	v_mov_b32_e32 v19, 0
	s_cmp_eq_u64 s[4:5], 0
	s_mov_b64 s[0:1], 0
	s_cbranch_scc1 .LBB3_691
; %bb.689:                              ;   in Loop: Header=BB3_681 Depth=1
	v_mov_b32_e32 v18, 0
	v_mov_b32_e32 v19, 0
	s_mov_b64 s[10:11], 0
.LBB3_690:                              ;   Parent Loop BB3_681 Depth=1
                                        ; =>  This Inner Loop Header: Depth=2
	s_wait_alu 0xfffe
	s_add_nc_u64 s[16:17], s[2:3], s[10:11]
	s_add_nc_u64 s[10:11], s[10:11], 1
	global_load_u8 v2, v13, s[16:17]
	s_wait_alu 0xfffe
	s_cmp_lg_u32 s6, s10
	s_wait_loadcnt 0x0
	v_and_b32_e32 v12, 0xffff, v2
	s_delay_alu instid0(VALU_DEP_1) | instskip(SKIP_1) | instid1(VALU_DEP_1)
	v_lshlrev_b64_e32 v[2:3], s0, v[12:13]
	s_add_nc_u64 s[0:1], s[0:1], 8
	v_or_b32_e32 v18, v2, v18
	s_delay_alu instid0(VALU_DEP_2)
	v_or_b32_e32 v19, v3, v19
	s_cbranch_scc1 .LBB3_690
.LBB3_691:                              ;   in Loop: Header=BB3_681 Depth=1
	s_mov_b32 s18, 0
	s_mov_b64 s[0:1], s[2:3]
	s_cbranch_execnz .LBB3_683
.LBB3_692:                              ;   in Loop: Header=BB3_681 Depth=1
	global_load_b64 v[18:19], v13, s[2:3]
	s_add_co_i32 s18, s6, -8
	s_add_nc_u64 s[0:1], s[2:3], 8
	s_wait_alu 0xfffe
	s_cmp_gt_u32 s18, 7
	s_cbranch_scc0 .LBB3_684
.LBB3_693:                              ;   in Loop: Header=BB3_681 Depth=1
                                        ; implicit-def: $vgpr20_vgpr21
                                        ; implicit-def: $sgpr19
.LBB3_694:                              ;   in Loop: Header=BB3_681 Depth=1
	global_load_b64 v[20:21], v13, s[0:1]
	s_add_co_i32 s19, s18, -8
	s_add_nc_u64 s[0:1], s[0:1], 8
.LBB3_695:                              ;   in Loop: Header=BB3_681 Depth=1
	s_wait_alu 0xfffe
	s_cmp_gt_u32 s19, 7
	s_cbranch_scc1 .LBB3_700
; %bb.696:                              ;   in Loop: Header=BB3_681 Depth=1
	v_mov_b32_e32 v22, 0
	v_mov_b32_e32 v23, 0
	s_cmp_eq_u32 s19, 0
	s_cbranch_scc1 .LBB3_699
; %bb.697:                              ;   in Loop: Header=BB3_681 Depth=1
	s_mov_b64 s[10:11], 0
	s_mov_b64 s[16:17], 0
.LBB3_698:                              ;   Parent Loop BB3_681 Depth=1
                                        ; =>  This Inner Loop Header: Depth=2
	s_wait_alu 0xfffe
	s_add_nc_u64 s[20:21], s[0:1], s[16:17]
	s_add_nc_u64 s[16:17], s[16:17], 1
	global_load_u8 v2, v13, s[20:21]
	s_wait_alu 0xfffe
	s_cmp_lg_u32 s19, s16
	s_wait_loadcnt 0x0
	v_and_b32_e32 v12, 0xffff, v2
	s_delay_alu instid0(VALU_DEP_1) | instskip(SKIP_1) | instid1(VALU_DEP_1)
	v_lshlrev_b64_e32 v[2:3], s10, v[12:13]
	s_add_nc_u64 s[10:11], s[10:11], 8
	v_or_b32_e32 v22, v2, v22
	s_delay_alu instid0(VALU_DEP_2)
	v_or_b32_e32 v23, v3, v23
	s_cbranch_scc1 .LBB3_698
.LBB3_699:                              ;   in Loop: Header=BB3_681 Depth=1
	s_mov_b32 s18, 0
	s_cbranch_execz .LBB3_701
	s_branch .LBB3_702
.LBB3_700:                              ;   in Loop: Header=BB3_681 Depth=1
                                        ; implicit-def: $sgpr18
.LBB3_701:                              ;   in Loop: Header=BB3_681 Depth=1
	global_load_b64 v[22:23], v13, s[0:1]
	s_add_co_i32 s18, s19, -8
	s_add_nc_u64 s[0:1], s[0:1], 8
.LBB3_702:                              ;   in Loop: Header=BB3_681 Depth=1
	s_wait_alu 0xfffe
	s_cmp_gt_u32 s18, 7
	s_cbranch_scc1 .LBB3_707
; %bb.703:                              ;   in Loop: Header=BB3_681 Depth=1
	v_mov_b32_e32 v24, 0
	v_mov_b32_e32 v25, 0
	s_cmp_eq_u32 s18, 0
	s_cbranch_scc1 .LBB3_706
; %bb.704:                              ;   in Loop: Header=BB3_681 Depth=1
	s_mov_b64 s[10:11], 0
	s_mov_b64 s[16:17], 0
.LBB3_705:                              ;   Parent Loop BB3_681 Depth=1
                                        ; =>  This Inner Loop Header: Depth=2
	s_wait_alu 0xfffe
	s_add_nc_u64 s[20:21], s[0:1], s[16:17]
	s_add_nc_u64 s[16:17], s[16:17], 1
	global_load_u8 v2, v13, s[20:21]
	s_wait_alu 0xfffe
	s_cmp_lg_u32 s18, s16
	s_wait_loadcnt 0x0
	v_and_b32_e32 v12, 0xffff, v2
	s_delay_alu instid0(VALU_DEP_1) | instskip(SKIP_1) | instid1(VALU_DEP_1)
	v_lshlrev_b64_e32 v[2:3], s10, v[12:13]
	s_add_nc_u64 s[10:11], s[10:11], 8
	v_or_b32_e32 v24, v2, v24
	s_delay_alu instid0(VALU_DEP_2)
	v_or_b32_e32 v25, v3, v25
	s_cbranch_scc1 .LBB3_705
.LBB3_706:                              ;   in Loop: Header=BB3_681 Depth=1
	s_mov_b32 s19, 0
	s_cbranch_execz .LBB3_708
	s_branch .LBB3_709
.LBB3_707:                              ;   in Loop: Header=BB3_681 Depth=1
                                        ; implicit-def: $vgpr24_vgpr25
                                        ; implicit-def: $sgpr19
.LBB3_708:                              ;   in Loop: Header=BB3_681 Depth=1
	global_load_b64 v[24:25], v13, s[0:1]
	s_add_co_i32 s19, s18, -8
	s_add_nc_u64 s[0:1], s[0:1], 8
.LBB3_709:                              ;   in Loop: Header=BB3_681 Depth=1
	s_wait_alu 0xfffe
	s_cmp_gt_u32 s19, 7
	s_cbranch_scc1 .LBB3_714
; %bb.710:                              ;   in Loop: Header=BB3_681 Depth=1
	v_mov_b32_e32 v26, 0
	v_mov_b32_e32 v27, 0
	s_cmp_eq_u32 s19, 0
	s_cbranch_scc1 .LBB3_713
; %bb.711:                              ;   in Loop: Header=BB3_681 Depth=1
	s_mov_b64 s[10:11], 0
	s_mov_b64 s[16:17], 0
.LBB3_712:                              ;   Parent Loop BB3_681 Depth=1
                                        ; =>  This Inner Loop Header: Depth=2
	s_wait_alu 0xfffe
	s_add_nc_u64 s[20:21], s[0:1], s[16:17]
	s_add_nc_u64 s[16:17], s[16:17], 1
	global_load_u8 v2, v13, s[20:21]
	s_wait_alu 0xfffe
	s_cmp_lg_u32 s19, s16
	s_wait_loadcnt 0x0
	v_and_b32_e32 v12, 0xffff, v2
	s_delay_alu instid0(VALU_DEP_1) | instskip(SKIP_1) | instid1(VALU_DEP_1)
	v_lshlrev_b64_e32 v[2:3], s10, v[12:13]
	s_add_nc_u64 s[10:11], s[10:11], 8
	v_or_b32_e32 v26, v2, v26
	s_delay_alu instid0(VALU_DEP_2)
	v_or_b32_e32 v27, v3, v27
	s_cbranch_scc1 .LBB3_712
.LBB3_713:                              ;   in Loop: Header=BB3_681 Depth=1
	s_mov_b32 s18, 0
	s_cbranch_execz .LBB3_715
	s_branch .LBB3_716
.LBB3_714:                              ;   in Loop: Header=BB3_681 Depth=1
                                        ; implicit-def: $sgpr18
.LBB3_715:                              ;   in Loop: Header=BB3_681 Depth=1
	global_load_b64 v[26:27], v13, s[0:1]
	s_add_co_i32 s18, s19, -8
	s_add_nc_u64 s[0:1], s[0:1], 8
.LBB3_716:                              ;   in Loop: Header=BB3_681 Depth=1
	s_wait_alu 0xfffe
	s_cmp_gt_u32 s18, 7
	s_cbranch_scc1 .LBB3_721
; %bb.717:                              ;   in Loop: Header=BB3_681 Depth=1
	v_mov_b32_e32 v28, 0
	v_mov_b32_e32 v29, 0
	s_cmp_eq_u32 s18, 0
	s_cbranch_scc1 .LBB3_720
; %bb.718:                              ;   in Loop: Header=BB3_681 Depth=1
	s_mov_b64 s[10:11], 0
	s_mov_b64 s[16:17], 0
.LBB3_719:                              ;   Parent Loop BB3_681 Depth=1
                                        ; =>  This Inner Loop Header: Depth=2
	s_wait_alu 0xfffe
	s_add_nc_u64 s[20:21], s[0:1], s[16:17]
	s_add_nc_u64 s[16:17], s[16:17], 1
	global_load_u8 v2, v13, s[20:21]
	s_wait_alu 0xfffe
	s_cmp_lg_u32 s18, s16
	s_wait_loadcnt 0x0
	v_and_b32_e32 v12, 0xffff, v2
	s_delay_alu instid0(VALU_DEP_1) | instskip(SKIP_1) | instid1(VALU_DEP_1)
	v_lshlrev_b64_e32 v[2:3], s10, v[12:13]
	s_add_nc_u64 s[10:11], s[10:11], 8
	v_or_b32_e32 v28, v2, v28
	s_delay_alu instid0(VALU_DEP_2)
	v_or_b32_e32 v29, v3, v29
	s_cbranch_scc1 .LBB3_719
.LBB3_720:                              ;   in Loop: Header=BB3_681 Depth=1
	s_mov_b32 s19, 0
	s_cbranch_execz .LBB3_722
	s_branch .LBB3_723
.LBB3_721:                              ;   in Loop: Header=BB3_681 Depth=1
                                        ; implicit-def: $vgpr28_vgpr29
                                        ; implicit-def: $sgpr19
.LBB3_722:                              ;   in Loop: Header=BB3_681 Depth=1
	global_load_b64 v[28:29], v13, s[0:1]
	s_add_co_i32 s19, s18, -8
	s_add_nc_u64 s[0:1], s[0:1], 8
.LBB3_723:                              ;   in Loop: Header=BB3_681 Depth=1
	s_wait_alu 0xfffe
	s_cmp_gt_u32 s19, 7
	s_cbranch_scc1 .LBB3_728
; %bb.724:                              ;   in Loop: Header=BB3_681 Depth=1
	v_mov_b32_e32 v30, 0
	v_mov_b32_e32 v31, 0
	s_cmp_eq_u32 s19, 0
	s_cbranch_scc1 .LBB3_727
; %bb.725:                              ;   in Loop: Header=BB3_681 Depth=1
	s_mov_b64 s[10:11], 0
	s_mov_b64 s[16:17], s[0:1]
.LBB3_726:                              ;   Parent Loop BB3_681 Depth=1
                                        ; =>  This Inner Loop Header: Depth=2
	global_load_u8 v2, v13, s[16:17]
	s_add_co_i32 s19, s19, -1
	s_wait_alu 0xfffe
	s_add_nc_u64 s[16:17], s[16:17], 1
	s_cmp_lg_u32 s19, 0
	s_wait_loadcnt 0x0
	v_and_b32_e32 v12, 0xffff, v2
	s_delay_alu instid0(VALU_DEP_1) | instskip(SKIP_1) | instid1(VALU_DEP_1)
	v_lshlrev_b64_e32 v[2:3], s10, v[12:13]
	s_add_nc_u64 s[10:11], s[10:11], 8
	v_or_b32_e32 v30, v2, v30
	s_delay_alu instid0(VALU_DEP_2)
	v_or_b32_e32 v31, v3, v31
	s_cbranch_scc1 .LBB3_726
.LBB3_727:                              ;   in Loop: Header=BB3_681 Depth=1
	s_cbranch_execz .LBB3_729
	s_branch .LBB3_730
.LBB3_728:                              ;   in Loop: Header=BB3_681 Depth=1
.LBB3_729:                              ;   in Loop: Header=BB3_681 Depth=1
	global_load_b64 v[30:31], v13, s[0:1]
.LBB3_730:                              ;   in Loop: Header=BB3_681 Depth=1
	v_readfirstlane_b32 s0, v50
	v_mov_b32_e32 v2, 0
	v_mov_b32_e32 v3, 0
	s_wait_alu 0xf1ff
	s_delay_alu instid0(VALU_DEP_3) | instskip(NEXT) | instid1(VALU_DEP_1)
	v_cmp_eq_u32_e64 s0, s0, v50
	s_and_saveexec_b32 s1, s0
	s_cbranch_execz .LBB3_736
; %bb.731:                              ;   in Loop: Header=BB3_681 Depth=1
	global_load_b64 v[34:35], v13, s[22:23] offset:24 scope:SCOPE_SYS
	s_wait_loadcnt 0x0
	global_inv scope:SCOPE_SYS
	s_clause 0x1
	global_load_b64 v[2:3], v13, s[22:23] offset:40
	global_load_b64 v[6:7], v13, s[22:23]
	s_mov_b32 s10, exec_lo
	s_wait_loadcnt 0x1
	v_and_b32_e32 v3, v3, v35
	v_and_b32_e32 v2, v2, v34
	s_delay_alu instid0(VALU_DEP_2) | instskip(NEXT) | instid1(VALU_DEP_2)
	v_mul_lo_u32 v3, 24, v3
	v_mul_lo_u32 v11, 0, v2
	v_mul_hi_u32 v12, 24, v2
	v_mul_lo_u32 v2, 24, v2
	s_delay_alu instid0(VALU_DEP_3) | instskip(SKIP_1) | instid1(VALU_DEP_2)
	v_add_nc_u32_e32 v3, v3, v11
	s_wait_loadcnt 0x0
	v_add_co_u32 v2, vcc_lo, v6, v2
	s_delay_alu instid0(VALU_DEP_2) | instskip(SKIP_1) | instid1(VALU_DEP_1)
	v_add_nc_u32_e32 v3, v3, v12
	s_wait_alu 0xfffd
	v_add_co_ci_u32_e32 v3, vcc_lo, v7, v3, vcc_lo
	global_load_b64 v[32:33], v[2:3], off scope:SCOPE_SYS
	s_wait_loadcnt 0x0
	global_atomic_cmpswap_b64 v[2:3], v13, v[32:35], s[22:23] offset:24 th:TH_ATOMIC_RETURN scope:SCOPE_SYS
	s_wait_loadcnt 0x0
	global_inv scope:SCOPE_SYS
	v_cmpx_ne_u64_e64 v[2:3], v[34:35]
	s_cbranch_execz .LBB3_735
; %bb.732:                              ;   in Loop: Header=BB3_681 Depth=1
	s_mov_b32 s11, 0
.LBB3_733:                              ;   Parent Loop BB3_681 Depth=1
                                        ; =>  This Inner Loop Header: Depth=2
	s_sleep 1
	s_clause 0x1
	global_load_b64 v[6:7], v13, s[22:23] offset:40
	global_load_b64 v[11:12], v13, s[22:23]
	v_dual_mov_b32 v35, v3 :: v_dual_mov_b32 v34, v2
	s_wait_loadcnt 0x1
	s_delay_alu instid0(VALU_DEP_1) | instskip(NEXT) | instid1(VALU_DEP_2)
	v_and_b32_e32 v2, v6, v34
	v_and_b32_e32 v6, v7, v35
	s_wait_loadcnt 0x0
	s_delay_alu instid0(VALU_DEP_2) | instskip(NEXT) | instid1(VALU_DEP_1)
	v_mad_co_u64_u32 v[2:3], null, v2, 24, v[11:12]
	v_mad_co_u64_u32 v[6:7], null, v6, 24, v[3:4]
	s_delay_alu instid0(VALU_DEP_1)
	v_mov_b32_e32 v3, v6
	global_load_b64 v[32:33], v[2:3], off scope:SCOPE_SYS
	s_wait_loadcnt 0x0
	global_atomic_cmpswap_b64 v[2:3], v13, v[32:35], s[22:23] offset:24 th:TH_ATOMIC_RETURN scope:SCOPE_SYS
	s_wait_loadcnt 0x0
	global_inv scope:SCOPE_SYS
	v_cmp_eq_u64_e32 vcc_lo, v[2:3], v[34:35]
	s_wait_alu 0xfffe
	s_or_b32 s11, vcc_lo, s11
	s_wait_alu 0xfffe
	s_and_not1_b32 exec_lo, exec_lo, s11
	s_cbranch_execnz .LBB3_733
; %bb.734:                              ;   in Loop: Header=BB3_681 Depth=1
	s_or_b32 exec_lo, exec_lo, s11
.LBB3_735:                              ;   in Loop: Header=BB3_681 Depth=1
	s_wait_alu 0xfffe
	s_or_b32 exec_lo, exec_lo, s10
.LBB3_736:                              ;   in Loop: Header=BB3_681 Depth=1
	s_wait_alu 0xfffe
	s_or_b32 exec_lo, exec_lo, s1
	s_clause 0x1
	global_load_b64 v[6:7], v13, s[22:23] offset:40
	global_load_b128 v[32:35], v13, s[22:23]
	v_readfirstlane_b32 s1, v3
	v_readfirstlane_b32 s10, v2
	s_mov_b32 s11, exec_lo
	s_wait_loadcnt 0x1
	s_wait_alu 0xf1ff
	v_and_b32_e32 v7, s1, v7
	v_and_b32_e32 v6, s10, v6
	s_delay_alu instid0(VALU_DEP_2) | instskip(NEXT) | instid1(VALU_DEP_2)
	v_mul_lo_u32 v2, 24, v7
	v_mul_lo_u32 v3, 0, v6
	v_mul_hi_u32 v11, 24, v6
	v_mul_lo_u32 v12, 24, v6
	s_delay_alu instid0(VALU_DEP_3) | instskip(NEXT) | instid1(VALU_DEP_1)
	v_add_nc_u32_e32 v2, v2, v3
	v_add_nc_u32_e32 v3, v2, v11
	s_wait_loadcnt 0x0
	s_delay_alu instid0(VALU_DEP_3) | instskip(SKIP_1) | instid1(VALU_DEP_2)
	v_add_co_u32 v2, vcc_lo, v32, v12
	s_wait_alu 0xfffd
	v_add_co_ci_u32_e32 v3, vcc_lo, v33, v3, vcc_lo
	s_and_saveexec_b32 s16, s0
	s_cbranch_execz .LBB3_738
; %bb.737:                              ;   in Loop: Header=BB3_681 Depth=1
	s_wait_alu 0xfffe
	v_mov_b32_e32 v12, s11
	global_store_b128 v[2:3], v[12:15], off offset:8
.LBB3_738:                              ;   in Loop: Header=BB3_681 Depth=1
	s_wait_alu 0xfffe
	s_or_b32 exec_lo, exec_lo, s16
	v_cmp_gt_u64_e64 vcc_lo, s[4:5], 56
	v_lshlrev_b64_e32 v[6:7], 12, v[6:7]
	v_or_b32_e32 v11, 0, v10
	v_or_b32_e32 v12, v9, v36
	s_lshl_b32 s11, s6, 2
	s_wait_alu 0xfffe
	s_add_co_i32 s11, s11, 28
	s_wait_alu 0xfffd
	v_cndmask_b32_e32 v17, v11, v10, vcc_lo
	v_cndmask_b32_e32 v9, v12, v9, vcc_lo
	v_add_co_u32 v34, vcc_lo, v34, v6
	s_wait_alu 0xfffd
	v_add_co_ci_u32_e32 v35, vcc_lo, v35, v7, vcc_lo
	s_wait_alu 0xfffe
	s_and_b32 s11, s11, 0x1e0
	v_readfirstlane_b32 s16, v34
	s_wait_alu 0xfffe
	v_and_or_b32 v16, 0xffffff1f, v9, s11
	v_readfirstlane_b32 s17, v35
	s_clause 0x3
	global_store_b128 v39, v[16:19], s[16:17]
	global_store_b128 v39, v[20:23], s[16:17] offset:16
	global_store_b128 v39, v[24:27], s[16:17] offset:32
	;; [unrolled: 1-line block ×3, first 2 shown]
	s_and_saveexec_b32 s11, s0
	s_cbranch_execz .LBB3_746
; %bb.739:                              ;   in Loop: Header=BB3_681 Depth=1
	s_clause 0x1
	global_load_b64 v[18:19], v13, s[22:23] offset:32 scope:SCOPE_SYS
	global_load_b64 v[6:7], v13, s[22:23] offset:40
	s_mov_b32 s16, exec_lo
	v_dual_mov_b32 v16, s10 :: v_dual_mov_b32 v17, s1
	s_wait_loadcnt 0x0
	v_and_b32_e32 v7, s1, v7
	v_and_b32_e32 v6, s10, v6
	s_delay_alu instid0(VALU_DEP_2) | instskip(NEXT) | instid1(VALU_DEP_2)
	v_mul_lo_u32 v7, 24, v7
	v_mul_lo_u32 v9, 0, v6
	v_mul_hi_u32 v10, 24, v6
	v_mul_lo_u32 v6, 24, v6
	s_delay_alu instid0(VALU_DEP_3) | instskip(NEXT) | instid1(VALU_DEP_2)
	v_add_nc_u32_e32 v7, v7, v9
	v_add_co_u32 v6, vcc_lo, v32, v6
	s_delay_alu instid0(VALU_DEP_2) | instskip(SKIP_1) | instid1(VALU_DEP_1)
	v_add_nc_u32_e32 v7, v7, v10
	s_wait_alu 0xfffd
	v_add_co_ci_u32_e32 v7, vcc_lo, v33, v7, vcc_lo
	global_store_b64 v[6:7], v[18:19], off
	global_wb scope:SCOPE_SYS
	s_wait_storecnt 0x0
	global_atomic_cmpswap_b64 v[11:12], v13, v[16:19], s[22:23] offset:32 th:TH_ATOMIC_RETURN scope:SCOPE_SYS
	s_wait_loadcnt 0x0
	v_cmpx_ne_u64_e64 v[11:12], v[18:19]
	s_cbranch_execz .LBB3_742
; %bb.740:                              ;   in Loop: Header=BB3_681 Depth=1
	s_mov_b32 s17, 0
.LBB3_741:                              ;   Parent Loop BB3_681 Depth=1
                                        ; =>  This Inner Loop Header: Depth=2
	v_dual_mov_b32 v9, s10 :: v_dual_mov_b32 v10, s1
	s_sleep 1
	global_store_b64 v[6:7], v[11:12], off
	global_wb scope:SCOPE_SYS
	s_wait_storecnt 0x0
	global_atomic_cmpswap_b64 v[9:10], v13, v[9:12], s[22:23] offset:32 th:TH_ATOMIC_RETURN scope:SCOPE_SYS
	s_wait_loadcnt 0x0
	v_cmp_eq_u64_e32 vcc_lo, v[9:10], v[11:12]
	v_dual_mov_b32 v12, v10 :: v_dual_mov_b32 v11, v9
	s_wait_alu 0xfffe
	s_or_b32 s17, vcc_lo, s17
	s_wait_alu 0xfffe
	s_and_not1_b32 exec_lo, exec_lo, s17
	s_cbranch_execnz .LBB3_741
.LBB3_742:                              ;   in Loop: Header=BB3_681 Depth=1
	s_wait_alu 0xfffe
	s_or_b32 exec_lo, exec_lo, s16
	global_load_b64 v[6:7], v13, s[22:23] offset:16
	s_mov_b32 s17, exec_lo
	s_mov_b32 s16, exec_lo
	s_wait_alu 0xfffe
	v_mbcnt_lo_u32_b32 v9, s17, 0
	s_delay_alu instid0(VALU_DEP_1)
	v_cmpx_eq_u32_e32 0, v9
	s_cbranch_execz .LBB3_744
; %bb.743:                              ;   in Loop: Header=BB3_681 Depth=1
	s_bcnt1_i32_b32 s17, s17
	s_wait_alu 0xfffe
	v_mov_b32_e32 v12, s17
	global_wb scope:SCOPE_SYS
	s_wait_loadcnt 0x0
	global_atomic_add_u64 v[6:7], v[12:13], off offset:8 scope:SCOPE_SYS
.LBB3_744:                              ;   in Loop: Header=BB3_681 Depth=1
	s_or_b32 exec_lo, exec_lo, s16
	s_wait_loadcnt 0x0
	global_load_b64 v[9:10], v[6:7], off offset:16
	s_wait_loadcnt 0x0
	v_cmp_eq_u64_e32 vcc_lo, 0, v[9:10]
	s_cbranch_vccnz .LBB3_746
; %bb.745:                              ;   in Loop: Header=BB3_681 Depth=1
	global_load_b32 v12, v[6:7], off offset:24
	s_wait_loadcnt 0x0
	v_and_b32_e32 v6, 0xffffff, v12
	global_wb scope:SCOPE_SYS
	s_wait_storecnt 0x0
	global_store_b64 v[9:10], v[12:13], off scope:SCOPE_SYS
	v_readfirstlane_b32 m0, v6
	s_sendmsg sendmsg(MSG_INTERRUPT)
.LBB3_746:                              ;   in Loop: Header=BB3_681 Depth=1
	s_wait_alu 0xfffe
	s_or_b32 exec_lo, exec_lo, s11
	v_add_co_u32 v6, vcc_lo, v34, v39
	s_wait_alu 0xfffd
	v_add_co_ci_u32_e32 v7, vcc_lo, 0, v35, vcc_lo
	s_branch .LBB3_750
.LBB3_747:                              ;   in Loop: Header=BB3_750 Depth=2
	s_wait_alu 0xfffe
	s_or_b32 exec_lo, exec_lo, s11
	s_delay_alu instid0(VALU_DEP_1) | instskip(NEXT) | instid1(VALU_DEP_1)
	v_readfirstlane_b32 s11, v9
	s_cmp_eq_u32 s11, 0
	s_cbranch_scc1 .LBB3_749
; %bb.748:                              ;   in Loop: Header=BB3_750 Depth=2
	s_sleep 1
	s_cbranch_execnz .LBB3_750
	s_branch .LBB3_752
.LBB3_749:                              ;   in Loop: Header=BB3_681 Depth=1
	s_branch .LBB3_752
.LBB3_750:                              ;   Parent Loop BB3_681 Depth=1
                                        ; =>  This Inner Loop Header: Depth=2
	v_mov_b32_e32 v9, 1
	s_and_saveexec_b32 s11, s0
	s_cbranch_execz .LBB3_747
; %bb.751:                              ;   in Loop: Header=BB3_750 Depth=2
	global_load_b32 v9, v[2:3], off offset:20 scope:SCOPE_SYS
	s_wait_loadcnt 0x0
	global_inv scope:SCOPE_SYS
	v_and_b32_e32 v9, 1, v9
	s_branch .LBB3_747
.LBB3_752:                              ;   in Loop: Header=BB3_681 Depth=1
	global_load_b128 v[9:12], v[6:7], off
	s_and_saveexec_b32 s11, s0
	s_cbranch_execz .LBB3_680
; %bb.753:                              ;   in Loop: Header=BB3_681 Depth=1
	s_clause 0x2
	global_load_b64 v[2:3], v13, s[22:23] offset:40
	global_load_b64 v[6:7], v13, s[22:23] offset:24 scope:SCOPE_SYS
	global_load_b64 v[11:12], v13, s[22:23]
	s_wait_loadcnt 0x2
	v_add_co_u32 v18, vcc_lo, v2, 1
	s_wait_alu 0xfffd
	v_add_co_ci_u32_e32 v19, vcc_lo, 0, v3, vcc_lo
	s_delay_alu instid0(VALU_DEP_2) | instskip(SKIP_1) | instid1(VALU_DEP_2)
	v_add_co_u32 v16, vcc_lo, v18, s10
	s_wait_alu 0xfffd
	v_add_co_ci_u32_e32 v17, vcc_lo, s1, v19, vcc_lo
	s_delay_alu instid0(VALU_DEP_1) | instskip(SKIP_2) | instid1(VALU_DEP_1)
	v_cmp_eq_u64_e32 vcc_lo, 0, v[16:17]
	s_wait_alu 0xfffd
	v_dual_cndmask_b32 v17, v17, v19 :: v_dual_cndmask_b32 v16, v16, v18
	v_and_b32_e32 v3, v17, v3
	s_delay_alu instid0(VALU_DEP_2) | instskip(NEXT) | instid1(VALU_DEP_2)
	v_and_b32_e32 v2, v16, v2
	v_mul_lo_u32 v3, 24, v3
	s_delay_alu instid0(VALU_DEP_2) | instskip(SKIP_2) | instid1(VALU_DEP_2)
	v_mul_lo_u32 v18, 0, v2
	v_mul_hi_u32 v19, 24, v2
	s_wait_loadcnt 0x1
	v_dual_mov_b32 v18, v6 :: v_dual_add_nc_u32 v3, v3, v18
	s_delay_alu instid0(VALU_DEP_1) | instskip(SKIP_3) | instid1(VALU_DEP_1)
	v_add_nc_u32_e32 v3, v3, v19
	v_mov_b32_e32 v19, v7
	v_mul_lo_u32 v2, 24, v2
	s_wait_loadcnt 0x0
	v_add_co_u32 v2, vcc_lo, v11, v2
	s_wait_alu 0xfffd
	v_add_co_ci_u32_e32 v3, vcc_lo, v12, v3, vcc_lo
	global_store_b64 v[2:3], v[6:7], off
	global_wb scope:SCOPE_SYS
	s_wait_storecnt 0x0
	global_atomic_cmpswap_b64 v[18:19], v13, v[16:19], s[22:23] offset:24 th:TH_ATOMIC_RETURN scope:SCOPE_SYS
	s_wait_loadcnt 0x0
	v_cmp_ne_u64_e32 vcc_lo, v[18:19], v[6:7]
	s_and_b32 exec_lo, exec_lo, vcc_lo
	s_cbranch_execz .LBB3_680
; %bb.754:                              ;   in Loop: Header=BB3_681 Depth=1
	s_mov_b32 s0, 0
.LBB3_755:                              ;   Parent Loop BB3_681 Depth=1
                                        ; =>  This Inner Loop Header: Depth=2
	s_sleep 1
	global_store_b64 v[2:3], v[18:19], off
	global_wb scope:SCOPE_SYS
	s_wait_storecnt 0x0
	global_atomic_cmpswap_b64 v[6:7], v13, v[16:19], s[22:23] offset:24 th:TH_ATOMIC_RETURN scope:SCOPE_SYS
	s_wait_loadcnt 0x0
	v_cmp_eq_u64_e32 vcc_lo, v[6:7], v[18:19]
	v_dual_mov_b32 v19, v7 :: v_dual_mov_b32 v18, v6
	s_wait_alu 0xfffe
	s_or_b32 s0, vcc_lo, s0
	s_wait_alu 0xfffe
	s_and_not1_b32 exec_lo, exec_lo, s0
	s_cbranch_execnz .LBB3_755
	s_branch .LBB3_680
.LBB3_756:
	s_branch .LBB3_785
.LBB3_757:
                                        ; implicit-def: $vgpr9_vgpr10
	s_cbranch_execz .LBB3_785
; %bb.758:
	v_readfirstlane_b32 s0, v50
	v_mov_b32_e32 v6, 0
	v_mov_b32_e32 v7, 0
	s_wait_alu 0xf1ff
	s_delay_alu instid0(VALU_DEP_3) | instskip(NEXT) | instid1(VALU_DEP_1)
	v_cmp_eq_u32_e64 s0, s0, v50
	s_and_saveexec_b32 s1, s0
	s_cbranch_execz .LBB3_764
; %bb.759:
	v_mov_b32_e32 v2, 0
	s_mov_b32 s2, exec_lo
	global_load_b64 v[11:12], v2, s[22:23] offset:24 scope:SCOPE_SYS
	s_wait_loadcnt 0x0
	global_inv scope:SCOPE_SYS
	s_clause 0x1
	global_load_b64 v[6:7], v2, s[22:23] offset:40
	global_load_b64 v[9:10], v2, s[22:23]
	s_wait_loadcnt 0x1
	v_and_b32_e32 v3, v7, v12
	v_and_b32_e32 v6, v6, v11
	s_delay_alu instid0(VALU_DEP_2) | instskip(NEXT) | instid1(VALU_DEP_2)
	v_mul_lo_u32 v3, 24, v3
	v_mul_lo_u32 v7, 0, v6
	v_mul_hi_u32 v13, 24, v6
	v_mul_lo_u32 v6, 24, v6
	s_delay_alu instid0(VALU_DEP_3) | instskip(SKIP_1) | instid1(VALU_DEP_2)
	v_add_nc_u32_e32 v3, v3, v7
	s_wait_loadcnt 0x0
	v_add_co_u32 v6, vcc_lo, v9, v6
	s_delay_alu instid0(VALU_DEP_2) | instskip(SKIP_1) | instid1(VALU_DEP_1)
	v_add_nc_u32_e32 v3, v3, v13
	s_wait_alu 0xfffd
	v_add_co_ci_u32_e32 v7, vcc_lo, v10, v3, vcc_lo
	global_load_b64 v[9:10], v[6:7], off scope:SCOPE_SYS
	s_wait_loadcnt 0x0
	global_atomic_cmpswap_b64 v[6:7], v2, v[9:12], s[22:23] offset:24 th:TH_ATOMIC_RETURN scope:SCOPE_SYS
	s_wait_loadcnt 0x0
	global_inv scope:SCOPE_SYS
	v_cmpx_ne_u64_e64 v[6:7], v[11:12]
	s_cbranch_execz .LBB3_763
; %bb.760:
	s_mov_b32 s3, 0
.LBB3_761:                              ; =>This Inner Loop Header: Depth=1
	s_sleep 1
	s_clause 0x1
	global_load_b64 v[9:10], v2, s[22:23] offset:40
	global_load_b64 v[13:14], v2, s[22:23]
	v_dual_mov_b32 v12, v7 :: v_dual_mov_b32 v11, v6
	s_wait_loadcnt 0x1
	s_delay_alu instid0(VALU_DEP_1) | instskip(NEXT) | instid1(VALU_DEP_2)
	v_and_b32_e32 v3, v9, v11
	v_and_b32_e32 v9, v10, v12
	s_wait_loadcnt 0x0
	s_delay_alu instid0(VALU_DEP_2) | instskip(NEXT) | instid1(VALU_DEP_1)
	v_mad_co_u64_u32 v[6:7], null, v3, 24, v[13:14]
	v_mov_b32_e32 v3, v7
	s_delay_alu instid0(VALU_DEP_1) | instskip(NEXT) | instid1(VALU_DEP_1)
	v_mad_co_u64_u32 v[9:10], null, v9, 24, v[3:4]
	v_mov_b32_e32 v7, v9
	global_load_b64 v[9:10], v[6:7], off scope:SCOPE_SYS
	s_wait_loadcnt 0x0
	global_atomic_cmpswap_b64 v[6:7], v2, v[9:12], s[22:23] offset:24 th:TH_ATOMIC_RETURN scope:SCOPE_SYS
	s_wait_loadcnt 0x0
	global_inv scope:SCOPE_SYS
	v_cmp_eq_u64_e32 vcc_lo, v[6:7], v[11:12]
	s_wait_alu 0xfffe
	s_or_b32 s3, vcc_lo, s3
	s_wait_alu 0xfffe
	s_and_not1_b32 exec_lo, exec_lo, s3
	s_cbranch_execnz .LBB3_761
; %bb.762:
	s_or_b32 exec_lo, exec_lo, s3
.LBB3_763:
	s_wait_alu 0xfffe
	s_or_b32 exec_lo, exec_lo, s2
.LBB3_764:
	s_wait_alu 0xfffe
	s_or_b32 exec_lo, exec_lo, s1
	v_readfirstlane_b32 s2, v6
	v_mov_b32_e32 v2, 0
	v_readfirstlane_b32 s1, v7
	s_mov_b32 s3, exec_lo
	s_clause 0x1
	global_load_b64 v[13:14], v2, s[22:23] offset:40
	global_load_b128 v[9:12], v2, s[22:23]
	s_wait_loadcnt 0x1
	s_wait_alu 0xf1ff
	v_and_b32_e32 v13, s2, v13
	v_and_b32_e32 v14, s1, v14
	s_delay_alu instid0(VALU_DEP_2) | instskip(NEXT) | instid1(VALU_DEP_2)
	v_mul_lo_u32 v6, 0, v13
	v_mul_lo_u32 v3, 24, v14
	v_mul_hi_u32 v7, 24, v13
	v_mul_lo_u32 v15, 24, v13
	s_delay_alu instid0(VALU_DEP_3) | instskip(SKIP_1) | instid1(VALU_DEP_2)
	v_add_nc_u32_e32 v3, v3, v6
	s_wait_loadcnt 0x0
	v_add_co_u32 v6, vcc_lo, v9, v15
	s_delay_alu instid0(VALU_DEP_2) | instskip(SKIP_1) | instid1(VALU_DEP_1)
	v_add_nc_u32_e32 v3, v3, v7
	s_wait_alu 0xfffd
	v_add_co_ci_u32_e32 v7, vcc_lo, v10, v3, vcc_lo
	s_and_saveexec_b32 s4, s0
	s_cbranch_execz .LBB3_766
; %bb.765:
	s_wait_alu 0xfffe
	v_dual_mov_b32 v15, s3 :: v_dual_mov_b32 v16, v2
	v_dual_mov_b32 v17, 2 :: v_dual_mov_b32 v18, 1
	global_store_b128 v[6:7], v[15:18], off offset:8
.LBB3_766:
	s_wait_alu 0xfffe
	s_or_b32 exec_lo, exec_lo, s4
	v_lshlrev_b64_e32 v[13:14], 12, v[13:14]
	s_mov_b32 s4, 0
	v_and_or_b32 v0, 0xffffff1f, v0, 32
	s_wait_alu 0xfffe
	s_mov_b32 s7, s4
	s_mov_b32 s5, s4
	;; [unrolled: 1-line block ×3, first 2 shown]
	v_add_co_u32 v11, vcc_lo, v11, v13
	s_wait_alu 0xfffd
	v_add_co_ci_u32_e32 v12, vcc_lo, v12, v14, vcc_lo
	s_wait_alu 0xfffe
	v_dual_mov_b32 v3, v2 :: v_dual_mov_b32 v16, s7
	v_readfirstlane_b32 s10, v11
	v_add_co_u32 v11, vcc_lo, v11, v39
	v_readfirstlane_b32 s11, v12
	s_wait_alu 0xfffd
	v_add_co_ci_u32_e32 v12, vcc_lo, 0, v12, vcc_lo
	v_dual_mov_b32 v15, s6 :: v_dual_mov_b32 v14, s5
	v_mov_b32_e32 v13, s4
	s_clause 0x3
	global_store_b128 v39, v[0:3], s[10:11]
	global_store_b128 v39, v[13:16], s[10:11] offset:16
	global_store_b128 v39, v[13:16], s[10:11] offset:32
	global_store_b128 v39, v[13:16], s[10:11] offset:48
	s_and_saveexec_b32 s3, s0
	s_cbranch_execz .LBB3_774
; %bb.767:
	v_mov_b32_e32 v13, 0
	v_mov_b32_e32 v15, s1
	s_mov_b32 s4, exec_lo
	s_clause 0x1
	global_load_b64 v[16:17], v13, s[22:23] offset:32 scope:SCOPE_SYS
	global_load_b64 v[0:1], v13, s[22:23] offset:40
	v_mov_b32_e32 v14, s2
	s_wait_loadcnt 0x0
	v_and_b32_e32 v0, s2, v0
	v_and_b32_e32 v1, s1, v1
	s_delay_alu instid0(VALU_DEP_2) | instskip(NEXT) | instid1(VALU_DEP_2)
	v_mul_lo_u32 v2, 0, v0
	v_mul_lo_u32 v1, 24, v1
	v_mul_hi_u32 v3, 24, v0
	v_mul_lo_u32 v0, 24, v0
	s_delay_alu instid0(VALU_DEP_3) | instskip(NEXT) | instid1(VALU_DEP_2)
	v_add_nc_u32_e32 v1, v1, v2
	v_add_co_u32 v9, vcc_lo, v9, v0
	s_delay_alu instid0(VALU_DEP_2) | instskip(SKIP_1) | instid1(VALU_DEP_1)
	v_add_nc_u32_e32 v1, v1, v3
	s_wait_alu 0xfffd
	v_add_co_ci_u32_e32 v10, vcc_lo, v10, v1, vcc_lo
	global_store_b64 v[9:10], v[16:17], off
	global_wb scope:SCOPE_SYS
	s_wait_storecnt 0x0
	global_atomic_cmpswap_b64 v[2:3], v13, v[14:17], s[22:23] offset:32 th:TH_ATOMIC_RETURN scope:SCOPE_SYS
	s_wait_loadcnt 0x0
	v_cmpx_ne_u64_e64 v[2:3], v[16:17]
	s_cbranch_execz .LBB3_770
; %bb.768:
	s_mov_b32 s5, 0
.LBB3_769:                              ; =>This Inner Loop Header: Depth=1
	v_dual_mov_b32 v0, s2 :: v_dual_mov_b32 v1, s1
	s_sleep 1
	global_store_b64 v[9:10], v[2:3], off
	global_wb scope:SCOPE_SYS
	s_wait_storecnt 0x0
	global_atomic_cmpswap_b64 v[0:1], v13, v[0:3], s[22:23] offset:32 th:TH_ATOMIC_RETURN scope:SCOPE_SYS
	s_wait_loadcnt 0x0
	v_cmp_eq_u64_e32 vcc_lo, v[0:1], v[2:3]
	v_dual_mov_b32 v3, v1 :: v_dual_mov_b32 v2, v0
	s_wait_alu 0xfffe
	s_or_b32 s5, vcc_lo, s5
	s_wait_alu 0xfffe
	s_and_not1_b32 exec_lo, exec_lo, s5
	s_cbranch_execnz .LBB3_769
.LBB3_770:
	s_wait_alu 0xfffe
	s_or_b32 exec_lo, exec_lo, s4
	v_mov_b32_e32 v3, 0
	s_mov_b32 s5, exec_lo
	s_mov_b32 s4, exec_lo
	s_wait_alu 0xfffe
	v_mbcnt_lo_u32_b32 v2, s5, 0
	global_load_b64 v[0:1], v3, s[22:23] offset:16
	v_cmpx_eq_u32_e32 0, v2
	s_cbranch_execz .LBB3_772
; %bb.771:
	s_bcnt1_i32_b32 s5, s5
	s_wait_alu 0xfffe
	v_mov_b32_e32 v2, s5
	global_wb scope:SCOPE_SYS
	s_wait_loadcnt 0x0
	global_atomic_add_u64 v[0:1], v[2:3], off offset:8 scope:SCOPE_SYS
.LBB3_772:
	s_or_b32 exec_lo, exec_lo, s4
	s_wait_loadcnt 0x0
	global_load_b64 v[2:3], v[0:1], off offset:16
	s_wait_loadcnt 0x0
	v_cmp_eq_u64_e32 vcc_lo, 0, v[2:3]
	s_cbranch_vccnz .LBB3_774
; %bb.773:
	global_load_b32 v0, v[0:1], off offset:24
	v_mov_b32_e32 v1, 0
	s_wait_loadcnt 0x0
	v_and_b32_e32 v9, 0xffffff, v0
	global_wb scope:SCOPE_SYS
	s_wait_storecnt 0x0
	global_store_b64 v[2:3], v[0:1], off scope:SCOPE_SYS
	v_readfirstlane_b32 m0, v9
	s_sendmsg sendmsg(MSG_INTERRUPT)
.LBB3_774:
	s_wait_alu 0xfffe
	s_or_b32 exec_lo, exec_lo, s3
	s_branch .LBB3_778
.LBB3_775:                              ;   in Loop: Header=BB3_778 Depth=1
	s_wait_alu 0xfffe
	s_or_b32 exec_lo, exec_lo, s3
	s_delay_alu instid0(VALU_DEP_1) | instskip(NEXT) | instid1(VALU_DEP_1)
	v_readfirstlane_b32 s3, v0
	s_cmp_eq_u32 s3, 0
	s_cbranch_scc1 .LBB3_777
; %bb.776:                              ;   in Loop: Header=BB3_778 Depth=1
	s_sleep 1
	s_cbranch_execnz .LBB3_778
	s_branch .LBB3_780
.LBB3_777:
	s_branch .LBB3_780
.LBB3_778:                              ; =>This Inner Loop Header: Depth=1
	v_mov_b32_e32 v0, 1
	s_and_saveexec_b32 s3, s0
	s_cbranch_execz .LBB3_775
; %bb.779:                              ;   in Loop: Header=BB3_778 Depth=1
	global_load_b32 v0, v[6:7], off offset:20 scope:SCOPE_SYS
	s_wait_loadcnt 0x0
	global_inv scope:SCOPE_SYS
	v_and_b32_e32 v0, 1, v0
	s_branch .LBB3_775
.LBB3_780:
	global_load_b64 v[9:10], v[11:12], off
	s_and_saveexec_b32 s3, s0
	s_cbranch_execz .LBB3_784
; %bb.781:
	v_mov_b32_e32 v11, 0
	s_clause 0x2
	global_load_b64 v[2:3], v11, s[22:23] offset:40
	global_load_b64 v[12:13], v11, s[22:23] offset:24 scope:SCOPE_SYS
	global_load_b64 v[6:7], v11, s[22:23]
	s_wait_loadcnt 0x2
	v_add_co_u32 v14, vcc_lo, v2, 1
	s_wait_alu 0xfffd
	v_add_co_ci_u32_e32 v15, vcc_lo, 0, v3, vcc_lo
	s_delay_alu instid0(VALU_DEP_2) | instskip(SKIP_1) | instid1(VALU_DEP_2)
	v_add_co_u32 v0, vcc_lo, v14, s2
	s_wait_alu 0xfffd
	v_add_co_ci_u32_e32 v1, vcc_lo, s1, v15, vcc_lo
	s_delay_alu instid0(VALU_DEP_1) | instskip(SKIP_2) | instid1(VALU_DEP_1)
	v_cmp_eq_u64_e32 vcc_lo, 0, v[0:1]
	s_wait_alu 0xfffd
	v_dual_cndmask_b32 v0, v0, v14 :: v_dual_cndmask_b32 v1, v1, v15
	v_and_b32_e32 v2, v0, v2
	s_delay_alu instid0(VALU_DEP_2) | instskip(NEXT) | instid1(VALU_DEP_2)
	v_and_b32_e32 v3, v1, v3
	v_mul_lo_u32 v14, 0, v2
	v_mul_hi_u32 v15, 24, v2
	v_mul_lo_u32 v2, 24, v2
	s_wait_loadcnt 0x0
	s_delay_alu instid0(VALU_DEP_1) | instskip(SKIP_2) | instid1(VALU_DEP_1)
	v_add_co_u32 v6, vcc_lo, v6, v2
	v_mov_b32_e32 v2, v12
	v_mul_lo_u32 v3, 24, v3
	v_add_nc_u32_e32 v3, v3, v14
	s_delay_alu instid0(VALU_DEP_1) | instskip(SKIP_1) | instid1(VALU_DEP_1)
	v_add_nc_u32_e32 v3, v3, v15
	s_wait_alu 0xfffd
	v_add_co_ci_u32_e32 v7, vcc_lo, v7, v3, vcc_lo
	v_mov_b32_e32 v3, v13
	global_store_b64 v[6:7], v[12:13], off
	global_wb scope:SCOPE_SYS
	s_wait_storecnt 0x0
	global_atomic_cmpswap_b64 v[2:3], v11, v[0:3], s[22:23] offset:24 th:TH_ATOMIC_RETURN scope:SCOPE_SYS
	s_wait_loadcnt 0x0
	v_cmp_ne_u64_e32 vcc_lo, v[2:3], v[12:13]
	s_and_b32 exec_lo, exec_lo, vcc_lo
	s_cbranch_execz .LBB3_784
; %bb.782:
	s_mov_b32 s0, 0
.LBB3_783:                              ; =>This Inner Loop Header: Depth=1
	s_sleep 1
	global_store_b64 v[6:7], v[2:3], off
	global_wb scope:SCOPE_SYS
	s_wait_storecnt 0x0
	global_atomic_cmpswap_b64 v[12:13], v11, v[0:3], s[22:23] offset:24 th:TH_ATOMIC_RETURN scope:SCOPE_SYS
	s_wait_loadcnt 0x0
	v_cmp_eq_u64_e32 vcc_lo, v[12:13], v[2:3]
	v_dual_mov_b32 v2, v12 :: v_dual_mov_b32 v3, v13
	s_wait_alu 0xfffe
	s_or_b32 s0, vcc_lo, s0
	s_wait_alu 0xfffe
	s_and_not1_b32 exec_lo, exec_lo, s0
	s_cbranch_execnz .LBB3_783
.LBB3_784:
	s_wait_alu 0xfffe
	s_or_b32 exec_lo, exec_lo, s3
.LBB3_785:
	v_readfirstlane_b32 s0, v50
	v_mov_b32_e32 v6, 0
	v_mov_b32_e32 v7, 0
	s_wait_alu 0xf1ff
	s_delay_alu instid0(VALU_DEP_3) | instskip(NEXT) | instid1(VALU_DEP_1)
	v_cmp_eq_u32_e64 s0, s0, v50
	s_and_saveexec_b32 s1, s0
	s_cbranch_execz .LBB3_791
; %bb.786:
	s_wait_loadcnt 0x0
	v_mov_b32_e32 v0, 0
	s_mov_b32 s2, exec_lo
	global_load_b64 v[13:14], v0, s[22:23] offset:24 scope:SCOPE_SYS
	s_wait_loadcnt 0x0
	global_inv scope:SCOPE_SYS
	s_clause 0x1
	global_load_b64 v[1:2], v0, s[22:23] offset:40
	global_load_b64 v[6:7], v0, s[22:23]
	s_wait_loadcnt 0x1
	v_and_b32_e32 v1, v1, v13
	v_and_b32_e32 v2, v2, v14
	s_delay_alu instid0(VALU_DEP_2) | instskip(NEXT) | instid1(VALU_DEP_2)
	v_mul_lo_u32 v3, 0, v1
	v_mul_lo_u32 v2, 24, v2
	v_mul_hi_u32 v11, 24, v1
	v_mul_lo_u32 v1, 24, v1
	s_delay_alu instid0(VALU_DEP_3) | instskip(SKIP_1) | instid1(VALU_DEP_2)
	v_add_nc_u32_e32 v2, v2, v3
	s_wait_loadcnt 0x0
	v_add_co_u32 v1, vcc_lo, v6, v1
	s_delay_alu instid0(VALU_DEP_2) | instskip(SKIP_1) | instid1(VALU_DEP_1)
	v_add_nc_u32_e32 v2, v2, v11
	s_wait_alu 0xfffd
	v_add_co_ci_u32_e32 v2, vcc_lo, v7, v2, vcc_lo
	global_load_b64 v[11:12], v[1:2], off scope:SCOPE_SYS
	s_wait_loadcnt 0x0
	global_atomic_cmpswap_b64 v[6:7], v0, v[11:14], s[22:23] offset:24 th:TH_ATOMIC_RETURN scope:SCOPE_SYS
	s_wait_loadcnt 0x0
	global_inv scope:SCOPE_SYS
	v_cmpx_ne_u64_e64 v[6:7], v[13:14]
	s_cbranch_execz .LBB3_790
; %bb.787:
	s_mov_b32 s3, 0
.LBB3_788:                              ; =>This Inner Loop Header: Depth=1
	s_sleep 1
	s_clause 0x1
	global_load_b64 v[1:2], v0, s[22:23] offset:40
	global_load_b64 v[11:12], v0, s[22:23]
	v_dual_mov_b32 v14, v7 :: v_dual_mov_b32 v13, v6
	s_wait_loadcnt 0x1
	s_delay_alu instid0(VALU_DEP_1) | instskip(SKIP_1) | instid1(VALU_DEP_1)
	v_and_b32_e32 v1, v1, v13
	s_wait_loadcnt 0x0
	v_mad_co_u64_u32 v[6:7], null, v1, 24, v[11:12]
	s_delay_alu instid0(VALU_DEP_1) | instskip(NEXT) | instid1(VALU_DEP_1)
	v_dual_mov_b32 v1, v7 :: v_dual_and_b32 v2, v2, v14
	v_mad_co_u64_u32 v[1:2], null, v2, 24, v[1:2]
	s_delay_alu instid0(VALU_DEP_1)
	v_mov_b32_e32 v7, v1
	global_load_b64 v[11:12], v[6:7], off scope:SCOPE_SYS
	s_wait_loadcnt 0x0
	global_atomic_cmpswap_b64 v[6:7], v0, v[11:14], s[22:23] offset:24 th:TH_ATOMIC_RETURN scope:SCOPE_SYS
	s_wait_loadcnt 0x0
	global_inv scope:SCOPE_SYS
	v_cmp_eq_u64_e32 vcc_lo, v[6:7], v[13:14]
	s_wait_alu 0xfffe
	s_or_b32 s3, vcc_lo, s3
	s_wait_alu 0xfffe
	s_and_not1_b32 exec_lo, exec_lo, s3
	s_cbranch_execnz .LBB3_788
; %bb.789:
	s_or_b32 exec_lo, exec_lo, s3
.LBB3_790:
	s_wait_alu 0xfffe
	s_or_b32 exec_lo, exec_lo, s2
.LBB3_791:
	s_wait_alu 0xfffe
	s_or_b32 exec_lo, exec_lo, s1
	v_readfirstlane_b32 s2, v6
	s_wait_loadcnt 0x0
	v_mov_b32_e32 v12, 0
	v_readfirstlane_b32 s1, v7
	s_mov_b32 s3, exec_lo
	s_clause 0x1
	global_load_b64 v[13:14], v12, s[22:23] offset:40
	global_load_b128 v[0:3], v12, s[22:23]
	s_wait_loadcnt 0x1
	s_wait_alu 0xf1ff
	v_and_b32_e32 v13, s2, v13
	v_and_b32_e32 v14, s1, v14
	s_delay_alu instid0(VALU_DEP_2) | instskip(NEXT) | instid1(VALU_DEP_2)
	v_mul_lo_u32 v7, 0, v13
	v_mul_lo_u32 v6, 24, v14
	v_mul_hi_u32 v11, 24, v13
	v_mul_lo_u32 v15, 24, v13
	s_delay_alu instid0(VALU_DEP_3) | instskip(NEXT) | instid1(VALU_DEP_1)
	v_add_nc_u32_e32 v6, v6, v7
	v_add_nc_u32_e32 v7, v6, v11
	s_wait_loadcnt 0x0
	s_delay_alu instid0(VALU_DEP_3) | instskip(SKIP_1) | instid1(VALU_DEP_2)
	v_add_co_u32 v6, vcc_lo, v0, v15
	s_wait_alu 0xfffd
	v_add_co_ci_u32_e32 v7, vcc_lo, v1, v7, vcc_lo
	s_and_saveexec_b32 s4, s0
	s_cbranch_execz .LBB3_793
; %bb.792:
	s_wait_alu 0xfffe
	v_dual_mov_b32 v11, s3 :: v_dual_mov_b32 v18, 1
	v_dual_mov_b32 v17, 2 :: v_dual_mov_b32 v16, v12
	s_delay_alu instid0(VALU_DEP_2)
	v_mov_b32_e32 v15, v11
	global_store_b128 v[6:7], v[15:18], off offset:8
.LBB3_793:
	s_wait_alu 0xfffe
	s_or_b32 exec_lo, exec_lo, s4
	v_lshlrev_b64_e32 v[13:14], 12, v[13:14]
	s_mov_b32 s4, 0
	v_and_or_b32 v9, 0xffffff1d, v9, 34
	s_wait_alu 0xfffe
	s_mov_b32 s7, s4
	s_mov_b32 s5, s4
	;; [unrolled: 1-line block ×3, first 2 shown]
	v_add_co_u32 v2, vcc_lo, v2, v13
	s_wait_alu 0xfffd
	v_add_co_ci_u32_e32 v3, vcc_lo, v3, v14, vcc_lo
	s_wait_alu 0xfffe
	v_dual_mov_b32 v11, 58 :: v_dual_mov_b32 v16, s7
	v_readfirstlane_b32 s10, v2
	s_delay_alu instid0(VALU_DEP_3)
	v_readfirstlane_b32 s11, v3
	v_dual_mov_b32 v15, s6 :: v_dual_mov_b32 v14, s5
	v_mov_b32_e32 v13, s4
	s_clause 0x3
	global_store_b128 v39, v[9:12], s[10:11]
	global_store_b128 v39, v[13:16], s[10:11] offset:16
	global_store_b128 v39, v[13:16], s[10:11] offset:32
	;; [unrolled: 1-line block ×3, first 2 shown]
	s_and_saveexec_b32 s3, s0
	s_cbranch_execz .LBB3_801
; %bb.794:
	v_mov_b32_e32 v11, 0
	v_mov_b32_e32 v13, s1
	s_mov_b32 s4, exec_lo
	s_clause 0x1
	global_load_b64 v[14:15], v11, s[22:23] offset:32 scope:SCOPE_SYS
	global_load_b64 v[2:3], v11, s[22:23] offset:40
	v_mov_b32_e32 v12, s2
	s_wait_loadcnt 0x0
	v_and_b32_e32 v2, s2, v2
	v_and_b32_e32 v3, s1, v3
	s_delay_alu instid0(VALU_DEP_2) | instskip(NEXT) | instid1(VALU_DEP_2)
	v_mul_lo_u32 v9, 0, v2
	v_mul_lo_u32 v3, 24, v3
	v_mul_hi_u32 v10, 24, v2
	v_mul_lo_u32 v2, 24, v2
	s_delay_alu instid0(VALU_DEP_3) | instskip(NEXT) | instid1(VALU_DEP_2)
	v_add_nc_u32_e32 v3, v3, v9
	v_add_co_u32 v9, vcc_lo, v0, v2
	s_delay_alu instid0(VALU_DEP_2) | instskip(SKIP_1) | instid1(VALU_DEP_1)
	v_add_nc_u32_e32 v3, v3, v10
	s_wait_alu 0xfffd
	v_add_co_ci_u32_e32 v10, vcc_lo, v1, v3, vcc_lo
	global_store_b64 v[9:10], v[14:15], off
	global_wb scope:SCOPE_SYS
	s_wait_storecnt 0x0
	global_atomic_cmpswap_b64 v[2:3], v11, v[12:15], s[22:23] offset:32 th:TH_ATOMIC_RETURN scope:SCOPE_SYS
	s_wait_loadcnt 0x0
	v_cmpx_ne_u64_e64 v[2:3], v[14:15]
	s_cbranch_execz .LBB3_797
; %bb.795:
	s_mov_b32 s5, 0
.LBB3_796:                              ; =>This Inner Loop Header: Depth=1
	v_dual_mov_b32 v0, s2 :: v_dual_mov_b32 v1, s1
	s_sleep 1
	global_store_b64 v[9:10], v[2:3], off
	global_wb scope:SCOPE_SYS
	s_wait_storecnt 0x0
	global_atomic_cmpswap_b64 v[0:1], v11, v[0:3], s[22:23] offset:32 th:TH_ATOMIC_RETURN scope:SCOPE_SYS
	s_wait_loadcnt 0x0
	v_cmp_eq_u64_e32 vcc_lo, v[0:1], v[2:3]
	v_dual_mov_b32 v3, v1 :: v_dual_mov_b32 v2, v0
	s_wait_alu 0xfffe
	s_or_b32 s5, vcc_lo, s5
	s_wait_alu 0xfffe
	s_and_not1_b32 exec_lo, exec_lo, s5
	s_cbranch_execnz .LBB3_796
.LBB3_797:
	s_wait_alu 0xfffe
	s_or_b32 exec_lo, exec_lo, s4
	v_mov_b32_e32 v3, 0
	s_mov_b32 s5, exec_lo
	s_mov_b32 s4, exec_lo
	s_wait_alu 0xfffe
	v_mbcnt_lo_u32_b32 v2, s5, 0
	global_load_b64 v[0:1], v3, s[22:23] offset:16
	v_cmpx_eq_u32_e32 0, v2
	s_cbranch_execz .LBB3_799
; %bb.798:
	s_bcnt1_i32_b32 s5, s5
	s_wait_alu 0xfffe
	v_mov_b32_e32 v2, s5
	global_wb scope:SCOPE_SYS
	s_wait_loadcnt 0x0
	global_atomic_add_u64 v[0:1], v[2:3], off offset:8 scope:SCOPE_SYS
.LBB3_799:
	s_or_b32 exec_lo, exec_lo, s4
	s_wait_loadcnt 0x0
	global_load_b64 v[2:3], v[0:1], off offset:16
	s_wait_loadcnt 0x0
	v_cmp_eq_u64_e32 vcc_lo, 0, v[2:3]
	s_cbranch_vccnz .LBB3_801
; %bb.800:
	global_load_b32 v0, v[0:1], off offset:24
	v_mov_b32_e32 v1, 0
	s_wait_loadcnt 0x0
	v_and_b32_e32 v9, 0xffffff, v0
	global_wb scope:SCOPE_SYS
	s_wait_storecnt 0x0
	global_store_b64 v[2:3], v[0:1], off scope:SCOPE_SYS
	v_readfirstlane_b32 m0, v9
	s_sendmsg sendmsg(MSG_INTERRUPT)
.LBB3_801:
	s_wait_alu 0xfffe
	s_or_b32 exec_lo, exec_lo, s3
	s_branch .LBB3_805
.LBB3_802:                              ;   in Loop: Header=BB3_805 Depth=1
	s_wait_alu 0xfffe
	s_or_b32 exec_lo, exec_lo, s3
	s_delay_alu instid0(VALU_DEP_1) | instskip(NEXT) | instid1(VALU_DEP_1)
	v_readfirstlane_b32 s3, v0
	s_cmp_eq_u32 s3, 0
	s_cbranch_scc1 .LBB3_804
; %bb.803:                              ;   in Loop: Header=BB3_805 Depth=1
	s_sleep 1
	s_cbranch_execnz .LBB3_805
	s_branch .LBB3_807
.LBB3_804:
	s_branch .LBB3_807
.LBB3_805:                              ; =>This Inner Loop Header: Depth=1
	v_mov_b32_e32 v0, 1
	s_and_saveexec_b32 s3, s0
	s_cbranch_execz .LBB3_802
; %bb.806:                              ;   in Loop: Header=BB3_805 Depth=1
	global_load_b32 v0, v[6:7], off offset:20 scope:SCOPE_SYS
	s_wait_loadcnt 0x0
	global_inv scope:SCOPE_SYS
	v_and_b32_e32 v0, 1, v0
	s_branch .LBB3_802
.LBB3_807:
	s_and_saveexec_b32 s3, s0
	s_cbranch_execz .LBB3_811
; %bb.808:
	v_mov_b32_e32 v9, 0
	s_clause 0x2
	global_load_b64 v[2:3], v9, s[22:23] offset:40
	global_load_b64 v[10:11], v9, s[22:23] offset:24 scope:SCOPE_SYS
	global_load_b64 v[6:7], v9, s[22:23]
	s_wait_loadcnt 0x2
	v_add_co_u32 v12, vcc_lo, v2, 1
	s_wait_alu 0xfffd
	v_add_co_ci_u32_e32 v13, vcc_lo, 0, v3, vcc_lo
	s_delay_alu instid0(VALU_DEP_2) | instskip(SKIP_1) | instid1(VALU_DEP_2)
	v_add_co_u32 v0, vcc_lo, v12, s2
	s_wait_alu 0xfffd
	v_add_co_ci_u32_e32 v1, vcc_lo, s1, v13, vcc_lo
	s_delay_alu instid0(VALU_DEP_1) | instskip(SKIP_2) | instid1(VALU_DEP_1)
	v_cmp_eq_u64_e32 vcc_lo, 0, v[0:1]
	s_wait_alu 0xfffd
	v_dual_cndmask_b32 v0, v0, v12 :: v_dual_cndmask_b32 v1, v1, v13
	v_and_b32_e32 v2, v0, v2
	s_delay_alu instid0(VALU_DEP_2) | instskip(NEXT) | instid1(VALU_DEP_2)
	v_and_b32_e32 v3, v1, v3
	v_mul_lo_u32 v12, 0, v2
	v_mul_hi_u32 v13, 24, v2
	v_mul_lo_u32 v2, 24, v2
	s_wait_loadcnt 0x0
	s_delay_alu instid0(VALU_DEP_1) | instskip(SKIP_2) | instid1(VALU_DEP_1)
	v_add_co_u32 v6, vcc_lo, v6, v2
	v_mov_b32_e32 v2, v10
	v_mul_lo_u32 v3, 24, v3
	v_add_nc_u32_e32 v3, v3, v12
	s_delay_alu instid0(VALU_DEP_1) | instskip(SKIP_1) | instid1(VALU_DEP_1)
	v_add_nc_u32_e32 v3, v3, v13
	s_wait_alu 0xfffd
	v_add_co_ci_u32_e32 v7, vcc_lo, v7, v3, vcc_lo
	v_mov_b32_e32 v3, v11
	global_store_b64 v[6:7], v[10:11], off
	global_wb scope:SCOPE_SYS
	s_wait_storecnt 0x0
	global_atomic_cmpswap_b64 v[2:3], v9, v[0:3], s[22:23] offset:24 th:TH_ATOMIC_RETURN scope:SCOPE_SYS
	s_wait_loadcnt 0x0
	v_cmp_ne_u64_e32 vcc_lo, v[2:3], v[10:11]
	s_and_b32 exec_lo, exec_lo, vcc_lo
	s_cbranch_execz .LBB3_811
; %bb.809:
	s_mov_b32 s0, 0
.LBB3_810:                              ; =>This Inner Loop Header: Depth=1
	s_sleep 1
	global_store_b64 v[6:7], v[2:3], off
	global_wb scope:SCOPE_SYS
	s_wait_storecnt 0x0
	global_atomic_cmpswap_b64 v[10:11], v9, v[0:3], s[22:23] offset:24 th:TH_ATOMIC_RETURN scope:SCOPE_SYS
	s_wait_loadcnt 0x0
	v_cmp_eq_u64_e32 vcc_lo, v[10:11], v[2:3]
	v_dual_mov_b32 v2, v10 :: v_dual_mov_b32 v3, v11
	s_wait_alu 0xfffe
	s_or_b32 s0, vcc_lo, s0
	s_wait_alu 0xfffe
	s_and_not1_b32 exec_lo, exec_lo, s0
	s_cbranch_execnz .LBB3_810
.LBB3_811:
	s_wait_alu 0xfffe
	s_or_b32 exec_lo, exec_lo, s3
	v_readfirstlane_b32 s0, v50
	v_mov_b32_e32 v6, 0
	v_mov_b32_e32 v7, 0
	s_wait_alu 0xf1ff
	s_delay_alu instid0(VALU_DEP_3) | instskip(NEXT) | instid1(VALU_DEP_1)
	v_cmp_eq_u32_e64 s0, s0, v50
	s_and_saveexec_b32 s1, s0
	s_cbranch_execz .LBB3_817
; %bb.812:
	v_mov_b32_e32 v0, 0
	s_mov_b32 s2, exec_lo
	global_load_b64 v[11:12], v0, s[22:23] offset:24 scope:SCOPE_SYS
	s_wait_loadcnt 0x0
	global_inv scope:SCOPE_SYS
	s_clause 0x1
	global_load_b64 v[1:2], v0, s[22:23] offset:40
	global_load_b64 v[6:7], v0, s[22:23]
	s_wait_loadcnt 0x1
	v_and_b32_e32 v1, v1, v11
	v_and_b32_e32 v2, v2, v12
	s_delay_alu instid0(VALU_DEP_2) | instskip(NEXT) | instid1(VALU_DEP_2)
	v_mul_lo_u32 v3, 0, v1
	v_mul_lo_u32 v2, 24, v2
	v_mul_hi_u32 v9, 24, v1
	v_mul_lo_u32 v1, 24, v1
	s_delay_alu instid0(VALU_DEP_3) | instskip(SKIP_1) | instid1(VALU_DEP_2)
	v_add_nc_u32_e32 v2, v2, v3
	s_wait_loadcnt 0x0
	v_add_co_u32 v1, vcc_lo, v6, v1
	s_delay_alu instid0(VALU_DEP_2) | instskip(SKIP_1) | instid1(VALU_DEP_1)
	v_add_nc_u32_e32 v2, v2, v9
	s_wait_alu 0xfffd
	v_add_co_ci_u32_e32 v2, vcc_lo, v7, v2, vcc_lo
	global_load_b64 v[9:10], v[1:2], off scope:SCOPE_SYS
	s_wait_loadcnt 0x0
	global_atomic_cmpswap_b64 v[6:7], v0, v[9:12], s[22:23] offset:24 th:TH_ATOMIC_RETURN scope:SCOPE_SYS
	s_wait_loadcnt 0x0
	global_inv scope:SCOPE_SYS
	v_cmpx_ne_u64_e64 v[6:7], v[11:12]
	s_cbranch_execz .LBB3_816
; %bb.813:
	s_mov_b32 s3, 0
.LBB3_814:                              ; =>This Inner Loop Header: Depth=1
	s_sleep 1
	s_clause 0x1
	global_load_b64 v[1:2], v0, s[22:23] offset:40
	global_load_b64 v[9:10], v0, s[22:23]
	v_dual_mov_b32 v12, v7 :: v_dual_mov_b32 v11, v6
	s_wait_loadcnt 0x1
	s_delay_alu instid0(VALU_DEP_1) | instskip(SKIP_1) | instid1(VALU_DEP_1)
	v_and_b32_e32 v1, v1, v11
	s_wait_loadcnt 0x0
	v_mad_co_u64_u32 v[6:7], null, v1, 24, v[9:10]
	s_delay_alu instid0(VALU_DEP_1) | instskip(NEXT) | instid1(VALU_DEP_1)
	v_dual_mov_b32 v1, v7 :: v_dual_and_b32 v2, v2, v12
	v_mad_co_u64_u32 v[1:2], null, v2, 24, v[1:2]
	s_delay_alu instid0(VALU_DEP_1)
	v_mov_b32_e32 v7, v1
	global_load_b64 v[9:10], v[6:7], off scope:SCOPE_SYS
	s_wait_loadcnt 0x0
	global_atomic_cmpswap_b64 v[6:7], v0, v[9:12], s[22:23] offset:24 th:TH_ATOMIC_RETURN scope:SCOPE_SYS
	s_wait_loadcnt 0x0
	global_inv scope:SCOPE_SYS
	v_cmp_eq_u64_e32 vcc_lo, v[6:7], v[11:12]
	s_wait_alu 0xfffe
	s_or_b32 s3, vcc_lo, s3
	s_wait_alu 0xfffe
	s_and_not1_b32 exec_lo, exec_lo, s3
	s_cbranch_execnz .LBB3_814
; %bb.815:
	s_or_b32 exec_lo, exec_lo, s3
.LBB3_816:
	s_wait_alu 0xfffe
	s_or_b32 exec_lo, exec_lo, s2
.LBB3_817:
	s_wait_alu 0xfffe
	s_or_b32 exec_lo, exec_lo, s1
	v_readfirstlane_b32 s2, v6
	v_mov_b32_e32 v10, 0
	v_readfirstlane_b32 s1, v7
	s_mov_b32 s3, exec_lo
	s_clause 0x1
	global_load_b64 v[11:12], v10, s[22:23] offset:40
	global_load_b128 v[0:3], v10, s[22:23]
	s_wait_loadcnt 0x1
	s_wait_alu 0xf1ff
	v_and_b32_e32 v13, s2, v11
	v_and_b32_e32 v14, s1, v12
	s_delay_alu instid0(VALU_DEP_2) | instskip(NEXT) | instid1(VALU_DEP_2)
	v_mul_lo_u32 v7, 0, v13
	v_mul_lo_u32 v6, 24, v14
	v_mul_hi_u32 v9, 24, v13
	v_mul_lo_u32 v11, 24, v13
	s_delay_alu instid0(VALU_DEP_3) | instskip(NEXT) | instid1(VALU_DEP_1)
	v_add_nc_u32_e32 v6, v6, v7
	v_add_nc_u32_e32 v7, v6, v9
	s_wait_loadcnt 0x0
	s_delay_alu instid0(VALU_DEP_3) | instskip(SKIP_1) | instid1(VALU_DEP_2)
	v_add_co_u32 v6, vcc_lo, v0, v11
	s_wait_alu 0xfffd
	v_add_co_ci_u32_e32 v7, vcc_lo, v1, v7, vcc_lo
	s_and_saveexec_b32 s4, s0
	s_cbranch_execz .LBB3_819
; %bb.818:
	s_wait_alu 0xfffe
	v_dual_mov_b32 v9, s3 :: v_dual_mov_b32 v12, 1
	v_mov_b32_e32 v11, 2
	global_store_b128 v[6:7], v[9:12], off offset:8
.LBB3_819:
	s_wait_alu 0xfffe
	s_or_b32 exec_lo, exec_lo, s4
	v_lshlrev_b64_e32 v[13:14], 12, v[13:14]
	s_mov_b32 s4, 0
	v_dual_mov_b32 v9, 33 :: v_dual_mov_b32 v12, v10
	s_wait_alu 0xfffe
	s_mov_b32 s7, s4
	s_mov_b32 s5, s4
	v_add_co_u32 v2, vcc_lo, v2, v13
	s_wait_alu 0xfffd
	v_add_co_ci_u32_e32 v3, vcc_lo, v3, v14, vcc_lo
	s_mov_b32 s6, s4
	s_delay_alu instid0(VALU_DEP_2)
	v_add_co_u32 v13, vcc_lo, v2, v39
	s_wait_alu 0xfffe
	v_dual_mov_b32 v11, v10 :: v_dual_mov_b32 v18, s7
	v_readfirstlane_b32 s10, v2
	v_readfirstlane_b32 s11, v3
	s_wait_alu 0xfffd
	v_add_co_ci_u32_e32 v14, vcc_lo, 0, v3, vcc_lo
	v_dual_mov_b32 v17, s6 :: v_dual_mov_b32 v16, s5
	v_mov_b32_e32 v15, s4
	s_clause 0x3
	global_store_b128 v39, v[9:12], s[10:11]
	global_store_b128 v39, v[15:18], s[10:11] offset:16
	global_store_b128 v39, v[15:18], s[10:11] offset:32
	;; [unrolled: 1-line block ×3, first 2 shown]
	s_and_saveexec_b32 s3, s0
	s_cbranch_execz .LBB3_827
; %bb.820:
	v_mov_b32_e32 v11, 0
	v_mov_b32_e32 v15, s2
	s_mov_b32 s4, exec_lo
	s_clause 0x1
	global_load_b64 v[17:18], v11, s[22:23] offset:32 scope:SCOPE_SYS
	global_load_b64 v[2:3], v11, s[22:23] offset:40
	v_mov_b32_e32 v16, s1
	s_wait_loadcnt 0x0
	v_and_b32_e32 v2, s2, v2
	v_and_b32_e32 v3, s1, v3
	s_delay_alu instid0(VALU_DEP_2) | instskip(NEXT) | instid1(VALU_DEP_2)
	v_mul_lo_u32 v9, 0, v2
	v_mul_lo_u32 v3, 24, v3
	v_mul_hi_u32 v10, 24, v2
	v_mul_lo_u32 v2, 24, v2
	s_delay_alu instid0(VALU_DEP_3) | instskip(NEXT) | instid1(VALU_DEP_2)
	v_add_nc_u32_e32 v3, v3, v9
	v_add_co_u32 v9, vcc_lo, v0, v2
	s_delay_alu instid0(VALU_DEP_2) | instskip(SKIP_1) | instid1(VALU_DEP_1)
	v_add_nc_u32_e32 v3, v3, v10
	s_wait_alu 0xfffd
	v_add_co_ci_u32_e32 v10, vcc_lo, v1, v3, vcc_lo
	global_store_b64 v[9:10], v[17:18], off
	global_wb scope:SCOPE_SYS
	s_wait_storecnt 0x0
	global_atomic_cmpswap_b64 v[2:3], v11, v[15:18], s[22:23] offset:32 th:TH_ATOMIC_RETURN scope:SCOPE_SYS
	s_wait_loadcnt 0x0
	v_cmpx_ne_u64_e64 v[2:3], v[17:18]
	s_cbranch_execz .LBB3_823
; %bb.821:
	s_mov_b32 s5, 0
.LBB3_822:                              ; =>This Inner Loop Header: Depth=1
	v_dual_mov_b32 v0, s2 :: v_dual_mov_b32 v1, s1
	s_sleep 1
	global_store_b64 v[9:10], v[2:3], off
	global_wb scope:SCOPE_SYS
	s_wait_storecnt 0x0
	global_atomic_cmpswap_b64 v[0:1], v11, v[0:3], s[22:23] offset:32 th:TH_ATOMIC_RETURN scope:SCOPE_SYS
	s_wait_loadcnt 0x0
	v_cmp_eq_u64_e32 vcc_lo, v[0:1], v[2:3]
	v_dual_mov_b32 v3, v1 :: v_dual_mov_b32 v2, v0
	s_wait_alu 0xfffe
	s_or_b32 s5, vcc_lo, s5
	s_wait_alu 0xfffe
	s_and_not1_b32 exec_lo, exec_lo, s5
	s_cbranch_execnz .LBB3_822
.LBB3_823:
	s_wait_alu 0xfffe
	s_or_b32 exec_lo, exec_lo, s4
	v_mov_b32_e32 v3, 0
	s_mov_b32 s5, exec_lo
	s_mov_b32 s4, exec_lo
	s_wait_alu 0xfffe
	v_mbcnt_lo_u32_b32 v2, s5, 0
	global_load_b64 v[0:1], v3, s[22:23] offset:16
	v_cmpx_eq_u32_e32 0, v2
	s_cbranch_execz .LBB3_825
; %bb.824:
	s_bcnt1_i32_b32 s5, s5
	s_wait_alu 0xfffe
	v_mov_b32_e32 v2, s5
	global_wb scope:SCOPE_SYS
	s_wait_loadcnt 0x0
	global_atomic_add_u64 v[0:1], v[2:3], off offset:8 scope:SCOPE_SYS
.LBB3_825:
	s_or_b32 exec_lo, exec_lo, s4
	s_wait_loadcnt 0x0
	global_load_b64 v[2:3], v[0:1], off offset:16
	s_wait_loadcnt 0x0
	v_cmp_eq_u64_e32 vcc_lo, 0, v[2:3]
	s_cbranch_vccnz .LBB3_827
; %bb.826:
	global_load_b32 v0, v[0:1], off offset:24
	v_mov_b32_e32 v1, 0
	s_wait_loadcnt 0x0
	v_and_b32_e32 v9, 0xffffff, v0
	global_wb scope:SCOPE_SYS
	s_wait_storecnt 0x0
	global_store_b64 v[2:3], v[0:1], off scope:SCOPE_SYS
	v_readfirstlane_b32 m0, v9
	s_sendmsg sendmsg(MSG_INTERRUPT)
.LBB3_827:
	s_wait_alu 0xfffe
	s_or_b32 exec_lo, exec_lo, s3
	s_branch .LBB3_831
.LBB3_828:                              ;   in Loop: Header=BB3_831 Depth=1
	s_wait_alu 0xfffe
	s_or_b32 exec_lo, exec_lo, s3
	s_delay_alu instid0(VALU_DEP_1) | instskip(NEXT) | instid1(VALU_DEP_1)
	v_readfirstlane_b32 s3, v0
	s_cmp_eq_u32 s3, 0
	s_cbranch_scc1 .LBB3_830
; %bb.829:                              ;   in Loop: Header=BB3_831 Depth=1
	s_sleep 1
	s_cbranch_execnz .LBB3_831
	s_branch .LBB3_833
.LBB3_830:
	s_branch .LBB3_833
.LBB3_831:                              ; =>This Inner Loop Header: Depth=1
	v_mov_b32_e32 v0, 1
	s_and_saveexec_b32 s3, s0
	s_cbranch_execz .LBB3_828
; %bb.832:                              ;   in Loop: Header=BB3_831 Depth=1
	global_load_b32 v0, v[6:7], off offset:20 scope:SCOPE_SYS
	s_wait_loadcnt 0x0
	global_inv scope:SCOPE_SYS
	v_and_b32_e32 v0, 1, v0
	s_branch .LBB3_828
.LBB3_833:
	global_load_b64 v[0:1], v[13:14], off
	s_and_saveexec_b32 s3, s0
	s_cbranch_execz .LBB3_837
; %bb.834:
	v_mov_b32_e32 v6, 0
	s_clause 0x2
	global_load_b64 v[2:3], v6, s[22:23] offset:40
	global_load_b64 v[13:14], v6, s[22:23] offset:24 scope:SCOPE_SYS
	global_load_b64 v[11:12], v6, s[22:23]
	s_wait_loadcnt 0x2
	v_add_co_u32 v7, vcc_lo, v2, 1
	s_wait_alu 0xfffd
	v_add_co_ci_u32_e32 v15, vcc_lo, 0, v3, vcc_lo
	s_delay_alu instid0(VALU_DEP_2) | instskip(SKIP_1) | instid1(VALU_DEP_2)
	v_add_co_u32 v9, vcc_lo, v7, s2
	s_wait_alu 0xfffd
	v_add_co_ci_u32_e32 v10, vcc_lo, s1, v15, vcc_lo
	s_delay_alu instid0(VALU_DEP_1) | instskip(SKIP_3) | instid1(VALU_DEP_2)
	v_cmp_eq_u64_e32 vcc_lo, 0, v[9:10]
	s_wait_alu 0xfffd
	v_cndmask_b32_e32 v9, v9, v7, vcc_lo
	v_cndmask_b32_e32 v10, v10, v15, vcc_lo
	v_and_b32_e32 v2, v9, v2
	s_delay_alu instid0(VALU_DEP_1) | instskip(SKIP_3) | instid1(VALU_DEP_1)
	v_mul_lo_u32 v7, 0, v2
	v_mul_hi_u32 v15, 24, v2
	v_mul_lo_u32 v2, 24, v2
	s_wait_loadcnt 0x0
	v_add_co_u32 v2, vcc_lo, v11, v2
	v_mov_b32_e32 v11, v13
	v_and_b32_e32 v3, v10, v3
	s_delay_alu instid0(VALU_DEP_1) | instskip(NEXT) | instid1(VALU_DEP_1)
	v_mul_lo_u32 v3, 24, v3
	v_add_nc_u32_e32 v3, v3, v7
	s_delay_alu instid0(VALU_DEP_1) | instskip(SKIP_1) | instid1(VALU_DEP_1)
	v_add_nc_u32_e32 v3, v3, v15
	s_wait_alu 0xfffd
	v_add_co_ci_u32_e32 v3, vcc_lo, v12, v3, vcc_lo
	v_mov_b32_e32 v12, v14
	global_store_b64 v[2:3], v[13:14], off
	global_wb scope:SCOPE_SYS
	s_wait_storecnt 0x0
	global_atomic_cmpswap_b64 v[11:12], v6, v[9:12], s[22:23] offset:24 th:TH_ATOMIC_RETURN scope:SCOPE_SYS
	s_wait_loadcnt 0x0
	v_cmp_ne_u64_e32 vcc_lo, v[11:12], v[13:14]
	s_and_b32 exec_lo, exec_lo, vcc_lo
	s_cbranch_execz .LBB3_837
; %bb.835:
	s_mov_b32 s0, 0
.LBB3_836:                              ; =>This Inner Loop Header: Depth=1
	s_sleep 1
	global_store_b64 v[2:3], v[11:12], off
	global_wb scope:SCOPE_SYS
	s_wait_storecnt 0x0
	global_atomic_cmpswap_b64 v[13:14], v6, v[9:12], s[22:23] offset:24 th:TH_ATOMIC_RETURN scope:SCOPE_SYS
	s_wait_loadcnt 0x0
	v_cmp_eq_u64_e32 vcc_lo, v[13:14], v[11:12]
	v_dual_mov_b32 v11, v13 :: v_dual_mov_b32 v12, v14
	s_wait_alu 0xfffe
	s_or_b32 s0, vcc_lo, s0
	s_wait_alu 0xfffe
	s_and_not1_b32 exec_lo, exec_lo, s0
	s_cbranch_execnz .LBB3_836
.LBB3_837:
	s_wait_alu 0xfffe
	s_or_b32 exec_lo, exec_lo, s3
	s_getpc_b64 s[2:3]
	s_wait_alu 0xfffe
	s_sext_i32_i16 s3, s3
	s_add_co_u32 s2, s2, .str.9@rel32@lo+12
	s_wait_alu 0xfffe
	s_add_co_ci_u32 s3, s3, .str.9@rel32@hi+24
	s_wait_alu 0xfffe
	s_cmp_lg_u64 s[2:3], 0
	s_cbranch_scc0 .LBB3_916
; %bb.838:
	s_wait_loadcnt 0x0
	v_dual_mov_b32 v13, 0 :: v_dual_and_b32 v36, 2, v0
	v_dual_mov_b32 v10, v1 :: v_dual_and_b32 v9, -3, v0
	v_dual_mov_b32 v14, 2 :: v_dual_mov_b32 v15, 1
	s_mov_b64 s[4:5], 4
	s_branch .LBB3_840
.LBB3_839:                              ;   in Loop: Header=BB3_840 Depth=1
	s_wait_alu 0xfffe
	s_or_b32 exec_lo, exec_lo, s11
	s_sub_nc_u64 s[4:5], s[4:5], s[6:7]
	s_add_nc_u64 s[2:3], s[2:3], s[6:7]
	s_wait_alu 0xfffe
	s_cmp_lg_u64 s[4:5], 0
	s_cbranch_scc0 .LBB3_915
.LBB3_840:                              ; =>This Loop Header: Depth=1
                                        ;     Child Loop BB3_849 Depth 2
                                        ;     Child Loop BB3_845 Depth 2
                                        ;     Child Loop BB3_857 Depth 2
                                        ;     Child Loop BB3_864 Depth 2
                                        ;     Child Loop BB3_871 Depth 2
                                        ;     Child Loop BB3_878 Depth 2
                                        ;     Child Loop BB3_885 Depth 2
                                        ;     Child Loop BB3_892 Depth 2
                                        ;     Child Loop BB3_900 Depth 2
                                        ;     Child Loop BB3_909 Depth 2
                                        ;     Child Loop BB3_914 Depth 2
	s_wait_alu 0xfffe
	v_cmp_lt_u64_e64 s0, s[4:5], 56
	v_cmp_gt_u64_e64 s1, s[4:5], 7
                                        ; implicit-def: $vgpr18_vgpr19
                                        ; implicit-def: $sgpr18
	s_delay_alu instid0(VALU_DEP_2) | instskip(SKIP_2) | instid1(VALU_DEP_1)
	s_and_b32 s0, s0, exec_lo
	s_cselect_b32 s7, s5, 0
	s_cselect_b32 s6, s4, 56
	s_and_b32 vcc_lo, exec_lo, s1
	s_mov_b32 s0, -1
	s_wait_alu 0xfffe
	s_cbranch_vccz .LBB3_847
; %bb.841:                              ;   in Loop: Header=BB3_840 Depth=1
	s_and_not1_b32 vcc_lo, exec_lo, s0
	s_mov_b64 s[0:1], s[2:3]
	s_wait_alu 0xfffe
	s_cbranch_vccz .LBB3_851
.LBB3_842:                              ;   in Loop: Header=BB3_840 Depth=1
	s_wait_alu 0xfffe
	s_cmp_gt_u32 s18, 7
	s_cbranch_scc1 .LBB3_852
.LBB3_843:                              ;   in Loop: Header=BB3_840 Depth=1
	v_mov_b32_e32 v20, 0
	v_mov_b32_e32 v21, 0
	s_cmp_eq_u32 s18, 0
	s_cbranch_scc1 .LBB3_846
; %bb.844:                              ;   in Loop: Header=BB3_840 Depth=1
	s_mov_b64 s[10:11], 0
	s_mov_b64 s[16:17], 0
.LBB3_845:                              ;   Parent Loop BB3_840 Depth=1
                                        ; =>  This Inner Loop Header: Depth=2
	s_wait_alu 0xfffe
	s_add_nc_u64 s[20:21], s[0:1], s[16:17]
	s_add_nc_u64 s[16:17], s[16:17], 1
	global_load_u8 v2, v13, s[20:21]
	s_wait_alu 0xfffe
	s_cmp_lg_u32 s18, s16
	s_wait_loadcnt 0x0
	v_and_b32_e32 v12, 0xffff, v2
	s_delay_alu instid0(VALU_DEP_1) | instskip(SKIP_1) | instid1(VALU_DEP_1)
	v_lshlrev_b64_e32 v[2:3], s10, v[12:13]
	s_add_nc_u64 s[10:11], s[10:11], 8
	v_or_b32_e32 v20, v2, v20
	s_delay_alu instid0(VALU_DEP_2)
	v_or_b32_e32 v21, v3, v21
	s_cbranch_scc1 .LBB3_845
.LBB3_846:                              ;   in Loop: Header=BB3_840 Depth=1
	s_mov_b32 s19, 0
	s_cbranch_execz .LBB3_853
	s_branch .LBB3_854
.LBB3_847:                              ;   in Loop: Header=BB3_840 Depth=1
	v_mov_b32_e32 v18, 0
	v_mov_b32_e32 v19, 0
	s_cmp_eq_u64 s[4:5], 0
	s_mov_b64 s[0:1], 0
	s_cbranch_scc1 .LBB3_850
; %bb.848:                              ;   in Loop: Header=BB3_840 Depth=1
	v_mov_b32_e32 v18, 0
	v_mov_b32_e32 v19, 0
	s_mov_b64 s[10:11], 0
.LBB3_849:                              ;   Parent Loop BB3_840 Depth=1
                                        ; =>  This Inner Loop Header: Depth=2
	s_wait_alu 0xfffe
	s_add_nc_u64 s[16:17], s[2:3], s[10:11]
	s_add_nc_u64 s[10:11], s[10:11], 1
	global_load_u8 v2, v13, s[16:17]
	s_wait_alu 0xfffe
	s_cmp_lg_u32 s6, s10
	s_wait_loadcnt 0x0
	v_and_b32_e32 v12, 0xffff, v2
	s_delay_alu instid0(VALU_DEP_1) | instskip(SKIP_1) | instid1(VALU_DEP_1)
	v_lshlrev_b64_e32 v[2:3], s0, v[12:13]
	s_add_nc_u64 s[0:1], s[0:1], 8
	v_or_b32_e32 v18, v2, v18
	s_delay_alu instid0(VALU_DEP_2)
	v_or_b32_e32 v19, v3, v19
	s_cbranch_scc1 .LBB3_849
.LBB3_850:                              ;   in Loop: Header=BB3_840 Depth=1
	s_mov_b32 s18, 0
	s_mov_b64 s[0:1], s[2:3]
	s_cbranch_execnz .LBB3_842
.LBB3_851:                              ;   in Loop: Header=BB3_840 Depth=1
	global_load_b64 v[18:19], v13, s[2:3]
	s_add_co_i32 s18, s6, -8
	s_add_nc_u64 s[0:1], s[2:3], 8
	s_wait_alu 0xfffe
	s_cmp_gt_u32 s18, 7
	s_cbranch_scc0 .LBB3_843
.LBB3_852:                              ;   in Loop: Header=BB3_840 Depth=1
                                        ; implicit-def: $vgpr20_vgpr21
                                        ; implicit-def: $sgpr19
.LBB3_853:                              ;   in Loop: Header=BB3_840 Depth=1
	global_load_b64 v[20:21], v13, s[0:1]
	s_add_co_i32 s19, s18, -8
	s_add_nc_u64 s[0:1], s[0:1], 8
.LBB3_854:                              ;   in Loop: Header=BB3_840 Depth=1
	s_wait_alu 0xfffe
	s_cmp_gt_u32 s19, 7
	s_cbranch_scc1 .LBB3_859
; %bb.855:                              ;   in Loop: Header=BB3_840 Depth=1
	v_mov_b32_e32 v22, 0
	v_mov_b32_e32 v23, 0
	s_cmp_eq_u32 s19, 0
	s_cbranch_scc1 .LBB3_858
; %bb.856:                              ;   in Loop: Header=BB3_840 Depth=1
	s_mov_b64 s[10:11], 0
	s_mov_b64 s[16:17], 0
.LBB3_857:                              ;   Parent Loop BB3_840 Depth=1
                                        ; =>  This Inner Loop Header: Depth=2
	s_wait_alu 0xfffe
	s_add_nc_u64 s[20:21], s[0:1], s[16:17]
	s_add_nc_u64 s[16:17], s[16:17], 1
	global_load_u8 v2, v13, s[20:21]
	s_wait_alu 0xfffe
	s_cmp_lg_u32 s19, s16
	s_wait_loadcnt 0x0
	v_and_b32_e32 v12, 0xffff, v2
	s_delay_alu instid0(VALU_DEP_1) | instskip(SKIP_1) | instid1(VALU_DEP_1)
	v_lshlrev_b64_e32 v[2:3], s10, v[12:13]
	s_add_nc_u64 s[10:11], s[10:11], 8
	v_or_b32_e32 v22, v2, v22
	s_delay_alu instid0(VALU_DEP_2)
	v_or_b32_e32 v23, v3, v23
	s_cbranch_scc1 .LBB3_857
.LBB3_858:                              ;   in Loop: Header=BB3_840 Depth=1
	s_mov_b32 s18, 0
	s_cbranch_execz .LBB3_860
	s_branch .LBB3_861
.LBB3_859:                              ;   in Loop: Header=BB3_840 Depth=1
                                        ; implicit-def: $sgpr18
.LBB3_860:                              ;   in Loop: Header=BB3_840 Depth=1
	global_load_b64 v[22:23], v13, s[0:1]
	s_add_co_i32 s18, s19, -8
	s_add_nc_u64 s[0:1], s[0:1], 8
.LBB3_861:                              ;   in Loop: Header=BB3_840 Depth=1
	s_wait_alu 0xfffe
	s_cmp_gt_u32 s18, 7
	s_cbranch_scc1 .LBB3_866
; %bb.862:                              ;   in Loop: Header=BB3_840 Depth=1
	v_mov_b32_e32 v24, 0
	v_mov_b32_e32 v25, 0
	s_cmp_eq_u32 s18, 0
	s_cbranch_scc1 .LBB3_865
; %bb.863:                              ;   in Loop: Header=BB3_840 Depth=1
	s_mov_b64 s[10:11], 0
	s_mov_b64 s[16:17], 0
.LBB3_864:                              ;   Parent Loop BB3_840 Depth=1
                                        ; =>  This Inner Loop Header: Depth=2
	s_wait_alu 0xfffe
	s_add_nc_u64 s[20:21], s[0:1], s[16:17]
	s_add_nc_u64 s[16:17], s[16:17], 1
	global_load_u8 v2, v13, s[20:21]
	s_wait_alu 0xfffe
	s_cmp_lg_u32 s18, s16
	s_wait_loadcnt 0x0
	v_and_b32_e32 v12, 0xffff, v2
	s_delay_alu instid0(VALU_DEP_1) | instskip(SKIP_1) | instid1(VALU_DEP_1)
	v_lshlrev_b64_e32 v[2:3], s10, v[12:13]
	s_add_nc_u64 s[10:11], s[10:11], 8
	v_or_b32_e32 v24, v2, v24
	s_delay_alu instid0(VALU_DEP_2)
	v_or_b32_e32 v25, v3, v25
	s_cbranch_scc1 .LBB3_864
.LBB3_865:                              ;   in Loop: Header=BB3_840 Depth=1
	s_mov_b32 s19, 0
	s_cbranch_execz .LBB3_867
	s_branch .LBB3_868
.LBB3_866:                              ;   in Loop: Header=BB3_840 Depth=1
                                        ; implicit-def: $vgpr24_vgpr25
                                        ; implicit-def: $sgpr19
.LBB3_867:                              ;   in Loop: Header=BB3_840 Depth=1
	global_load_b64 v[24:25], v13, s[0:1]
	s_add_co_i32 s19, s18, -8
	s_add_nc_u64 s[0:1], s[0:1], 8
.LBB3_868:                              ;   in Loop: Header=BB3_840 Depth=1
	s_wait_alu 0xfffe
	s_cmp_gt_u32 s19, 7
	s_cbranch_scc1 .LBB3_873
; %bb.869:                              ;   in Loop: Header=BB3_840 Depth=1
	v_mov_b32_e32 v26, 0
	v_mov_b32_e32 v27, 0
	s_cmp_eq_u32 s19, 0
	s_cbranch_scc1 .LBB3_872
; %bb.870:                              ;   in Loop: Header=BB3_840 Depth=1
	s_mov_b64 s[10:11], 0
	s_mov_b64 s[16:17], 0
.LBB3_871:                              ;   Parent Loop BB3_840 Depth=1
                                        ; =>  This Inner Loop Header: Depth=2
	s_wait_alu 0xfffe
	s_add_nc_u64 s[20:21], s[0:1], s[16:17]
	s_add_nc_u64 s[16:17], s[16:17], 1
	global_load_u8 v2, v13, s[20:21]
	s_wait_alu 0xfffe
	s_cmp_lg_u32 s19, s16
	s_wait_loadcnt 0x0
	v_and_b32_e32 v12, 0xffff, v2
	s_delay_alu instid0(VALU_DEP_1) | instskip(SKIP_1) | instid1(VALU_DEP_1)
	v_lshlrev_b64_e32 v[2:3], s10, v[12:13]
	s_add_nc_u64 s[10:11], s[10:11], 8
	v_or_b32_e32 v26, v2, v26
	s_delay_alu instid0(VALU_DEP_2)
	v_or_b32_e32 v27, v3, v27
	s_cbranch_scc1 .LBB3_871
.LBB3_872:                              ;   in Loop: Header=BB3_840 Depth=1
	s_mov_b32 s18, 0
	s_cbranch_execz .LBB3_874
	s_branch .LBB3_875
.LBB3_873:                              ;   in Loop: Header=BB3_840 Depth=1
                                        ; implicit-def: $sgpr18
.LBB3_874:                              ;   in Loop: Header=BB3_840 Depth=1
	global_load_b64 v[26:27], v13, s[0:1]
	s_add_co_i32 s18, s19, -8
	s_add_nc_u64 s[0:1], s[0:1], 8
.LBB3_875:                              ;   in Loop: Header=BB3_840 Depth=1
	s_wait_alu 0xfffe
	s_cmp_gt_u32 s18, 7
	s_cbranch_scc1 .LBB3_880
; %bb.876:                              ;   in Loop: Header=BB3_840 Depth=1
	v_mov_b32_e32 v28, 0
	v_mov_b32_e32 v29, 0
	s_cmp_eq_u32 s18, 0
	s_cbranch_scc1 .LBB3_879
; %bb.877:                              ;   in Loop: Header=BB3_840 Depth=1
	s_mov_b64 s[10:11], 0
	s_mov_b64 s[16:17], 0
.LBB3_878:                              ;   Parent Loop BB3_840 Depth=1
                                        ; =>  This Inner Loop Header: Depth=2
	s_wait_alu 0xfffe
	s_add_nc_u64 s[20:21], s[0:1], s[16:17]
	s_add_nc_u64 s[16:17], s[16:17], 1
	global_load_u8 v2, v13, s[20:21]
	s_wait_alu 0xfffe
	s_cmp_lg_u32 s18, s16
	s_wait_loadcnt 0x0
	v_and_b32_e32 v12, 0xffff, v2
	s_delay_alu instid0(VALU_DEP_1) | instskip(SKIP_1) | instid1(VALU_DEP_1)
	v_lshlrev_b64_e32 v[2:3], s10, v[12:13]
	s_add_nc_u64 s[10:11], s[10:11], 8
	v_or_b32_e32 v28, v2, v28
	s_delay_alu instid0(VALU_DEP_2)
	v_or_b32_e32 v29, v3, v29
	s_cbranch_scc1 .LBB3_878
.LBB3_879:                              ;   in Loop: Header=BB3_840 Depth=1
	s_mov_b32 s19, 0
	s_cbranch_execz .LBB3_881
	s_branch .LBB3_882
.LBB3_880:                              ;   in Loop: Header=BB3_840 Depth=1
                                        ; implicit-def: $vgpr28_vgpr29
                                        ; implicit-def: $sgpr19
.LBB3_881:                              ;   in Loop: Header=BB3_840 Depth=1
	global_load_b64 v[28:29], v13, s[0:1]
	s_add_co_i32 s19, s18, -8
	s_add_nc_u64 s[0:1], s[0:1], 8
.LBB3_882:                              ;   in Loop: Header=BB3_840 Depth=1
	s_wait_alu 0xfffe
	s_cmp_gt_u32 s19, 7
	s_cbranch_scc1 .LBB3_887
; %bb.883:                              ;   in Loop: Header=BB3_840 Depth=1
	v_mov_b32_e32 v30, 0
	v_mov_b32_e32 v31, 0
	s_cmp_eq_u32 s19, 0
	s_cbranch_scc1 .LBB3_886
; %bb.884:                              ;   in Loop: Header=BB3_840 Depth=1
	s_mov_b64 s[10:11], 0
	s_mov_b64 s[16:17], s[0:1]
.LBB3_885:                              ;   Parent Loop BB3_840 Depth=1
                                        ; =>  This Inner Loop Header: Depth=2
	global_load_u8 v2, v13, s[16:17]
	s_add_co_i32 s19, s19, -1
	s_wait_alu 0xfffe
	s_add_nc_u64 s[16:17], s[16:17], 1
	s_cmp_lg_u32 s19, 0
	s_wait_loadcnt 0x0
	v_and_b32_e32 v12, 0xffff, v2
	s_delay_alu instid0(VALU_DEP_1) | instskip(SKIP_1) | instid1(VALU_DEP_1)
	v_lshlrev_b64_e32 v[2:3], s10, v[12:13]
	s_add_nc_u64 s[10:11], s[10:11], 8
	v_or_b32_e32 v30, v2, v30
	s_delay_alu instid0(VALU_DEP_2)
	v_or_b32_e32 v31, v3, v31
	s_cbranch_scc1 .LBB3_885
.LBB3_886:                              ;   in Loop: Header=BB3_840 Depth=1
	s_cbranch_execz .LBB3_888
	s_branch .LBB3_889
.LBB3_887:                              ;   in Loop: Header=BB3_840 Depth=1
.LBB3_888:                              ;   in Loop: Header=BB3_840 Depth=1
	global_load_b64 v[30:31], v13, s[0:1]
.LBB3_889:                              ;   in Loop: Header=BB3_840 Depth=1
	v_readfirstlane_b32 s0, v50
	v_mov_b32_e32 v2, 0
	v_mov_b32_e32 v3, 0
	s_wait_alu 0xf1ff
	s_delay_alu instid0(VALU_DEP_3) | instskip(NEXT) | instid1(VALU_DEP_1)
	v_cmp_eq_u32_e64 s0, s0, v50
	s_and_saveexec_b32 s1, s0
	s_cbranch_execz .LBB3_895
; %bb.890:                              ;   in Loop: Header=BB3_840 Depth=1
	global_load_b64 v[34:35], v13, s[22:23] offset:24 scope:SCOPE_SYS
	s_wait_loadcnt 0x0
	global_inv scope:SCOPE_SYS
	s_clause 0x1
	global_load_b64 v[2:3], v13, s[22:23] offset:40
	global_load_b64 v[6:7], v13, s[22:23]
	s_mov_b32 s10, exec_lo
	s_wait_loadcnt 0x1
	v_and_b32_e32 v3, v3, v35
	v_and_b32_e32 v2, v2, v34
	s_delay_alu instid0(VALU_DEP_2) | instskip(NEXT) | instid1(VALU_DEP_2)
	v_mul_lo_u32 v3, 24, v3
	v_mul_lo_u32 v11, 0, v2
	v_mul_hi_u32 v12, 24, v2
	v_mul_lo_u32 v2, 24, v2
	s_delay_alu instid0(VALU_DEP_3) | instskip(SKIP_1) | instid1(VALU_DEP_2)
	v_add_nc_u32_e32 v3, v3, v11
	s_wait_loadcnt 0x0
	v_add_co_u32 v2, vcc_lo, v6, v2
	s_delay_alu instid0(VALU_DEP_2) | instskip(SKIP_1) | instid1(VALU_DEP_1)
	v_add_nc_u32_e32 v3, v3, v12
	s_wait_alu 0xfffd
	v_add_co_ci_u32_e32 v3, vcc_lo, v7, v3, vcc_lo
	global_load_b64 v[32:33], v[2:3], off scope:SCOPE_SYS
	s_wait_loadcnt 0x0
	global_atomic_cmpswap_b64 v[2:3], v13, v[32:35], s[22:23] offset:24 th:TH_ATOMIC_RETURN scope:SCOPE_SYS
	s_wait_loadcnt 0x0
	global_inv scope:SCOPE_SYS
	v_cmpx_ne_u64_e64 v[2:3], v[34:35]
	s_cbranch_execz .LBB3_894
; %bb.891:                              ;   in Loop: Header=BB3_840 Depth=1
	s_mov_b32 s11, 0
.LBB3_892:                              ;   Parent Loop BB3_840 Depth=1
                                        ; =>  This Inner Loop Header: Depth=2
	s_sleep 1
	s_clause 0x1
	global_load_b64 v[6:7], v13, s[22:23] offset:40
	global_load_b64 v[11:12], v13, s[22:23]
	v_dual_mov_b32 v35, v3 :: v_dual_mov_b32 v34, v2
	s_wait_loadcnt 0x1
	s_delay_alu instid0(VALU_DEP_1) | instskip(NEXT) | instid1(VALU_DEP_2)
	v_and_b32_e32 v2, v6, v34
	v_and_b32_e32 v6, v7, v35
	s_wait_loadcnt 0x0
	s_delay_alu instid0(VALU_DEP_2) | instskip(NEXT) | instid1(VALU_DEP_1)
	v_mad_co_u64_u32 v[2:3], null, v2, 24, v[11:12]
	v_mad_co_u64_u32 v[6:7], null, v6, 24, v[3:4]
	s_delay_alu instid0(VALU_DEP_1)
	v_mov_b32_e32 v3, v6
	global_load_b64 v[32:33], v[2:3], off scope:SCOPE_SYS
	s_wait_loadcnt 0x0
	global_atomic_cmpswap_b64 v[2:3], v13, v[32:35], s[22:23] offset:24 th:TH_ATOMIC_RETURN scope:SCOPE_SYS
	s_wait_loadcnt 0x0
	global_inv scope:SCOPE_SYS
	v_cmp_eq_u64_e32 vcc_lo, v[2:3], v[34:35]
	s_wait_alu 0xfffe
	s_or_b32 s11, vcc_lo, s11
	s_wait_alu 0xfffe
	s_and_not1_b32 exec_lo, exec_lo, s11
	s_cbranch_execnz .LBB3_892
; %bb.893:                              ;   in Loop: Header=BB3_840 Depth=1
	s_or_b32 exec_lo, exec_lo, s11
.LBB3_894:                              ;   in Loop: Header=BB3_840 Depth=1
	s_wait_alu 0xfffe
	s_or_b32 exec_lo, exec_lo, s10
.LBB3_895:                              ;   in Loop: Header=BB3_840 Depth=1
	s_wait_alu 0xfffe
	s_or_b32 exec_lo, exec_lo, s1
	s_clause 0x1
	global_load_b64 v[6:7], v13, s[22:23] offset:40
	global_load_b128 v[32:35], v13, s[22:23]
	v_readfirstlane_b32 s1, v3
	v_readfirstlane_b32 s10, v2
	s_mov_b32 s11, exec_lo
	s_wait_loadcnt 0x1
	s_wait_alu 0xf1ff
	v_and_b32_e32 v7, s1, v7
	v_and_b32_e32 v6, s10, v6
	s_delay_alu instid0(VALU_DEP_2) | instskip(NEXT) | instid1(VALU_DEP_2)
	v_mul_lo_u32 v2, 24, v7
	v_mul_lo_u32 v3, 0, v6
	v_mul_hi_u32 v11, 24, v6
	v_mul_lo_u32 v12, 24, v6
	s_delay_alu instid0(VALU_DEP_3) | instskip(NEXT) | instid1(VALU_DEP_1)
	v_add_nc_u32_e32 v2, v2, v3
	v_add_nc_u32_e32 v3, v2, v11
	s_wait_loadcnt 0x0
	s_delay_alu instid0(VALU_DEP_3) | instskip(SKIP_1) | instid1(VALU_DEP_2)
	v_add_co_u32 v2, vcc_lo, v32, v12
	s_wait_alu 0xfffd
	v_add_co_ci_u32_e32 v3, vcc_lo, v33, v3, vcc_lo
	s_and_saveexec_b32 s16, s0
	s_cbranch_execz .LBB3_897
; %bb.896:                              ;   in Loop: Header=BB3_840 Depth=1
	s_wait_alu 0xfffe
	v_mov_b32_e32 v12, s11
	global_store_b128 v[2:3], v[12:15], off offset:8
.LBB3_897:                              ;   in Loop: Header=BB3_840 Depth=1
	s_wait_alu 0xfffe
	s_or_b32 exec_lo, exec_lo, s16
	v_cmp_gt_u64_e64 vcc_lo, s[4:5], 56
	v_lshlrev_b64_e32 v[6:7], 12, v[6:7]
	v_or_b32_e32 v11, 0, v10
	v_or_b32_e32 v12, v9, v36
	s_lshl_b32 s11, s6, 2
	s_wait_alu 0xfffe
	s_add_co_i32 s11, s11, 28
	s_wait_alu 0xfffd
	v_cndmask_b32_e32 v17, v11, v10, vcc_lo
	v_cndmask_b32_e32 v9, v12, v9, vcc_lo
	v_add_co_u32 v34, vcc_lo, v34, v6
	s_wait_alu 0xfffd
	v_add_co_ci_u32_e32 v35, vcc_lo, v35, v7, vcc_lo
	s_wait_alu 0xfffe
	s_and_b32 s11, s11, 0x1e0
	v_readfirstlane_b32 s16, v34
	s_wait_alu 0xfffe
	v_and_or_b32 v16, 0xffffff1f, v9, s11
	v_readfirstlane_b32 s17, v35
	s_clause 0x3
	global_store_b128 v39, v[16:19], s[16:17]
	global_store_b128 v39, v[20:23], s[16:17] offset:16
	global_store_b128 v39, v[24:27], s[16:17] offset:32
	;; [unrolled: 1-line block ×3, first 2 shown]
	s_and_saveexec_b32 s11, s0
	s_cbranch_execz .LBB3_905
; %bb.898:                              ;   in Loop: Header=BB3_840 Depth=1
	s_clause 0x1
	global_load_b64 v[18:19], v13, s[22:23] offset:32 scope:SCOPE_SYS
	global_load_b64 v[6:7], v13, s[22:23] offset:40
	s_mov_b32 s16, exec_lo
	v_dual_mov_b32 v16, s10 :: v_dual_mov_b32 v17, s1
	s_wait_loadcnt 0x0
	v_and_b32_e32 v7, s1, v7
	v_and_b32_e32 v6, s10, v6
	s_delay_alu instid0(VALU_DEP_2) | instskip(NEXT) | instid1(VALU_DEP_2)
	v_mul_lo_u32 v7, 24, v7
	v_mul_lo_u32 v9, 0, v6
	v_mul_hi_u32 v10, 24, v6
	v_mul_lo_u32 v6, 24, v6
	s_delay_alu instid0(VALU_DEP_3) | instskip(NEXT) | instid1(VALU_DEP_2)
	v_add_nc_u32_e32 v7, v7, v9
	v_add_co_u32 v6, vcc_lo, v32, v6
	s_delay_alu instid0(VALU_DEP_2) | instskip(SKIP_1) | instid1(VALU_DEP_1)
	v_add_nc_u32_e32 v7, v7, v10
	s_wait_alu 0xfffd
	v_add_co_ci_u32_e32 v7, vcc_lo, v33, v7, vcc_lo
	global_store_b64 v[6:7], v[18:19], off
	global_wb scope:SCOPE_SYS
	s_wait_storecnt 0x0
	global_atomic_cmpswap_b64 v[11:12], v13, v[16:19], s[22:23] offset:32 th:TH_ATOMIC_RETURN scope:SCOPE_SYS
	s_wait_loadcnt 0x0
	v_cmpx_ne_u64_e64 v[11:12], v[18:19]
	s_cbranch_execz .LBB3_901
; %bb.899:                              ;   in Loop: Header=BB3_840 Depth=1
	s_mov_b32 s17, 0
.LBB3_900:                              ;   Parent Loop BB3_840 Depth=1
                                        ; =>  This Inner Loop Header: Depth=2
	v_dual_mov_b32 v9, s10 :: v_dual_mov_b32 v10, s1
	s_sleep 1
	global_store_b64 v[6:7], v[11:12], off
	global_wb scope:SCOPE_SYS
	s_wait_storecnt 0x0
	global_atomic_cmpswap_b64 v[9:10], v13, v[9:12], s[22:23] offset:32 th:TH_ATOMIC_RETURN scope:SCOPE_SYS
	s_wait_loadcnt 0x0
	v_cmp_eq_u64_e32 vcc_lo, v[9:10], v[11:12]
	v_dual_mov_b32 v12, v10 :: v_dual_mov_b32 v11, v9
	s_wait_alu 0xfffe
	s_or_b32 s17, vcc_lo, s17
	s_wait_alu 0xfffe
	s_and_not1_b32 exec_lo, exec_lo, s17
	s_cbranch_execnz .LBB3_900
.LBB3_901:                              ;   in Loop: Header=BB3_840 Depth=1
	s_wait_alu 0xfffe
	s_or_b32 exec_lo, exec_lo, s16
	global_load_b64 v[6:7], v13, s[22:23] offset:16
	s_mov_b32 s17, exec_lo
	s_mov_b32 s16, exec_lo
	s_wait_alu 0xfffe
	v_mbcnt_lo_u32_b32 v9, s17, 0
	s_delay_alu instid0(VALU_DEP_1)
	v_cmpx_eq_u32_e32 0, v9
	s_cbranch_execz .LBB3_903
; %bb.902:                              ;   in Loop: Header=BB3_840 Depth=1
	s_bcnt1_i32_b32 s17, s17
	s_wait_alu 0xfffe
	v_mov_b32_e32 v12, s17
	global_wb scope:SCOPE_SYS
	s_wait_loadcnt 0x0
	global_atomic_add_u64 v[6:7], v[12:13], off offset:8 scope:SCOPE_SYS
.LBB3_903:                              ;   in Loop: Header=BB3_840 Depth=1
	s_or_b32 exec_lo, exec_lo, s16
	s_wait_loadcnt 0x0
	global_load_b64 v[9:10], v[6:7], off offset:16
	s_wait_loadcnt 0x0
	v_cmp_eq_u64_e32 vcc_lo, 0, v[9:10]
	s_cbranch_vccnz .LBB3_905
; %bb.904:                              ;   in Loop: Header=BB3_840 Depth=1
	global_load_b32 v12, v[6:7], off offset:24
	s_wait_loadcnt 0x0
	v_and_b32_e32 v6, 0xffffff, v12
	global_wb scope:SCOPE_SYS
	s_wait_storecnt 0x0
	global_store_b64 v[9:10], v[12:13], off scope:SCOPE_SYS
	v_readfirstlane_b32 m0, v6
	s_sendmsg sendmsg(MSG_INTERRUPT)
.LBB3_905:                              ;   in Loop: Header=BB3_840 Depth=1
	s_wait_alu 0xfffe
	s_or_b32 exec_lo, exec_lo, s11
	v_add_co_u32 v6, vcc_lo, v34, v39
	s_wait_alu 0xfffd
	v_add_co_ci_u32_e32 v7, vcc_lo, 0, v35, vcc_lo
	s_branch .LBB3_909
.LBB3_906:                              ;   in Loop: Header=BB3_909 Depth=2
	s_wait_alu 0xfffe
	s_or_b32 exec_lo, exec_lo, s11
	s_delay_alu instid0(VALU_DEP_1) | instskip(NEXT) | instid1(VALU_DEP_1)
	v_readfirstlane_b32 s11, v9
	s_cmp_eq_u32 s11, 0
	s_cbranch_scc1 .LBB3_908
; %bb.907:                              ;   in Loop: Header=BB3_909 Depth=2
	s_sleep 1
	s_cbranch_execnz .LBB3_909
	s_branch .LBB3_911
.LBB3_908:                              ;   in Loop: Header=BB3_840 Depth=1
	s_branch .LBB3_911
.LBB3_909:                              ;   Parent Loop BB3_840 Depth=1
                                        ; =>  This Inner Loop Header: Depth=2
	v_mov_b32_e32 v9, 1
	s_and_saveexec_b32 s11, s0
	s_cbranch_execz .LBB3_906
; %bb.910:                              ;   in Loop: Header=BB3_909 Depth=2
	global_load_b32 v9, v[2:3], off offset:20 scope:SCOPE_SYS
	s_wait_loadcnt 0x0
	global_inv scope:SCOPE_SYS
	v_and_b32_e32 v9, 1, v9
	s_branch .LBB3_906
.LBB3_911:                              ;   in Loop: Header=BB3_840 Depth=1
	global_load_b128 v[9:12], v[6:7], off
	s_and_saveexec_b32 s11, s0
	s_cbranch_execz .LBB3_839
; %bb.912:                              ;   in Loop: Header=BB3_840 Depth=1
	s_clause 0x2
	global_load_b64 v[2:3], v13, s[22:23] offset:40
	global_load_b64 v[6:7], v13, s[22:23] offset:24 scope:SCOPE_SYS
	global_load_b64 v[11:12], v13, s[22:23]
	s_wait_loadcnt 0x2
	v_add_co_u32 v18, vcc_lo, v2, 1
	s_wait_alu 0xfffd
	v_add_co_ci_u32_e32 v19, vcc_lo, 0, v3, vcc_lo
	s_delay_alu instid0(VALU_DEP_2) | instskip(SKIP_1) | instid1(VALU_DEP_2)
	v_add_co_u32 v16, vcc_lo, v18, s10
	s_wait_alu 0xfffd
	v_add_co_ci_u32_e32 v17, vcc_lo, s1, v19, vcc_lo
	s_delay_alu instid0(VALU_DEP_1) | instskip(SKIP_2) | instid1(VALU_DEP_1)
	v_cmp_eq_u64_e32 vcc_lo, 0, v[16:17]
	s_wait_alu 0xfffd
	v_dual_cndmask_b32 v17, v17, v19 :: v_dual_cndmask_b32 v16, v16, v18
	v_and_b32_e32 v3, v17, v3
	s_delay_alu instid0(VALU_DEP_2) | instskip(NEXT) | instid1(VALU_DEP_2)
	v_and_b32_e32 v2, v16, v2
	v_mul_lo_u32 v3, 24, v3
	s_delay_alu instid0(VALU_DEP_2) | instskip(SKIP_2) | instid1(VALU_DEP_2)
	v_mul_lo_u32 v18, 0, v2
	v_mul_hi_u32 v19, 24, v2
	s_wait_loadcnt 0x1
	v_dual_mov_b32 v18, v6 :: v_dual_add_nc_u32 v3, v3, v18
	s_delay_alu instid0(VALU_DEP_1) | instskip(SKIP_3) | instid1(VALU_DEP_1)
	v_add_nc_u32_e32 v3, v3, v19
	v_mov_b32_e32 v19, v7
	v_mul_lo_u32 v2, 24, v2
	s_wait_loadcnt 0x0
	v_add_co_u32 v2, vcc_lo, v11, v2
	s_wait_alu 0xfffd
	v_add_co_ci_u32_e32 v3, vcc_lo, v12, v3, vcc_lo
	global_store_b64 v[2:3], v[6:7], off
	global_wb scope:SCOPE_SYS
	s_wait_storecnt 0x0
	global_atomic_cmpswap_b64 v[18:19], v13, v[16:19], s[22:23] offset:24 th:TH_ATOMIC_RETURN scope:SCOPE_SYS
	s_wait_loadcnt 0x0
	v_cmp_ne_u64_e32 vcc_lo, v[18:19], v[6:7]
	s_and_b32 exec_lo, exec_lo, vcc_lo
	s_cbranch_execz .LBB3_839
; %bb.913:                              ;   in Loop: Header=BB3_840 Depth=1
	s_mov_b32 s0, 0
.LBB3_914:                              ;   Parent Loop BB3_840 Depth=1
                                        ; =>  This Inner Loop Header: Depth=2
	s_sleep 1
	global_store_b64 v[2:3], v[18:19], off
	global_wb scope:SCOPE_SYS
	s_wait_storecnt 0x0
	global_atomic_cmpswap_b64 v[6:7], v13, v[16:19], s[22:23] offset:24 th:TH_ATOMIC_RETURN scope:SCOPE_SYS
	s_wait_loadcnt 0x0
	v_cmp_eq_u64_e32 vcc_lo, v[6:7], v[18:19]
	v_dual_mov_b32 v19, v7 :: v_dual_mov_b32 v18, v6
	s_wait_alu 0xfffe
	s_or_b32 s0, vcc_lo, s0
	s_wait_alu 0xfffe
	s_and_not1_b32 exec_lo, exec_lo, s0
	s_cbranch_execnz .LBB3_914
	s_branch .LBB3_839
.LBB3_915:
	s_branch .LBB3_944
.LBB3_916:
                                        ; implicit-def: $vgpr9_vgpr10
	s_cbranch_execz .LBB3_944
; %bb.917:
	v_readfirstlane_b32 s0, v50
	v_mov_b32_e32 v6, 0
	v_mov_b32_e32 v7, 0
	s_wait_alu 0xf1ff
	s_delay_alu instid0(VALU_DEP_3) | instskip(NEXT) | instid1(VALU_DEP_1)
	v_cmp_eq_u32_e64 s0, s0, v50
	s_and_saveexec_b32 s1, s0
	s_cbranch_execz .LBB3_923
; %bb.918:
	v_mov_b32_e32 v2, 0
	s_mov_b32 s2, exec_lo
	global_load_b64 v[11:12], v2, s[22:23] offset:24 scope:SCOPE_SYS
	s_wait_loadcnt 0x0
	global_inv scope:SCOPE_SYS
	s_clause 0x1
	global_load_b64 v[6:7], v2, s[22:23] offset:40
	global_load_b64 v[9:10], v2, s[22:23]
	s_wait_loadcnt 0x1
	v_and_b32_e32 v3, v7, v12
	v_and_b32_e32 v6, v6, v11
	s_delay_alu instid0(VALU_DEP_2) | instskip(NEXT) | instid1(VALU_DEP_2)
	v_mul_lo_u32 v3, 24, v3
	v_mul_lo_u32 v7, 0, v6
	v_mul_hi_u32 v13, 24, v6
	v_mul_lo_u32 v6, 24, v6
	s_delay_alu instid0(VALU_DEP_3) | instskip(SKIP_1) | instid1(VALU_DEP_2)
	v_add_nc_u32_e32 v3, v3, v7
	s_wait_loadcnt 0x0
	v_add_co_u32 v6, vcc_lo, v9, v6
	s_delay_alu instid0(VALU_DEP_2) | instskip(SKIP_1) | instid1(VALU_DEP_1)
	v_add_nc_u32_e32 v3, v3, v13
	s_wait_alu 0xfffd
	v_add_co_ci_u32_e32 v7, vcc_lo, v10, v3, vcc_lo
	global_load_b64 v[9:10], v[6:7], off scope:SCOPE_SYS
	s_wait_loadcnt 0x0
	global_atomic_cmpswap_b64 v[6:7], v2, v[9:12], s[22:23] offset:24 th:TH_ATOMIC_RETURN scope:SCOPE_SYS
	s_wait_loadcnt 0x0
	global_inv scope:SCOPE_SYS
	v_cmpx_ne_u64_e64 v[6:7], v[11:12]
	s_cbranch_execz .LBB3_922
; %bb.919:
	s_mov_b32 s3, 0
.LBB3_920:                              ; =>This Inner Loop Header: Depth=1
	s_sleep 1
	s_clause 0x1
	global_load_b64 v[9:10], v2, s[22:23] offset:40
	global_load_b64 v[13:14], v2, s[22:23]
	v_dual_mov_b32 v12, v7 :: v_dual_mov_b32 v11, v6
	s_wait_loadcnt 0x1
	s_delay_alu instid0(VALU_DEP_1) | instskip(NEXT) | instid1(VALU_DEP_2)
	v_and_b32_e32 v3, v9, v11
	v_and_b32_e32 v9, v10, v12
	s_wait_loadcnt 0x0
	s_delay_alu instid0(VALU_DEP_2) | instskip(NEXT) | instid1(VALU_DEP_1)
	v_mad_co_u64_u32 v[6:7], null, v3, 24, v[13:14]
	v_mov_b32_e32 v3, v7
	s_delay_alu instid0(VALU_DEP_1) | instskip(NEXT) | instid1(VALU_DEP_1)
	v_mad_co_u64_u32 v[9:10], null, v9, 24, v[3:4]
	v_mov_b32_e32 v7, v9
	global_load_b64 v[9:10], v[6:7], off scope:SCOPE_SYS
	s_wait_loadcnt 0x0
	global_atomic_cmpswap_b64 v[6:7], v2, v[9:12], s[22:23] offset:24 th:TH_ATOMIC_RETURN scope:SCOPE_SYS
	s_wait_loadcnt 0x0
	global_inv scope:SCOPE_SYS
	v_cmp_eq_u64_e32 vcc_lo, v[6:7], v[11:12]
	s_wait_alu 0xfffe
	s_or_b32 s3, vcc_lo, s3
	s_wait_alu 0xfffe
	s_and_not1_b32 exec_lo, exec_lo, s3
	s_cbranch_execnz .LBB3_920
; %bb.921:
	s_or_b32 exec_lo, exec_lo, s3
.LBB3_922:
	s_wait_alu 0xfffe
	s_or_b32 exec_lo, exec_lo, s2
.LBB3_923:
	s_wait_alu 0xfffe
	s_or_b32 exec_lo, exec_lo, s1
	v_readfirstlane_b32 s2, v6
	v_mov_b32_e32 v2, 0
	v_readfirstlane_b32 s1, v7
	s_mov_b32 s3, exec_lo
	s_clause 0x1
	global_load_b64 v[13:14], v2, s[22:23] offset:40
	global_load_b128 v[9:12], v2, s[22:23]
	s_wait_loadcnt 0x1
	s_wait_alu 0xf1ff
	v_and_b32_e32 v13, s2, v13
	v_and_b32_e32 v14, s1, v14
	s_delay_alu instid0(VALU_DEP_2) | instskip(NEXT) | instid1(VALU_DEP_2)
	v_mul_lo_u32 v6, 0, v13
	v_mul_lo_u32 v3, 24, v14
	v_mul_hi_u32 v7, 24, v13
	v_mul_lo_u32 v15, 24, v13
	s_delay_alu instid0(VALU_DEP_3) | instskip(SKIP_1) | instid1(VALU_DEP_2)
	v_add_nc_u32_e32 v3, v3, v6
	s_wait_loadcnt 0x0
	v_add_co_u32 v6, vcc_lo, v9, v15
	s_delay_alu instid0(VALU_DEP_2) | instskip(SKIP_1) | instid1(VALU_DEP_1)
	v_add_nc_u32_e32 v3, v3, v7
	s_wait_alu 0xfffd
	v_add_co_ci_u32_e32 v7, vcc_lo, v10, v3, vcc_lo
	s_and_saveexec_b32 s4, s0
	s_cbranch_execz .LBB3_925
; %bb.924:
	s_wait_alu 0xfffe
	v_dual_mov_b32 v15, s3 :: v_dual_mov_b32 v16, v2
	v_dual_mov_b32 v17, 2 :: v_dual_mov_b32 v18, 1
	global_store_b128 v[6:7], v[15:18], off offset:8
.LBB3_925:
	s_wait_alu 0xfffe
	s_or_b32 exec_lo, exec_lo, s4
	v_lshlrev_b64_e32 v[13:14], 12, v[13:14]
	s_mov_b32 s4, 0
	v_and_or_b32 v0, 0xffffff1f, v0, 32
	s_wait_alu 0xfffe
	s_mov_b32 s7, s4
	s_mov_b32 s5, s4
	;; [unrolled: 1-line block ×3, first 2 shown]
	v_add_co_u32 v11, vcc_lo, v11, v13
	s_wait_alu 0xfffd
	v_add_co_ci_u32_e32 v12, vcc_lo, v12, v14, vcc_lo
	s_wait_alu 0xfffe
	v_dual_mov_b32 v3, v2 :: v_dual_mov_b32 v16, s7
	v_readfirstlane_b32 s10, v11
	v_add_co_u32 v11, vcc_lo, v11, v39
	v_readfirstlane_b32 s11, v12
	s_wait_alu 0xfffd
	v_add_co_ci_u32_e32 v12, vcc_lo, 0, v12, vcc_lo
	v_dual_mov_b32 v15, s6 :: v_dual_mov_b32 v14, s5
	v_mov_b32_e32 v13, s4
	s_clause 0x3
	global_store_b128 v39, v[0:3], s[10:11]
	global_store_b128 v39, v[13:16], s[10:11] offset:16
	global_store_b128 v39, v[13:16], s[10:11] offset:32
	;; [unrolled: 1-line block ×3, first 2 shown]
	s_and_saveexec_b32 s3, s0
	s_cbranch_execz .LBB3_933
; %bb.926:
	v_mov_b32_e32 v13, 0
	v_mov_b32_e32 v15, s1
	s_mov_b32 s4, exec_lo
	s_clause 0x1
	global_load_b64 v[16:17], v13, s[22:23] offset:32 scope:SCOPE_SYS
	global_load_b64 v[0:1], v13, s[22:23] offset:40
	v_mov_b32_e32 v14, s2
	s_wait_loadcnt 0x0
	v_and_b32_e32 v0, s2, v0
	v_and_b32_e32 v1, s1, v1
	s_delay_alu instid0(VALU_DEP_2) | instskip(NEXT) | instid1(VALU_DEP_2)
	v_mul_lo_u32 v2, 0, v0
	v_mul_lo_u32 v1, 24, v1
	v_mul_hi_u32 v3, 24, v0
	v_mul_lo_u32 v0, 24, v0
	s_delay_alu instid0(VALU_DEP_3) | instskip(NEXT) | instid1(VALU_DEP_2)
	v_add_nc_u32_e32 v1, v1, v2
	v_add_co_u32 v9, vcc_lo, v9, v0
	s_delay_alu instid0(VALU_DEP_2) | instskip(SKIP_1) | instid1(VALU_DEP_1)
	v_add_nc_u32_e32 v1, v1, v3
	s_wait_alu 0xfffd
	v_add_co_ci_u32_e32 v10, vcc_lo, v10, v1, vcc_lo
	global_store_b64 v[9:10], v[16:17], off
	global_wb scope:SCOPE_SYS
	s_wait_storecnt 0x0
	global_atomic_cmpswap_b64 v[2:3], v13, v[14:17], s[22:23] offset:32 th:TH_ATOMIC_RETURN scope:SCOPE_SYS
	s_wait_loadcnt 0x0
	v_cmpx_ne_u64_e64 v[2:3], v[16:17]
	s_cbranch_execz .LBB3_929
; %bb.927:
	s_mov_b32 s5, 0
.LBB3_928:                              ; =>This Inner Loop Header: Depth=1
	v_dual_mov_b32 v0, s2 :: v_dual_mov_b32 v1, s1
	s_sleep 1
	global_store_b64 v[9:10], v[2:3], off
	global_wb scope:SCOPE_SYS
	s_wait_storecnt 0x0
	global_atomic_cmpswap_b64 v[0:1], v13, v[0:3], s[22:23] offset:32 th:TH_ATOMIC_RETURN scope:SCOPE_SYS
	s_wait_loadcnt 0x0
	v_cmp_eq_u64_e32 vcc_lo, v[0:1], v[2:3]
	v_dual_mov_b32 v3, v1 :: v_dual_mov_b32 v2, v0
	s_wait_alu 0xfffe
	s_or_b32 s5, vcc_lo, s5
	s_wait_alu 0xfffe
	s_and_not1_b32 exec_lo, exec_lo, s5
	s_cbranch_execnz .LBB3_928
.LBB3_929:
	s_wait_alu 0xfffe
	s_or_b32 exec_lo, exec_lo, s4
	v_mov_b32_e32 v3, 0
	s_mov_b32 s5, exec_lo
	s_mov_b32 s4, exec_lo
	s_wait_alu 0xfffe
	v_mbcnt_lo_u32_b32 v2, s5, 0
	global_load_b64 v[0:1], v3, s[22:23] offset:16
	v_cmpx_eq_u32_e32 0, v2
	s_cbranch_execz .LBB3_931
; %bb.930:
	s_bcnt1_i32_b32 s5, s5
	s_wait_alu 0xfffe
	v_mov_b32_e32 v2, s5
	global_wb scope:SCOPE_SYS
	s_wait_loadcnt 0x0
	global_atomic_add_u64 v[0:1], v[2:3], off offset:8 scope:SCOPE_SYS
.LBB3_931:
	s_or_b32 exec_lo, exec_lo, s4
	s_wait_loadcnt 0x0
	global_load_b64 v[2:3], v[0:1], off offset:16
	s_wait_loadcnt 0x0
	v_cmp_eq_u64_e32 vcc_lo, 0, v[2:3]
	s_cbranch_vccnz .LBB3_933
; %bb.932:
	global_load_b32 v0, v[0:1], off offset:24
	v_mov_b32_e32 v1, 0
	s_wait_loadcnt 0x0
	v_and_b32_e32 v9, 0xffffff, v0
	global_wb scope:SCOPE_SYS
	s_wait_storecnt 0x0
	global_store_b64 v[2:3], v[0:1], off scope:SCOPE_SYS
	v_readfirstlane_b32 m0, v9
	s_sendmsg sendmsg(MSG_INTERRUPT)
.LBB3_933:
	s_wait_alu 0xfffe
	s_or_b32 exec_lo, exec_lo, s3
	s_branch .LBB3_937
.LBB3_934:                              ;   in Loop: Header=BB3_937 Depth=1
	s_wait_alu 0xfffe
	s_or_b32 exec_lo, exec_lo, s3
	s_delay_alu instid0(VALU_DEP_1) | instskip(NEXT) | instid1(VALU_DEP_1)
	v_readfirstlane_b32 s3, v0
	s_cmp_eq_u32 s3, 0
	s_cbranch_scc1 .LBB3_936
; %bb.935:                              ;   in Loop: Header=BB3_937 Depth=1
	s_sleep 1
	s_cbranch_execnz .LBB3_937
	s_branch .LBB3_939
.LBB3_936:
	s_branch .LBB3_939
.LBB3_937:                              ; =>This Inner Loop Header: Depth=1
	v_mov_b32_e32 v0, 1
	s_and_saveexec_b32 s3, s0
	s_cbranch_execz .LBB3_934
; %bb.938:                              ;   in Loop: Header=BB3_937 Depth=1
	global_load_b32 v0, v[6:7], off offset:20 scope:SCOPE_SYS
	s_wait_loadcnt 0x0
	global_inv scope:SCOPE_SYS
	v_and_b32_e32 v0, 1, v0
	s_branch .LBB3_934
.LBB3_939:
	global_load_b64 v[9:10], v[11:12], off
	s_and_saveexec_b32 s3, s0
	s_cbranch_execz .LBB3_943
; %bb.940:
	v_mov_b32_e32 v11, 0
	s_clause 0x2
	global_load_b64 v[2:3], v11, s[22:23] offset:40
	global_load_b64 v[12:13], v11, s[22:23] offset:24 scope:SCOPE_SYS
	global_load_b64 v[6:7], v11, s[22:23]
	s_wait_loadcnt 0x2
	v_add_co_u32 v14, vcc_lo, v2, 1
	s_wait_alu 0xfffd
	v_add_co_ci_u32_e32 v15, vcc_lo, 0, v3, vcc_lo
	s_delay_alu instid0(VALU_DEP_2) | instskip(SKIP_1) | instid1(VALU_DEP_2)
	v_add_co_u32 v0, vcc_lo, v14, s2
	s_wait_alu 0xfffd
	v_add_co_ci_u32_e32 v1, vcc_lo, s1, v15, vcc_lo
	s_delay_alu instid0(VALU_DEP_1) | instskip(SKIP_2) | instid1(VALU_DEP_1)
	v_cmp_eq_u64_e32 vcc_lo, 0, v[0:1]
	s_wait_alu 0xfffd
	v_dual_cndmask_b32 v0, v0, v14 :: v_dual_cndmask_b32 v1, v1, v15
	v_and_b32_e32 v2, v0, v2
	s_delay_alu instid0(VALU_DEP_2) | instskip(NEXT) | instid1(VALU_DEP_2)
	v_and_b32_e32 v3, v1, v3
	v_mul_lo_u32 v14, 0, v2
	v_mul_hi_u32 v15, 24, v2
	v_mul_lo_u32 v2, 24, v2
	s_wait_loadcnt 0x0
	s_delay_alu instid0(VALU_DEP_1) | instskip(SKIP_2) | instid1(VALU_DEP_1)
	v_add_co_u32 v6, vcc_lo, v6, v2
	v_mov_b32_e32 v2, v12
	v_mul_lo_u32 v3, 24, v3
	v_add_nc_u32_e32 v3, v3, v14
	s_delay_alu instid0(VALU_DEP_1) | instskip(SKIP_1) | instid1(VALU_DEP_1)
	v_add_nc_u32_e32 v3, v3, v15
	s_wait_alu 0xfffd
	v_add_co_ci_u32_e32 v7, vcc_lo, v7, v3, vcc_lo
	v_mov_b32_e32 v3, v13
	global_store_b64 v[6:7], v[12:13], off
	global_wb scope:SCOPE_SYS
	s_wait_storecnt 0x0
	global_atomic_cmpswap_b64 v[2:3], v11, v[0:3], s[22:23] offset:24 th:TH_ATOMIC_RETURN scope:SCOPE_SYS
	s_wait_loadcnt 0x0
	v_cmp_ne_u64_e32 vcc_lo, v[2:3], v[12:13]
	s_and_b32 exec_lo, exec_lo, vcc_lo
	s_cbranch_execz .LBB3_943
; %bb.941:
	s_mov_b32 s0, 0
.LBB3_942:                              ; =>This Inner Loop Header: Depth=1
	s_sleep 1
	global_store_b64 v[6:7], v[2:3], off
	global_wb scope:SCOPE_SYS
	s_wait_storecnt 0x0
	global_atomic_cmpswap_b64 v[12:13], v11, v[0:3], s[22:23] offset:24 th:TH_ATOMIC_RETURN scope:SCOPE_SYS
	s_wait_loadcnt 0x0
	v_cmp_eq_u64_e32 vcc_lo, v[12:13], v[2:3]
	v_dual_mov_b32 v2, v12 :: v_dual_mov_b32 v3, v13
	s_wait_alu 0xfffe
	s_or_b32 s0, vcc_lo, s0
	s_wait_alu 0xfffe
	s_and_not1_b32 exec_lo, exec_lo, s0
	s_cbranch_execnz .LBB3_942
.LBB3_943:
	s_wait_alu 0xfffe
	s_or_b32 exec_lo, exec_lo, s3
.LBB3_944:
	v_readfirstlane_b32 s0, v50
	v_mov_b32_e32 v6, 0
	v_mov_b32_e32 v7, 0
	s_wait_alu 0xf1ff
	s_delay_alu instid0(VALU_DEP_3) | instskip(NEXT) | instid1(VALU_DEP_1)
	v_cmp_eq_u32_e64 s0, s0, v50
	s_and_saveexec_b32 s1, s0
	s_cbranch_execz .LBB3_950
; %bb.945:
	s_wait_loadcnt 0x0
	v_mov_b32_e32 v0, 0
	s_mov_b32 s2, exec_lo
	global_load_b64 v[13:14], v0, s[22:23] offset:24 scope:SCOPE_SYS
	s_wait_loadcnt 0x0
	global_inv scope:SCOPE_SYS
	s_clause 0x1
	global_load_b64 v[1:2], v0, s[22:23] offset:40
	global_load_b64 v[6:7], v0, s[22:23]
	s_wait_loadcnt 0x1
	v_and_b32_e32 v1, v1, v13
	v_and_b32_e32 v2, v2, v14
	s_delay_alu instid0(VALU_DEP_2) | instskip(NEXT) | instid1(VALU_DEP_2)
	v_mul_lo_u32 v3, 0, v1
	v_mul_lo_u32 v2, 24, v2
	v_mul_hi_u32 v11, 24, v1
	v_mul_lo_u32 v1, 24, v1
	s_delay_alu instid0(VALU_DEP_3) | instskip(SKIP_1) | instid1(VALU_DEP_2)
	v_add_nc_u32_e32 v2, v2, v3
	s_wait_loadcnt 0x0
	v_add_co_u32 v1, vcc_lo, v6, v1
	s_delay_alu instid0(VALU_DEP_2) | instskip(SKIP_1) | instid1(VALU_DEP_1)
	v_add_nc_u32_e32 v2, v2, v11
	s_wait_alu 0xfffd
	v_add_co_ci_u32_e32 v2, vcc_lo, v7, v2, vcc_lo
	global_load_b64 v[11:12], v[1:2], off scope:SCOPE_SYS
	s_wait_loadcnt 0x0
	global_atomic_cmpswap_b64 v[6:7], v0, v[11:14], s[22:23] offset:24 th:TH_ATOMIC_RETURN scope:SCOPE_SYS
	s_wait_loadcnt 0x0
	global_inv scope:SCOPE_SYS
	v_cmpx_ne_u64_e64 v[6:7], v[13:14]
	s_cbranch_execz .LBB3_949
; %bb.946:
	s_mov_b32 s3, 0
.LBB3_947:                              ; =>This Inner Loop Header: Depth=1
	s_sleep 1
	s_clause 0x1
	global_load_b64 v[1:2], v0, s[22:23] offset:40
	global_load_b64 v[11:12], v0, s[22:23]
	v_dual_mov_b32 v14, v7 :: v_dual_mov_b32 v13, v6
	s_wait_loadcnt 0x1
	s_delay_alu instid0(VALU_DEP_1) | instskip(SKIP_1) | instid1(VALU_DEP_1)
	v_and_b32_e32 v1, v1, v13
	s_wait_loadcnt 0x0
	v_mad_co_u64_u32 v[6:7], null, v1, 24, v[11:12]
	s_delay_alu instid0(VALU_DEP_1) | instskip(NEXT) | instid1(VALU_DEP_1)
	v_dual_mov_b32 v1, v7 :: v_dual_and_b32 v2, v2, v14
	v_mad_co_u64_u32 v[1:2], null, v2, 24, v[1:2]
	s_delay_alu instid0(VALU_DEP_1)
	v_mov_b32_e32 v7, v1
	global_load_b64 v[11:12], v[6:7], off scope:SCOPE_SYS
	s_wait_loadcnt 0x0
	global_atomic_cmpswap_b64 v[6:7], v0, v[11:14], s[22:23] offset:24 th:TH_ATOMIC_RETURN scope:SCOPE_SYS
	s_wait_loadcnt 0x0
	global_inv scope:SCOPE_SYS
	v_cmp_eq_u64_e32 vcc_lo, v[6:7], v[13:14]
	s_wait_alu 0xfffe
	s_or_b32 s3, vcc_lo, s3
	s_wait_alu 0xfffe
	s_and_not1_b32 exec_lo, exec_lo, s3
	s_cbranch_execnz .LBB3_947
; %bb.948:
	s_or_b32 exec_lo, exec_lo, s3
.LBB3_949:
	s_wait_alu 0xfffe
	s_or_b32 exec_lo, exec_lo, s2
.LBB3_950:
	s_wait_alu 0xfffe
	s_or_b32 exec_lo, exec_lo, s1
	v_readfirstlane_b32 s2, v6
	s_wait_loadcnt 0x0
	v_mov_b32_e32 v12, 0
	v_readfirstlane_b32 s1, v7
	s_mov_b32 s3, exec_lo
	s_clause 0x1
	global_load_b64 v[13:14], v12, s[22:23] offset:40
	global_load_b128 v[0:3], v12, s[22:23]
	s_wait_loadcnt 0x1
	s_wait_alu 0xf1ff
	v_and_b32_e32 v15, s2, v13
	v_and_b32_e32 v16, s1, v14
	s_delay_alu instid0(VALU_DEP_2) | instskip(NEXT) | instid1(VALU_DEP_2)
	v_mul_lo_u32 v7, 0, v15
	v_mul_lo_u32 v6, 24, v16
	v_mul_hi_u32 v11, 24, v15
	v_mul_lo_u32 v13, 24, v15
	s_delay_alu instid0(VALU_DEP_3) | instskip(NEXT) | instid1(VALU_DEP_1)
	v_add_nc_u32_e32 v6, v6, v7
	v_add_nc_u32_e32 v7, v6, v11
	s_wait_loadcnt 0x0
	s_delay_alu instid0(VALU_DEP_3) | instskip(SKIP_1) | instid1(VALU_DEP_2)
	v_add_co_u32 v6, vcc_lo, v0, v13
	s_wait_alu 0xfffd
	v_add_co_ci_u32_e32 v7, vcc_lo, v1, v7, vcc_lo
	s_and_saveexec_b32 s4, s0
	s_cbranch_execz .LBB3_952
; %bb.951:
	s_wait_alu 0xfffe
	v_dual_mov_b32 v11, s3 :: v_dual_mov_b32 v14, 1
	v_mov_b32_e32 v13, 2
	global_store_b128 v[6:7], v[11:14], off offset:8
.LBB3_952:
	s_wait_alu 0xfffe
	s_or_b32 exec_lo, exec_lo, s4
	v_lshlrev_b64_e32 v[13:14], 12, v[15:16]
	s_mov_b32 s4, 0
	v_and_or_b32 v9, 0xffffff1d, v9, 34
	s_wait_alu 0xfffe
	s_mov_b32 s7, s4
	s_mov_b32 s5, s4
	s_mov_b32 s6, s4
	v_add_co_u32 v2, vcc_lo, v2, v13
	s_wait_alu 0xfffd
	v_add_co_ci_u32_e32 v3, vcc_lo, v3, v14, vcc_lo
	v_ashrrev_i32_e32 v12, 31, v8
	s_wait_alu 0xfffe
	v_dual_mov_b32 v11, v8 :: v_dual_mov_b32 v16, s7
	v_readfirstlane_b32 s10, v2
	v_readfirstlane_b32 s11, v3
	v_dual_mov_b32 v15, s6 :: v_dual_mov_b32 v14, s5
	v_mov_b32_e32 v13, s4
	s_clause 0x3
	global_store_b128 v39, v[9:12], s[10:11]
	global_store_b128 v39, v[13:16], s[10:11] offset:16
	global_store_b128 v39, v[13:16], s[10:11] offset:32
	global_store_b128 v39, v[13:16], s[10:11] offset:48
	s_and_saveexec_b32 s3, s0
	s_cbranch_execz .LBB3_960
; %bb.953:
	v_mov_b32_e32 v10, 0
	s_mov_b32 s4, exec_lo
	s_clause 0x1
	global_load_b64 v[13:14], v10, s[22:23] offset:32 scope:SCOPE_SYS
	global_load_b64 v[2:3], v10, s[22:23] offset:40
	v_dual_mov_b32 v11, s2 :: v_dual_mov_b32 v12, s1
	s_wait_loadcnt 0x0
	v_and_b32_e32 v3, s1, v3
	v_and_b32_e32 v2, s2, v2
	s_delay_alu instid0(VALU_DEP_2) | instskip(NEXT) | instid1(VALU_DEP_2)
	v_mul_lo_u32 v3, 24, v3
	v_mul_lo_u32 v8, 0, v2
	v_mul_hi_u32 v9, 24, v2
	v_mul_lo_u32 v2, 24, v2
	s_delay_alu instid0(VALU_DEP_3) | instskip(NEXT) | instid1(VALU_DEP_2)
	v_add_nc_u32_e32 v3, v3, v8
	v_add_co_u32 v8, vcc_lo, v0, v2
	s_delay_alu instid0(VALU_DEP_2) | instskip(SKIP_1) | instid1(VALU_DEP_1)
	v_add_nc_u32_e32 v3, v3, v9
	s_wait_alu 0xfffd
	v_add_co_ci_u32_e32 v9, vcc_lo, v1, v3, vcc_lo
	global_store_b64 v[8:9], v[13:14], off
	global_wb scope:SCOPE_SYS
	s_wait_storecnt 0x0
	global_atomic_cmpswap_b64 v[2:3], v10, v[11:14], s[22:23] offset:32 th:TH_ATOMIC_RETURN scope:SCOPE_SYS
	s_wait_loadcnt 0x0
	v_cmpx_ne_u64_e64 v[2:3], v[13:14]
	s_cbranch_execz .LBB3_956
; %bb.954:
	s_mov_b32 s5, 0
.LBB3_955:                              ; =>This Inner Loop Header: Depth=1
	v_dual_mov_b32 v0, s2 :: v_dual_mov_b32 v1, s1
	s_sleep 1
	global_store_b64 v[8:9], v[2:3], off
	global_wb scope:SCOPE_SYS
	s_wait_storecnt 0x0
	global_atomic_cmpswap_b64 v[0:1], v10, v[0:3], s[22:23] offset:32 th:TH_ATOMIC_RETURN scope:SCOPE_SYS
	s_wait_loadcnt 0x0
	v_cmp_eq_u64_e32 vcc_lo, v[0:1], v[2:3]
	v_dual_mov_b32 v3, v1 :: v_dual_mov_b32 v2, v0
	s_wait_alu 0xfffe
	s_or_b32 s5, vcc_lo, s5
	s_wait_alu 0xfffe
	s_and_not1_b32 exec_lo, exec_lo, s5
	s_cbranch_execnz .LBB3_955
.LBB3_956:
	s_wait_alu 0xfffe
	s_or_b32 exec_lo, exec_lo, s4
	v_mov_b32_e32 v3, 0
	s_mov_b32 s5, exec_lo
	s_mov_b32 s4, exec_lo
	s_wait_alu 0xfffe
	v_mbcnt_lo_u32_b32 v2, s5, 0
	global_load_b64 v[0:1], v3, s[22:23] offset:16
	v_cmpx_eq_u32_e32 0, v2
	s_cbranch_execz .LBB3_958
; %bb.957:
	s_bcnt1_i32_b32 s5, s5
	s_wait_alu 0xfffe
	v_mov_b32_e32 v2, s5
	global_wb scope:SCOPE_SYS
	s_wait_loadcnt 0x0
	global_atomic_add_u64 v[0:1], v[2:3], off offset:8 scope:SCOPE_SYS
.LBB3_958:
	s_or_b32 exec_lo, exec_lo, s4
	s_wait_loadcnt 0x0
	global_load_b64 v[2:3], v[0:1], off offset:16
	s_wait_loadcnt 0x0
	v_cmp_eq_u64_e32 vcc_lo, 0, v[2:3]
	s_cbranch_vccnz .LBB3_960
; %bb.959:
	global_load_b32 v0, v[0:1], off offset:24
	s_wait_loadcnt 0x0
	v_dual_mov_b32 v1, 0 :: v_dual_and_b32 v8, 0xffffff, v0
	global_wb scope:SCOPE_SYS
	s_wait_storecnt 0x0
	global_store_b64 v[2:3], v[0:1], off scope:SCOPE_SYS
	v_readfirstlane_b32 m0, v8
	s_sendmsg sendmsg(MSG_INTERRUPT)
.LBB3_960:
	s_wait_alu 0xfffe
	s_or_b32 exec_lo, exec_lo, s3
	s_branch .LBB3_964
.LBB3_961:                              ;   in Loop: Header=BB3_964 Depth=1
	s_wait_alu 0xfffe
	s_or_b32 exec_lo, exec_lo, s3
	s_delay_alu instid0(VALU_DEP_1) | instskip(NEXT) | instid1(VALU_DEP_1)
	v_readfirstlane_b32 s3, v0
	s_cmp_eq_u32 s3, 0
	s_cbranch_scc1 .LBB3_963
; %bb.962:                              ;   in Loop: Header=BB3_964 Depth=1
	s_sleep 1
	s_cbranch_execnz .LBB3_964
	s_branch .LBB3_966
.LBB3_963:
	s_branch .LBB3_966
.LBB3_964:                              ; =>This Inner Loop Header: Depth=1
	v_mov_b32_e32 v0, 1
	s_and_saveexec_b32 s3, s0
	s_cbranch_execz .LBB3_961
; %bb.965:                              ;   in Loop: Header=BB3_964 Depth=1
	global_load_b32 v0, v[6:7], off offset:20 scope:SCOPE_SYS
	s_wait_loadcnt 0x0
	global_inv scope:SCOPE_SYS
	v_and_b32_e32 v0, 1, v0
	s_branch .LBB3_961
.LBB3_966:
	s_and_saveexec_b32 s3, s0
	s_cbranch_execz .LBB3_970
; %bb.967:
	v_mov_b32_e32 v8, 0
	s_clause 0x2
	global_load_b64 v[2:3], v8, s[22:23] offset:40
	global_load_b64 v[9:10], v8, s[22:23] offset:24 scope:SCOPE_SYS
	global_load_b64 v[6:7], v8, s[22:23]
	s_wait_loadcnt 0x2
	v_add_co_u32 v11, vcc_lo, v2, 1
	s_wait_alu 0xfffd
	v_add_co_ci_u32_e32 v12, vcc_lo, 0, v3, vcc_lo
	s_delay_alu instid0(VALU_DEP_2) | instskip(SKIP_1) | instid1(VALU_DEP_2)
	v_add_co_u32 v0, vcc_lo, v11, s2
	s_wait_alu 0xfffd
	v_add_co_ci_u32_e32 v1, vcc_lo, s1, v12, vcc_lo
	s_delay_alu instid0(VALU_DEP_1) | instskip(SKIP_2) | instid1(VALU_DEP_1)
	v_cmp_eq_u64_e32 vcc_lo, 0, v[0:1]
	s_wait_alu 0xfffd
	v_dual_cndmask_b32 v1, v1, v12 :: v_dual_cndmask_b32 v0, v0, v11
	v_and_b32_e32 v3, v1, v3
	s_delay_alu instid0(VALU_DEP_2) | instskip(NEXT) | instid1(VALU_DEP_2)
	v_and_b32_e32 v2, v0, v2
	v_mul_lo_u32 v3, 24, v3
	s_delay_alu instid0(VALU_DEP_2) | instskip(SKIP_2) | instid1(VALU_DEP_3)
	v_mul_lo_u32 v11, 0, v2
	v_mul_hi_u32 v12, 24, v2
	v_mul_lo_u32 v2, 24, v2
	v_add_nc_u32_e32 v3, v3, v11
	s_wait_loadcnt 0x0
	s_delay_alu instid0(VALU_DEP_2) | instskip(NEXT) | instid1(VALU_DEP_2)
	v_add_co_u32 v6, vcc_lo, v6, v2
	v_dual_mov_b32 v2, v9 :: v_dual_add_nc_u32 v3, v3, v12
	s_wait_alu 0xfffd
	s_delay_alu instid0(VALU_DEP_1)
	v_add_co_ci_u32_e32 v7, vcc_lo, v7, v3, vcc_lo
	v_mov_b32_e32 v3, v10
	global_store_b64 v[6:7], v[9:10], off
	global_wb scope:SCOPE_SYS
	s_wait_storecnt 0x0
	global_atomic_cmpswap_b64 v[2:3], v8, v[0:3], s[22:23] offset:24 th:TH_ATOMIC_RETURN scope:SCOPE_SYS
	s_wait_loadcnt 0x0
	v_cmp_ne_u64_e32 vcc_lo, v[2:3], v[9:10]
	s_and_b32 exec_lo, exec_lo, vcc_lo
	s_cbranch_execz .LBB3_970
; %bb.968:
	s_mov_b32 s0, 0
.LBB3_969:                              ; =>This Inner Loop Header: Depth=1
	s_sleep 1
	global_store_b64 v[6:7], v[2:3], off
	global_wb scope:SCOPE_SYS
	s_wait_storecnt 0x0
	global_atomic_cmpswap_b64 v[9:10], v8, v[0:3], s[22:23] offset:24 th:TH_ATOMIC_RETURN scope:SCOPE_SYS
	s_wait_loadcnt 0x0
	v_cmp_eq_u64_e32 vcc_lo, v[9:10], v[2:3]
	v_dual_mov_b32 v2, v9 :: v_dual_mov_b32 v3, v10
	s_wait_alu 0xfffe
	s_or_b32 s0, vcc_lo, s0
	s_wait_alu 0xfffe
	s_and_not1_b32 exec_lo, exec_lo, s0
	s_cbranch_execnz .LBB3_969
.LBB3_970:
	s_wait_alu 0xfffe
	s_or_b32 exec_lo, exec_lo, s3
	v_readfirstlane_b32 s0, v50
	v_mov_b32_e32 v8, 0
	v_mov_b32_e32 v9, 0
	s_wait_alu 0xf1ff
	s_delay_alu instid0(VALU_DEP_3) | instskip(NEXT) | instid1(VALU_DEP_1)
	v_cmp_eq_u32_e64 s0, s0, v50
	s_and_saveexec_b32 s1, s0
	s_cbranch_execz .LBB3_976
; %bb.971:
	v_mov_b32_e32 v0, 0
	s_mov_b32 s2, exec_lo
	global_load_b64 v[10:11], v0, s[22:23] offset:24 scope:SCOPE_SYS
	s_wait_loadcnt 0x0
	global_inv scope:SCOPE_SYS
	s_clause 0x1
	global_load_b64 v[1:2], v0, s[22:23] offset:40
	global_load_b64 v[6:7], v0, s[22:23]
	s_wait_loadcnt 0x1
	v_and_b32_e32 v1, v1, v10
	v_and_b32_e32 v2, v2, v11
	s_delay_alu instid0(VALU_DEP_2) | instskip(NEXT) | instid1(VALU_DEP_2)
	v_mul_lo_u32 v3, 0, v1
	v_mul_lo_u32 v2, 24, v2
	v_mul_hi_u32 v8, 24, v1
	v_mul_lo_u32 v1, 24, v1
	s_delay_alu instid0(VALU_DEP_3) | instskip(SKIP_1) | instid1(VALU_DEP_2)
	v_add_nc_u32_e32 v2, v2, v3
	s_wait_loadcnt 0x0
	v_add_co_u32 v1, vcc_lo, v6, v1
	s_delay_alu instid0(VALU_DEP_2) | instskip(SKIP_1) | instid1(VALU_DEP_1)
	v_add_nc_u32_e32 v2, v2, v8
	s_wait_alu 0xfffd
	v_add_co_ci_u32_e32 v2, vcc_lo, v7, v2, vcc_lo
	global_load_b64 v[8:9], v[1:2], off scope:SCOPE_SYS
	s_wait_loadcnt 0x0
	global_atomic_cmpswap_b64 v[8:9], v0, v[8:11], s[22:23] offset:24 th:TH_ATOMIC_RETURN scope:SCOPE_SYS
	s_wait_loadcnt 0x0
	global_inv scope:SCOPE_SYS
	v_cmpx_ne_u64_e64 v[8:9], v[10:11]
	s_cbranch_execz .LBB3_975
; %bb.972:
	s_mov_b32 s3, 0
.LBB3_973:                              ; =>This Inner Loop Header: Depth=1
	s_sleep 1
	s_clause 0x1
	global_load_b64 v[1:2], v0, s[22:23] offset:40
	global_load_b64 v[6:7], v0, s[22:23]
	v_dual_mov_b32 v11, v9 :: v_dual_mov_b32 v10, v8
	s_wait_loadcnt 0x1
	s_delay_alu instid0(VALU_DEP_1) | instskip(SKIP_1) | instid1(VALU_DEP_1)
	v_and_b32_e32 v1, v1, v10
	s_wait_loadcnt 0x0
	v_mad_co_u64_u32 v[6:7], null, v1, 24, v[6:7]
	s_delay_alu instid0(VALU_DEP_1) | instskip(NEXT) | instid1(VALU_DEP_1)
	v_dual_mov_b32 v1, v7 :: v_dual_and_b32 v2, v2, v11
	v_mad_co_u64_u32 v[1:2], null, v2, 24, v[1:2]
	s_delay_alu instid0(VALU_DEP_1)
	v_mov_b32_e32 v7, v1
	global_load_b64 v[8:9], v[6:7], off scope:SCOPE_SYS
	s_wait_loadcnt 0x0
	global_atomic_cmpswap_b64 v[8:9], v0, v[8:11], s[22:23] offset:24 th:TH_ATOMIC_RETURN scope:SCOPE_SYS
	s_wait_loadcnt 0x0
	global_inv scope:SCOPE_SYS
	v_cmp_eq_u64_e32 vcc_lo, v[8:9], v[10:11]
	s_wait_alu 0xfffe
	s_or_b32 s3, vcc_lo, s3
	s_wait_alu 0xfffe
	s_and_not1_b32 exec_lo, exec_lo, s3
	s_cbranch_execnz .LBB3_973
; %bb.974:
	s_or_b32 exec_lo, exec_lo, s3
.LBB3_975:
	s_wait_alu 0xfffe
	s_or_b32 exec_lo, exec_lo, s2
.LBB3_976:
	s_wait_alu 0xfffe
	s_or_b32 exec_lo, exec_lo, s1
	v_readfirstlane_b32 s2, v8
	v_mov_b32_e32 v7, 0
	v_readfirstlane_b32 s1, v9
	s_mov_b32 s3, exec_lo
	s_clause 0x1
	global_load_b64 v[10:11], v7, s[22:23] offset:40
	global_load_b128 v[0:3], v7, s[22:23]
	s_wait_loadcnt 0x1
	s_wait_alu 0xf1ff
	v_and_b32_e32 v12, s2, v10
	v_and_b32_e32 v13, s1, v11
	s_delay_alu instid0(VALU_DEP_2) | instskip(NEXT) | instid1(VALU_DEP_2)
	v_mul_lo_u32 v8, 0, v12
	v_mul_lo_u32 v6, 24, v13
	v_mul_hi_u32 v9, 24, v12
	v_mul_lo_u32 v10, 24, v12
	s_delay_alu instid0(VALU_DEP_3) | instskip(SKIP_1) | instid1(VALU_DEP_2)
	v_add_nc_u32_e32 v6, v6, v8
	s_wait_loadcnt 0x0
	v_add_co_u32 v10, vcc_lo, v0, v10
	s_delay_alu instid0(VALU_DEP_2) | instskip(SKIP_1) | instid1(VALU_DEP_1)
	v_add_nc_u32_e32 v6, v6, v9
	s_wait_alu 0xfffd
	v_add_co_ci_u32_e32 v11, vcc_lo, v1, v6, vcc_lo
	s_and_saveexec_b32 s4, s0
	s_cbranch_execz .LBB3_978
; %bb.977:
	s_wait_alu 0xfffe
	v_dual_mov_b32 v6, s3 :: v_dual_mov_b32 v9, 1
	v_mov_b32_e32 v8, 2
	global_store_b128 v[10:11], v[6:9], off offset:8
.LBB3_978:
	s_wait_alu 0xfffe
	s_or_b32 exec_lo, exec_lo, s4
	v_lshlrev_b64_e32 v[12:13], 12, v[12:13]
	s_mov_b32 s4, 0
	v_dual_mov_b32 v6, 33 :: v_dual_mov_b32 v9, v7
	s_wait_alu 0xfffe
	s_mov_b32 s7, s4
	s_mov_b32 s5, s4
	v_add_co_u32 v2, vcc_lo, v2, v12
	s_wait_alu 0xfffd
	v_add_co_ci_u32_e32 v3, vcc_lo, v3, v13, vcc_lo
	s_mov_b32 s6, s4
	s_delay_alu instid0(VALU_DEP_2)
	v_add_co_u32 v12, vcc_lo, v2, v39
	s_wait_alu 0xfffe
	v_dual_mov_b32 v8, v7 :: v_dual_mov_b32 v17, s7
	v_readfirstlane_b32 s10, v2
	v_readfirstlane_b32 s11, v3
	s_wait_alu 0xfffd
	v_add_co_ci_u32_e32 v13, vcc_lo, 0, v3, vcc_lo
	v_dual_mov_b32 v16, s6 :: v_dual_mov_b32 v15, s5
	v_mov_b32_e32 v14, s4
	s_clause 0x3
	global_store_b128 v39, v[6:9], s[10:11]
	global_store_b128 v39, v[14:17], s[10:11] offset:16
	global_store_b128 v39, v[14:17], s[10:11] offset:32
	;; [unrolled: 1-line block ×3, first 2 shown]
	s_and_saveexec_b32 s3, s0
	s_cbranch_execz .LBB3_986
; %bb.979:
	v_mov_b32_e32 v8, 0
	s_mov_b32 s4, exec_lo
	s_clause 0x1
	global_load_b64 v[16:17], v8, s[22:23] offset:32 scope:SCOPE_SYS
	global_load_b64 v[2:3], v8, s[22:23] offset:40
	v_dual_mov_b32 v15, s1 :: v_dual_mov_b32 v14, s2
	s_wait_loadcnt 0x0
	v_and_b32_e32 v3, s1, v3
	v_and_b32_e32 v2, s2, v2
	s_delay_alu instid0(VALU_DEP_2) | instskip(NEXT) | instid1(VALU_DEP_2)
	v_mul_lo_u32 v3, 24, v3
	v_mul_lo_u32 v6, 0, v2
	v_mul_hi_u32 v7, 24, v2
	v_mul_lo_u32 v2, 24, v2
	s_delay_alu instid0(VALU_DEP_3) | instskip(NEXT) | instid1(VALU_DEP_2)
	v_add_nc_u32_e32 v3, v3, v6
	v_add_co_u32 v6, vcc_lo, v0, v2
	s_delay_alu instid0(VALU_DEP_2) | instskip(SKIP_1) | instid1(VALU_DEP_1)
	v_add_nc_u32_e32 v3, v3, v7
	s_wait_alu 0xfffd
	v_add_co_ci_u32_e32 v7, vcc_lo, v1, v3, vcc_lo
	global_store_b64 v[6:7], v[16:17], off
	global_wb scope:SCOPE_SYS
	s_wait_storecnt 0x0
	global_atomic_cmpswap_b64 v[2:3], v8, v[14:17], s[22:23] offset:32 th:TH_ATOMIC_RETURN scope:SCOPE_SYS
	s_wait_loadcnt 0x0
	v_cmpx_ne_u64_e64 v[2:3], v[16:17]
	s_cbranch_execz .LBB3_982
; %bb.980:
	s_mov_b32 s5, 0
.LBB3_981:                              ; =>This Inner Loop Header: Depth=1
	v_dual_mov_b32 v0, s2 :: v_dual_mov_b32 v1, s1
	s_sleep 1
	global_store_b64 v[6:7], v[2:3], off
	global_wb scope:SCOPE_SYS
	s_wait_storecnt 0x0
	global_atomic_cmpswap_b64 v[0:1], v8, v[0:3], s[22:23] offset:32 th:TH_ATOMIC_RETURN scope:SCOPE_SYS
	s_wait_loadcnt 0x0
	v_cmp_eq_u64_e32 vcc_lo, v[0:1], v[2:3]
	v_dual_mov_b32 v3, v1 :: v_dual_mov_b32 v2, v0
	s_wait_alu 0xfffe
	s_or_b32 s5, vcc_lo, s5
	s_wait_alu 0xfffe
	s_and_not1_b32 exec_lo, exec_lo, s5
	s_cbranch_execnz .LBB3_981
.LBB3_982:
	s_wait_alu 0xfffe
	s_or_b32 exec_lo, exec_lo, s4
	v_mov_b32_e32 v3, 0
	s_mov_b32 s5, exec_lo
	s_mov_b32 s4, exec_lo
	s_wait_alu 0xfffe
	v_mbcnt_lo_u32_b32 v2, s5, 0
	global_load_b64 v[0:1], v3, s[22:23] offset:16
	v_cmpx_eq_u32_e32 0, v2
	s_cbranch_execz .LBB3_984
; %bb.983:
	s_bcnt1_i32_b32 s5, s5
	s_wait_alu 0xfffe
	v_mov_b32_e32 v2, s5
	global_wb scope:SCOPE_SYS
	s_wait_loadcnt 0x0
	global_atomic_add_u64 v[0:1], v[2:3], off offset:8 scope:SCOPE_SYS
.LBB3_984:
	s_or_b32 exec_lo, exec_lo, s4
	s_wait_loadcnt 0x0
	global_load_b64 v[2:3], v[0:1], off offset:16
	s_wait_loadcnt 0x0
	v_cmp_eq_u64_e32 vcc_lo, 0, v[2:3]
	s_cbranch_vccnz .LBB3_986
; %bb.985:
	global_load_b32 v0, v[0:1], off offset:24
	s_wait_loadcnt 0x0
	v_dual_mov_b32 v1, 0 :: v_dual_and_b32 v6, 0xffffff, v0
	global_wb scope:SCOPE_SYS
	s_wait_storecnt 0x0
	global_store_b64 v[2:3], v[0:1], off scope:SCOPE_SYS
	v_readfirstlane_b32 m0, v6
	s_sendmsg sendmsg(MSG_INTERRUPT)
.LBB3_986:
	s_wait_alu 0xfffe
	s_or_b32 exec_lo, exec_lo, s3
	s_branch .LBB3_990
.LBB3_987:                              ;   in Loop: Header=BB3_990 Depth=1
	s_wait_alu 0xfffe
	s_or_b32 exec_lo, exec_lo, s3
	s_delay_alu instid0(VALU_DEP_1) | instskip(NEXT) | instid1(VALU_DEP_1)
	v_readfirstlane_b32 s3, v0
	s_cmp_eq_u32 s3, 0
	s_cbranch_scc1 .LBB3_989
; %bb.988:                              ;   in Loop: Header=BB3_990 Depth=1
	s_sleep 1
	s_cbranch_execnz .LBB3_990
	s_branch .LBB3_992
.LBB3_989:
	s_branch .LBB3_992
.LBB3_990:                              ; =>This Inner Loop Header: Depth=1
	v_mov_b32_e32 v0, 1
	s_and_saveexec_b32 s3, s0
	s_cbranch_execz .LBB3_987
; %bb.991:                              ;   in Loop: Header=BB3_990 Depth=1
	global_load_b32 v0, v[10:11], off offset:20 scope:SCOPE_SYS
	s_wait_loadcnt 0x0
	global_inv scope:SCOPE_SYS
	v_and_b32_e32 v0, 1, v0
	s_branch .LBB3_987
.LBB3_992:
	global_load_b64 v[0:1], v[12:13], off
	s_and_saveexec_b32 s3, s0
	s_cbranch_execz .LBB3_996
; %bb.993:
	v_mov_b32_e32 v10, 0
	s_clause 0x2
	global_load_b64 v[2:3], v10, s[22:23] offset:40
	global_load_b64 v[11:12], v10, s[22:23] offset:24 scope:SCOPE_SYS
	global_load_b64 v[8:9], v10, s[22:23]
	s_wait_loadcnt 0x2
	v_add_co_u32 v13, vcc_lo, v2, 1
	s_wait_alu 0xfffd
	v_add_co_ci_u32_e32 v14, vcc_lo, 0, v3, vcc_lo
	s_delay_alu instid0(VALU_DEP_2) | instskip(SKIP_1) | instid1(VALU_DEP_2)
	v_add_co_u32 v6, vcc_lo, v13, s2
	s_wait_alu 0xfffd
	v_add_co_ci_u32_e32 v7, vcc_lo, s1, v14, vcc_lo
	s_delay_alu instid0(VALU_DEP_1) | instskip(SKIP_2) | instid1(VALU_DEP_1)
	v_cmp_eq_u64_e32 vcc_lo, 0, v[6:7]
	s_wait_alu 0xfffd
	v_dual_cndmask_b32 v7, v7, v14 :: v_dual_cndmask_b32 v6, v6, v13
	v_and_b32_e32 v3, v7, v3
	s_delay_alu instid0(VALU_DEP_2) | instskip(NEXT) | instid1(VALU_DEP_2)
	v_and_b32_e32 v2, v6, v2
	v_mul_lo_u32 v3, 24, v3
	s_delay_alu instid0(VALU_DEP_2) | instskip(SKIP_2) | instid1(VALU_DEP_3)
	v_mul_lo_u32 v13, 0, v2
	v_mul_hi_u32 v14, 24, v2
	v_mul_lo_u32 v2, 24, v2
	v_add_nc_u32_e32 v3, v3, v13
	s_wait_loadcnt 0x0
	s_delay_alu instid0(VALU_DEP_2) | instskip(SKIP_1) | instid1(VALU_DEP_3)
	v_add_co_u32 v2, vcc_lo, v8, v2
	v_mov_b32_e32 v8, v11
	v_add_nc_u32_e32 v3, v3, v14
	s_wait_alu 0xfffd
	s_delay_alu instid0(VALU_DEP_1)
	v_add_co_ci_u32_e32 v3, vcc_lo, v9, v3, vcc_lo
	v_mov_b32_e32 v9, v12
	global_store_b64 v[2:3], v[11:12], off
	global_wb scope:SCOPE_SYS
	s_wait_storecnt 0x0
	global_atomic_cmpswap_b64 v[8:9], v10, v[6:9], s[22:23] offset:24 th:TH_ATOMIC_RETURN scope:SCOPE_SYS
	s_wait_loadcnt 0x0
	v_cmp_ne_u64_e32 vcc_lo, v[8:9], v[11:12]
	s_and_b32 exec_lo, exec_lo, vcc_lo
	s_cbranch_execz .LBB3_996
; %bb.994:
	s_mov_b32 s0, 0
.LBB3_995:                              ; =>This Inner Loop Header: Depth=1
	s_sleep 1
	global_store_b64 v[2:3], v[8:9], off
	global_wb scope:SCOPE_SYS
	s_wait_storecnt 0x0
	global_atomic_cmpswap_b64 v[11:12], v10, v[6:9], s[22:23] offset:24 th:TH_ATOMIC_RETURN scope:SCOPE_SYS
	s_wait_loadcnt 0x0
	v_cmp_eq_u64_e32 vcc_lo, v[11:12], v[8:9]
	v_dual_mov_b32 v8, v11 :: v_dual_mov_b32 v9, v12
	s_wait_alu 0xfffe
	s_or_b32 s0, vcc_lo, s0
	s_wait_alu 0xfffe
	s_and_not1_b32 exec_lo, exec_lo, s0
	s_cbranch_execnz .LBB3_995
.LBB3_996:
	s_wait_alu 0xfffe
	s_or_b32 exec_lo, exec_lo, s3
	s_delay_alu instid0(SALU_CYCLE_1)
	s_and_b32 vcc_lo, exec_lo, s26
	s_wait_alu 0xfffe
	s_cbranch_vccz .LBB3_1075
; %bb.997:
	s_wait_loadcnt 0x0
	v_dual_mov_b32 v10, 0 :: v_dual_and_b32 v33, 2, v0
	v_dual_mov_b32 v7, v1 :: v_dual_and_b32 v6, -3, v0
	v_dual_mov_b32 v11, 2 :: v_dual_mov_b32 v12, 1
	s_mov_b64 s[4:5], 3
	s_getpc_b64 s[2:3]
	s_wait_alu 0xfffe
	s_sext_i32_i16 s3, s3
	s_add_co_u32 s2, s2, .str.8@rel32@lo+12
	s_wait_alu 0xfffe
	s_add_co_ci_u32 s3, s3, .str.8@rel32@hi+24
	s_branch .LBB3_999
.LBB3_998:                              ;   in Loop: Header=BB3_999 Depth=1
	s_wait_alu 0xfffe
	s_or_b32 exec_lo, exec_lo, s11
	s_sub_nc_u64 s[4:5], s[4:5], s[6:7]
	s_add_nc_u64 s[2:3], s[2:3], s[6:7]
	s_wait_alu 0xfffe
	s_cmp_lg_u64 s[4:5], 0
	s_cbranch_scc0 .LBB3_1074
.LBB3_999:                              ; =>This Loop Header: Depth=1
                                        ;     Child Loop BB3_1008 Depth 2
                                        ;     Child Loop BB3_1004 Depth 2
	;; [unrolled: 1-line block ×11, first 2 shown]
	v_cmp_lt_u64_e64 s0, s[4:5], 56
	v_cmp_gt_u64_e64 s1, s[4:5], 7
                                        ; implicit-def: $vgpr15_vgpr16
                                        ; implicit-def: $sgpr18
	s_delay_alu instid0(VALU_DEP_2) | instskip(SKIP_2) | instid1(VALU_DEP_1)
	s_and_b32 s0, s0, exec_lo
	s_cselect_b32 s7, s5, 0
	s_cselect_b32 s6, s4, 56
	s_and_b32 vcc_lo, exec_lo, s1
	s_mov_b32 s0, -1
	s_wait_alu 0xfffe
	s_cbranch_vccz .LBB3_1006
; %bb.1000:                             ;   in Loop: Header=BB3_999 Depth=1
	s_and_not1_b32 vcc_lo, exec_lo, s0
	s_mov_b64 s[0:1], s[2:3]
	s_wait_alu 0xfffe
	s_cbranch_vccz .LBB3_1010
.LBB3_1001:                             ;   in Loop: Header=BB3_999 Depth=1
	s_wait_alu 0xfffe
	s_cmp_gt_u32 s18, 7
	s_cbranch_scc1 .LBB3_1011
.LBB3_1002:                             ;   in Loop: Header=BB3_999 Depth=1
	v_mov_b32_e32 v17, 0
	v_mov_b32_e32 v18, 0
	s_cmp_eq_u32 s18, 0
	s_cbranch_scc1 .LBB3_1005
; %bb.1003:                             ;   in Loop: Header=BB3_999 Depth=1
	s_mov_b64 s[10:11], 0
	s_mov_b64 s[16:17], 0
.LBB3_1004:                             ;   Parent Loop BB3_999 Depth=1
                                        ; =>  This Inner Loop Header: Depth=2
	s_wait_alu 0xfffe
	s_add_nc_u64 s[20:21], s[0:1], s[16:17]
	s_add_nc_u64 s[16:17], s[16:17], 1
	global_load_u8 v2, v10, s[20:21]
	s_wait_alu 0xfffe
	s_cmp_lg_u32 s18, s16
	s_wait_loadcnt 0x0
	v_and_b32_e32 v9, 0xffff, v2
	s_delay_alu instid0(VALU_DEP_1) | instskip(SKIP_1) | instid1(VALU_DEP_1)
	v_lshlrev_b64_e32 v[2:3], s10, v[9:10]
	s_add_nc_u64 s[10:11], s[10:11], 8
	v_or_b32_e32 v17, v2, v17
	s_delay_alu instid0(VALU_DEP_2)
	v_or_b32_e32 v18, v3, v18
	s_cbranch_scc1 .LBB3_1004
.LBB3_1005:                             ;   in Loop: Header=BB3_999 Depth=1
	s_mov_b32 s19, 0
	s_cbranch_execz .LBB3_1012
	s_branch .LBB3_1013
.LBB3_1006:                             ;   in Loop: Header=BB3_999 Depth=1
	v_mov_b32_e32 v15, 0
	v_mov_b32_e32 v16, 0
	s_cmp_eq_u64 s[4:5], 0
	s_mov_b64 s[0:1], 0
	s_cbranch_scc1 .LBB3_1009
; %bb.1007:                             ;   in Loop: Header=BB3_999 Depth=1
	v_mov_b32_e32 v15, 0
	v_mov_b32_e32 v16, 0
	s_mov_b64 s[10:11], 0
.LBB3_1008:                             ;   Parent Loop BB3_999 Depth=1
                                        ; =>  This Inner Loop Header: Depth=2
	s_wait_alu 0xfffe
	s_add_nc_u64 s[16:17], s[2:3], s[10:11]
	s_add_nc_u64 s[10:11], s[10:11], 1
	global_load_u8 v2, v10, s[16:17]
	s_wait_alu 0xfffe
	s_cmp_lg_u32 s6, s10
	s_wait_loadcnt 0x0
	v_and_b32_e32 v9, 0xffff, v2
	s_delay_alu instid0(VALU_DEP_1) | instskip(SKIP_1) | instid1(VALU_DEP_1)
	v_lshlrev_b64_e32 v[2:3], s0, v[9:10]
	s_add_nc_u64 s[0:1], s[0:1], 8
	v_or_b32_e32 v15, v2, v15
	s_delay_alu instid0(VALU_DEP_2)
	v_or_b32_e32 v16, v3, v16
	s_cbranch_scc1 .LBB3_1008
.LBB3_1009:                             ;   in Loop: Header=BB3_999 Depth=1
	s_mov_b32 s18, 0
	s_mov_b64 s[0:1], s[2:3]
	s_cbranch_execnz .LBB3_1001
.LBB3_1010:                             ;   in Loop: Header=BB3_999 Depth=1
	global_load_b64 v[15:16], v10, s[2:3]
	s_add_co_i32 s18, s6, -8
	s_add_nc_u64 s[0:1], s[2:3], 8
	s_wait_alu 0xfffe
	s_cmp_gt_u32 s18, 7
	s_cbranch_scc0 .LBB3_1002
.LBB3_1011:                             ;   in Loop: Header=BB3_999 Depth=1
                                        ; implicit-def: $vgpr17_vgpr18
                                        ; implicit-def: $sgpr19
.LBB3_1012:                             ;   in Loop: Header=BB3_999 Depth=1
	global_load_b64 v[17:18], v10, s[0:1]
	s_add_co_i32 s19, s18, -8
	s_add_nc_u64 s[0:1], s[0:1], 8
.LBB3_1013:                             ;   in Loop: Header=BB3_999 Depth=1
	s_wait_alu 0xfffe
	s_cmp_gt_u32 s19, 7
	s_cbranch_scc1 .LBB3_1018
; %bb.1014:                             ;   in Loop: Header=BB3_999 Depth=1
	v_mov_b32_e32 v19, 0
	v_mov_b32_e32 v20, 0
	s_cmp_eq_u32 s19, 0
	s_cbranch_scc1 .LBB3_1017
; %bb.1015:                             ;   in Loop: Header=BB3_999 Depth=1
	s_mov_b64 s[10:11], 0
	s_mov_b64 s[16:17], 0
.LBB3_1016:                             ;   Parent Loop BB3_999 Depth=1
                                        ; =>  This Inner Loop Header: Depth=2
	s_wait_alu 0xfffe
	s_add_nc_u64 s[20:21], s[0:1], s[16:17]
	s_add_nc_u64 s[16:17], s[16:17], 1
	global_load_u8 v2, v10, s[20:21]
	s_wait_alu 0xfffe
	s_cmp_lg_u32 s19, s16
	s_wait_loadcnt 0x0
	v_and_b32_e32 v9, 0xffff, v2
	s_delay_alu instid0(VALU_DEP_1) | instskip(SKIP_1) | instid1(VALU_DEP_1)
	v_lshlrev_b64_e32 v[2:3], s10, v[9:10]
	s_add_nc_u64 s[10:11], s[10:11], 8
	v_or_b32_e32 v19, v2, v19
	s_delay_alu instid0(VALU_DEP_2)
	v_or_b32_e32 v20, v3, v20
	s_cbranch_scc1 .LBB3_1016
.LBB3_1017:                             ;   in Loop: Header=BB3_999 Depth=1
	s_mov_b32 s18, 0
	s_cbranch_execz .LBB3_1019
	s_branch .LBB3_1020
.LBB3_1018:                             ;   in Loop: Header=BB3_999 Depth=1
                                        ; implicit-def: $sgpr18
.LBB3_1019:                             ;   in Loop: Header=BB3_999 Depth=1
	global_load_b64 v[19:20], v10, s[0:1]
	s_add_co_i32 s18, s19, -8
	s_add_nc_u64 s[0:1], s[0:1], 8
.LBB3_1020:                             ;   in Loop: Header=BB3_999 Depth=1
	s_wait_alu 0xfffe
	s_cmp_gt_u32 s18, 7
	s_cbranch_scc1 .LBB3_1025
; %bb.1021:                             ;   in Loop: Header=BB3_999 Depth=1
	v_mov_b32_e32 v21, 0
	v_mov_b32_e32 v22, 0
	s_cmp_eq_u32 s18, 0
	s_cbranch_scc1 .LBB3_1024
; %bb.1022:                             ;   in Loop: Header=BB3_999 Depth=1
	s_mov_b64 s[10:11], 0
	s_mov_b64 s[16:17], 0
.LBB3_1023:                             ;   Parent Loop BB3_999 Depth=1
                                        ; =>  This Inner Loop Header: Depth=2
	s_wait_alu 0xfffe
	s_add_nc_u64 s[20:21], s[0:1], s[16:17]
	s_add_nc_u64 s[16:17], s[16:17], 1
	global_load_u8 v2, v10, s[20:21]
	s_wait_alu 0xfffe
	s_cmp_lg_u32 s18, s16
	s_wait_loadcnt 0x0
	v_and_b32_e32 v9, 0xffff, v2
	s_delay_alu instid0(VALU_DEP_1) | instskip(SKIP_1) | instid1(VALU_DEP_1)
	v_lshlrev_b64_e32 v[2:3], s10, v[9:10]
	s_add_nc_u64 s[10:11], s[10:11], 8
	v_or_b32_e32 v21, v2, v21
	s_delay_alu instid0(VALU_DEP_2)
	v_or_b32_e32 v22, v3, v22
	s_cbranch_scc1 .LBB3_1023
.LBB3_1024:                             ;   in Loop: Header=BB3_999 Depth=1
	s_mov_b32 s19, 0
	s_cbranch_execz .LBB3_1026
	s_branch .LBB3_1027
.LBB3_1025:                             ;   in Loop: Header=BB3_999 Depth=1
                                        ; implicit-def: $vgpr21_vgpr22
                                        ; implicit-def: $sgpr19
.LBB3_1026:                             ;   in Loop: Header=BB3_999 Depth=1
	global_load_b64 v[21:22], v10, s[0:1]
	s_add_co_i32 s19, s18, -8
	s_add_nc_u64 s[0:1], s[0:1], 8
.LBB3_1027:                             ;   in Loop: Header=BB3_999 Depth=1
	s_wait_alu 0xfffe
	s_cmp_gt_u32 s19, 7
	s_cbranch_scc1 .LBB3_1032
; %bb.1028:                             ;   in Loop: Header=BB3_999 Depth=1
	v_mov_b32_e32 v23, 0
	v_mov_b32_e32 v24, 0
	s_cmp_eq_u32 s19, 0
	s_cbranch_scc1 .LBB3_1031
; %bb.1029:                             ;   in Loop: Header=BB3_999 Depth=1
	s_mov_b64 s[10:11], 0
	s_mov_b64 s[16:17], 0
.LBB3_1030:                             ;   Parent Loop BB3_999 Depth=1
                                        ; =>  This Inner Loop Header: Depth=2
	s_wait_alu 0xfffe
	s_add_nc_u64 s[20:21], s[0:1], s[16:17]
	s_add_nc_u64 s[16:17], s[16:17], 1
	global_load_u8 v2, v10, s[20:21]
	s_wait_alu 0xfffe
	s_cmp_lg_u32 s19, s16
	s_wait_loadcnt 0x0
	v_and_b32_e32 v9, 0xffff, v2
	s_delay_alu instid0(VALU_DEP_1) | instskip(SKIP_1) | instid1(VALU_DEP_1)
	v_lshlrev_b64_e32 v[2:3], s10, v[9:10]
	s_add_nc_u64 s[10:11], s[10:11], 8
	v_or_b32_e32 v23, v2, v23
	s_delay_alu instid0(VALU_DEP_2)
	v_or_b32_e32 v24, v3, v24
	s_cbranch_scc1 .LBB3_1030
.LBB3_1031:                             ;   in Loop: Header=BB3_999 Depth=1
	s_mov_b32 s18, 0
	s_cbranch_execz .LBB3_1033
	s_branch .LBB3_1034
.LBB3_1032:                             ;   in Loop: Header=BB3_999 Depth=1
                                        ; implicit-def: $sgpr18
.LBB3_1033:                             ;   in Loop: Header=BB3_999 Depth=1
	global_load_b64 v[23:24], v10, s[0:1]
	s_add_co_i32 s18, s19, -8
	s_add_nc_u64 s[0:1], s[0:1], 8
.LBB3_1034:                             ;   in Loop: Header=BB3_999 Depth=1
	s_wait_alu 0xfffe
	s_cmp_gt_u32 s18, 7
	s_cbranch_scc1 .LBB3_1039
; %bb.1035:                             ;   in Loop: Header=BB3_999 Depth=1
	v_mov_b32_e32 v25, 0
	v_mov_b32_e32 v26, 0
	s_cmp_eq_u32 s18, 0
	s_cbranch_scc1 .LBB3_1038
; %bb.1036:                             ;   in Loop: Header=BB3_999 Depth=1
	s_mov_b64 s[10:11], 0
	s_mov_b64 s[16:17], 0
.LBB3_1037:                             ;   Parent Loop BB3_999 Depth=1
                                        ; =>  This Inner Loop Header: Depth=2
	s_wait_alu 0xfffe
	s_add_nc_u64 s[20:21], s[0:1], s[16:17]
	s_add_nc_u64 s[16:17], s[16:17], 1
	global_load_u8 v2, v10, s[20:21]
	s_wait_alu 0xfffe
	s_cmp_lg_u32 s18, s16
	s_wait_loadcnt 0x0
	v_and_b32_e32 v9, 0xffff, v2
	s_delay_alu instid0(VALU_DEP_1) | instskip(SKIP_1) | instid1(VALU_DEP_1)
	v_lshlrev_b64_e32 v[2:3], s10, v[9:10]
	s_add_nc_u64 s[10:11], s[10:11], 8
	v_or_b32_e32 v25, v2, v25
	s_delay_alu instid0(VALU_DEP_2)
	v_or_b32_e32 v26, v3, v26
	s_cbranch_scc1 .LBB3_1037
.LBB3_1038:                             ;   in Loop: Header=BB3_999 Depth=1
	s_mov_b32 s19, 0
	s_cbranch_execz .LBB3_1040
	s_branch .LBB3_1041
.LBB3_1039:                             ;   in Loop: Header=BB3_999 Depth=1
                                        ; implicit-def: $vgpr25_vgpr26
                                        ; implicit-def: $sgpr19
.LBB3_1040:                             ;   in Loop: Header=BB3_999 Depth=1
	global_load_b64 v[25:26], v10, s[0:1]
	s_add_co_i32 s19, s18, -8
	s_add_nc_u64 s[0:1], s[0:1], 8
.LBB3_1041:                             ;   in Loop: Header=BB3_999 Depth=1
	s_wait_alu 0xfffe
	s_cmp_gt_u32 s19, 7
	s_cbranch_scc1 .LBB3_1046
; %bb.1042:                             ;   in Loop: Header=BB3_999 Depth=1
	v_mov_b32_e32 v27, 0
	v_mov_b32_e32 v28, 0
	s_cmp_eq_u32 s19, 0
	s_cbranch_scc1 .LBB3_1045
; %bb.1043:                             ;   in Loop: Header=BB3_999 Depth=1
	s_mov_b64 s[10:11], 0
	s_mov_b64 s[16:17], s[0:1]
.LBB3_1044:                             ;   Parent Loop BB3_999 Depth=1
                                        ; =>  This Inner Loop Header: Depth=2
	global_load_u8 v2, v10, s[16:17]
	s_add_co_i32 s19, s19, -1
	s_wait_alu 0xfffe
	s_add_nc_u64 s[16:17], s[16:17], 1
	s_cmp_lg_u32 s19, 0
	s_wait_loadcnt 0x0
	v_and_b32_e32 v9, 0xffff, v2
	s_delay_alu instid0(VALU_DEP_1) | instskip(SKIP_1) | instid1(VALU_DEP_1)
	v_lshlrev_b64_e32 v[2:3], s10, v[9:10]
	s_add_nc_u64 s[10:11], s[10:11], 8
	v_or_b32_e32 v27, v2, v27
	s_delay_alu instid0(VALU_DEP_2)
	v_or_b32_e32 v28, v3, v28
	s_cbranch_scc1 .LBB3_1044
.LBB3_1045:                             ;   in Loop: Header=BB3_999 Depth=1
	s_cbranch_execz .LBB3_1047
	s_branch .LBB3_1048
.LBB3_1046:                             ;   in Loop: Header=BB3_999 Depth=1
.LBB3_1047:                             ;   in Loop: Header=BB3_999 Depth=1
	global_load_b64 v[27:28], v10, s[0:1]
.LBB3_1048:                             ;   in Loop: Header=BB3_999 Depth=1
	v_readfirstlane_b32 s0, v50
	v_mov_b32_e32 v2, 0
	v_mov_b32_e32 v3, 0
	s_wait_alu 0xf1ff
	s_delay_alu instid0(VALU_DEP_3) | instskip(NEXT) | instid1(VALU_DEP_1)
	v_cmp_eq_u32_e64 s0, s0, v50
	s_and_saveexec_b32 s1, s0
	s_cbranch_execz .LBB3_1054
; %bb.1049:                             ;   in Loop: Header=BB3_999 Depth=1
	global_load_b64 v[31:32], v10, s[22:23] offset:24 scope:SCOPE_SYS
	s_wait_loadcnt 0x0
	global_inv scope:SCOPE_SYS
	s_clause 0x1
	global_load_b64 v[2:3], v10, s[22:23] offset:40
	global_load_b64 v[8:9], v10, s[22:23]
	s_mov_b32 s10, exec_lo
	s_wait_loadcnt 0x1
	v_and_b32_e32 v3, v3, v32
	v_and_b32_e32 v2, v2, v31
	s_delay_alu instid0(VALU_DEP_2) | instskip(NEXT) | instid1(VALU_DEP_2)
	v_mul_lo_u32 v3, 24, v3
	v_mul_lo_u32 v13, 0, v2
	v_mul_hi_u32 v14, 24, v2
	v_mul_lo_u32 v2, 24, v2
	s_delay_alu instid0(VALU_DEP_3) | instskip(SKIP_1) | instid1(VALU_DEP_2)
	v_add_nc_u32_e32 v3, v3, v13
	s_wait_loadcnt 0x0
	v_add_co_u32 v2, vcc_lo, v8, v2
	s_delay_alu instid0(VALU_DEP_2) | instskip(SKIP_1) | instid1(VALU_DEP_1)
	v_add_nc_u32_e32 v3, v3, v14
	s_wait_alu 0xfffd
	v_add_co_ci_u32_e32 v3, vcc_lo, v9, v3, vcc_lo
	global_load_b64 v[29:30], v[2:3], off scope:SCOPE_SYS
	s_wait_loadcnt 0x0
	global_atomic_cmpswap_b64 v[2:3], v10, v[29:32], s[22:23] offset:24 th:TH_ATOMIC_RETURN scope:SCOPE_SYS
	s_wait_loadcnt 0x0
	global_inv scope:SCOPE_SYS
	v_cmpx_ne_u64_e64 v[2:3], v[31:32]
	s_cbranch_execz .LBB3_1053
; %bb.1050:                             ;   in Loop: Header=BB3_999 Depth=1
	s_mov_b32 s11, 0
.LBB3_1051:                             ;   Parent Loop BB3_999 Depth=1
                                        ; =>  This Inner Loop Header: Depth=2
	s_sleep 1
	s_clause 0x1
	global_load_b64 v[8:9], v10, s[22:23] offset:40
	global_load_b64 v[13:14], v10, s[22:23]
	v_dual_mov_b32 v32, v3 :: v_dual_mov_b32 v31, v2
	s_wait_loadcnt 0x1
	s_delay_alu instid0(VALU_DEP_1) | instskip(NEXT) | instid1(VALU_DEP_2)
	v_and_b32_e32 v2, v8, v31
	v_and_b32_e32 v8, v9, v32
	s_wait_loadcnt 0x0
	s_delay_alu instid0(VALU_DEP_2) | instskip(NEXT) | instid1(VALU_DEP_1)
	v_mad_co_u64_u32 v[2:3], null, v2, 24, v[13:14]
	v_mad_co_u64_u32 v[8:9], null, v8, 24, v[3:4]
	s_delay_alu instid0(VALU_DEP_1)
	v_mov_b32_e32 v3, v8
	global_load_b64 v[29:30], v[2:3], off scope:SCOPE_SYS
	s_wait_loadcnt 0x0
	global_atomic_cmpswap_b64 v[2:3], v10, v[29:32], s[22:23] offset:24 th:TH_ATOMIC_RETURN scope:SCOPE_SYS
	s_wait_loadcnt 0x0
	global_inv scope:SCOPE_SYS
	v_cmp_eq_u64_e32 vcc_lo, v[2:3], v[31:32]
	s_wait_alu 0xfffe
	s_or_b32 s11, vcc_lo, s11
	s_wait_alu 0xfffe
	s_and_not1_b32 exec_lo, exec_lo, s11
	s_cbranch_execnz .LBB3_1051
; %bb.1052:                             ;   in Loop: Header=BB3_999 Depth=1
	s_or_b32 exec_lo, exec_lo, s11
.LBB3_1053:                             ;   in Loop: Header=BB3_999 Depth=1
	s_wait_alu 0xfffe
	s_or_b32 exec_lo, exec_lo, s10
.LBB3_1054:                             ;   in Loop: Header=BB3_999 Depth=1
	s_wait_alu 0xfffe
	s_or_b32 exec_lo, exec_lo, s1
	s_clause 0x1
	global_load_b64 v[8:9], v10, s[22:23] offset:40
	global_load_b128 v[29:32], v10, s[22:23]
	v_readfirstlane_b32 s1, v3
	v_readfirstlane_b32 s10, v2
	s_mov_b32 s11, exec_lo
	s_wait_loadcnt 0x1
	s_wait_alu 0xf1ff
	v_and_b32_e32 v14, s1, v9
	v_and_b32_e32 v13, s10, v8
	s_delay_alu instid0(VALU_DEP_2) | instskip(NEXT) | instid1(VALU_DEP_2)
	v_mul_lo_u32 v2, 24, v14
	v_mul_lo_u32 v3, 0, v13
	v_mul_hi_u32 v8, 24, v13
	v_mul_lo_u32 v9, 24, v13
	s_delay_alu instid0(VALU_DEP_3) | instskip(NEXT) | instid1(VALU_DEP_1)
	v_add_nc_u32_e32 v2, v2, v3
	v_add_nc_u32_e32 v3, v2, v8
	s_wait_loadcnt 0x0
	s_delay_alu instid0(VALU_DEP_3) | instskip(SKIP_1) | instid1(VALU_DEP_2)
	v_add_co_u32 v2, vcc_lo, v29, v9
	s_wait_alu 0xfffd
	v_add_co_ci_u32_e32 v3, vcc_lo, v30, v3, vcc_lo
	s_and_saveexec_b32 s16, s0
	s_cbranch_execz .LBB3_1056
; %bb.1055:                             ;   in Loop: Header=BB3_999 Depth=1
	s_wait_alu 0xfffe
	v_mov_b32_e32 v9, s11
	global_store_b128 v[2:3], v[9:12], off offset:8
.LBB3_1056:                             ;   in Loop: Header=BB3_999 Depth=1
	s_wait_alu 0xfffe
	s_or_b32 exec_lo, exec_lo, s16
	v_cmp_gt_u64_e64 vcc_lo, s[4:5], 56
	v_lshlrev_b64_e32 v[8:9], 12, v[13:14]
	v_or_b32_e32 v34, 0, v7
	v_or_b32_e32 v35, v6, v33
	s_lshl_b32 s11, s6, 2
	s_wait_alu 0xfffe
	s_add_co_i32 s11, s11, 28
	s_wait_alu 0xfffd
	v_cndmask_b32_e32 v14, v34, v7, vcc_lo
	v_cndmask_b32_e32 v6, v35, v6, vcc_lo
	v_add_co_u32 v31, vcc_lo, v31, v8
	s_wait_alu 0xfffd
	v_add_co_ci_u32_e32 v32, vcc_lo, v32, v9, vcc_lo
	s_wait_alu 0xfffe
	s_and_b32 s11, s11, 0x1e0
	v_readfirstlane_b32 s16, v31
	s_wait_alu 0xfffe
	v_and_or_b32 v13, 0xffffff1f, v6, s11
	v_readfirstlane_b32 s17, v32
	s_clause 0x3
	global_store_b128 v39, v[13:16], s[16:17]
	global_store_b128 v39, v[17:20], s[16:17] offset:16
	global_store_b128 v39, v[21:24], s[16:17] offset:32
	;; [unrolled: 1-line block ×3, first 2 shown]
	s_and_saveexec_b32 s11, s0
	s_cbranch_execz .LBB3_1064
; %bb.1057:                             ;   in Loop: Header=BB3_999 Depth=1
	s_clause 0x1
	global_load_b64 v[17:18], v10, s[22:23] offset:32 scope:SCOPE_SYS
	global_load_b64 v[6:7], v10, s[22:23] offset:40
	s_mov_b32 s16, exec_lo
	v_dual_mov_b32 v15, s10 :: v_dual_mov_b32 v16, s1
	s_wait_loadcnt 0x0
	v_and_b32_e32 v7, s1, v7
	v_and_b32_e32 v6, s10, v6
	s_delay_alu instid0(VALU_DEP_2) | instskip(NEXT) | instid1(VALU_DEP_2)
	v_mul_lo_u32 v7, 24, v7
	v_mul_lo_u32 v8, 0, v6
	v_mul_hi_u32 v9, 24, v6
	v_mul_lo_u32 v6, 24, v6
	s_delay_alu instid0(VALU_DEP_3) | instskip(NEXT) | instid1(VALU_DEP_2)
	v_add_nc_u32_e32 v7, v7, v8
	v_add_co_u32 v13, vcc_lo, v29, v6
	s_delay_alu instid0(VALU_DEP_2) | instskip(SKIP_1) | instid1(VALU_DEP_1)
	v_add_nc_u32_e32 v7, v7, v9
	s_wait_alu 0xfffd
	v_add_co_ci_u32_e32 v14, vcc_lo, v30, v7, vcc_lo
	global_store_b64 v[13:14], v[17:18], off
	global_wb scope:SCOPE_SYS
	s_wait_storecnt 0x0
	global_atomic_cmpswap_b64 v[8:9], v10, v[15:18], s[22:23] offset:32 th:TH_ATOMIC_RETURN scope:SCOPE_SYS
	s_wait_loadcnt 0x0
	v_cmpx_ne_u64_e64 v[8:9], v[17:18]
	s_cbranch_execz .LBB3_1060
; %bb.1058:                             ;   in Loop: Header=BB3_999 Depth=1
	s_mov_b32 s17, 0
.LBB3_1059:                             ;   Parent Loop BB3_999 Depth=1
                                        ; =>  This Inner Loop Header: Depth=2
	v_dual_mov_b32 v6, s10 :: v_dual_mov_b32 v7, s1
	s_sleep 1
	global_store_b64 v[13:14], v[8:9], off
	global_wb scope:SCOPE_SYS
	s_wait_storecnt 0x0
	global_atomic_cmpswap_b64 v[6:7], v10, v[6:9], s[22:23] offset:32 th:TH_ATOMIC_RETURN scope:SCOPE_SYS
	s_wait_loadcnt 0x0
	v_cmp_eq_u64_e32 vcc_lo, v[6:7], v[8:9]
	v_dual_mov_b32 v9, v7 :: v_dual_mov_b32 v8, v6
	s_wait_alu 0xfffe
	s_or_b32 s17, vcc_lo, s17
	s_wait_alu 0xfffe
	s_and_not1_b32 exec_lo, exec_lo, s17
	s_cbranch_execnz .LBB3_1059
.LBB3_1060:                             ;   in Loop: Header=BB3_999 Depth=1
	s_wait_alu 0xfffe
	s_or_b32 exec_lo, exec_lo, s16
	global_load_b64 v[6:7], v10, s[22:23] offset:16
	s_mov_b32 s17, exec_lo
	s_mov_b32 s16, exec_lo
	s_wait_alu 0xfffe
	v_mbcnt_lo_u32_b32 v8, s17, 0
	s_delay_alu instid0(VALU_DEP_1)
	v_cmpx_eq_u32_e32 0, v8
	s_cbranch_execz .LBB3_1062
; %bb.1061:                             ;   in Loop: Header=BB3_999 Depth=1
	s_bcnt1_i32_b32 s17, s17
	s_wait_alu 0xfffe
	v_mov_b32_e32 v9, s17
	global_wb scope:SCOPE_SYS
	s_wait_loadcnt 0x0
	global_atomic_add_u64 v[6:7], v[9:10], off offset:8 scope:SCOPE_SYS
.LBB3_1062:                             ;   in Loop: Header=BB3_999 Depth=1
	s_or_b32 exec_lo, exec_lo, s16
	s_wait_loadcnt 0x0
	global_load_b64 v[13:14], v[6:7], off offset:16
	s_wait_loadcnt 0x0
	v_cmp_eq_u64_e32 vcc_lo, 0, v[13:14]
	s_cbranch_vccnz .LBB3_1064
; %bb.1063:                             ;   in Loop: Header=BB3_999 Depth=1
	global_load_b32 v9, v[6:7], off offset:24
	s_wait_loadcnt 0x0
	v_and_b32_e32 v6, 0xffffff, v9
	global_wb scope:SCOPE_SYS
	s_wait_storecnt 0x0
	global_store_b64 v[13:14], v[9:10], off scope:SCOPE_SYS
	v_readfirstlane_b32 m0, v6
	s_sendmsg sendmsg(MSG_INTERRUPT)
.LBB3_1064:                             ;   in Loop: Header=BB3_999 Depth=1
	s_wait_alu 0xfffe
	s_or_b32 exec_lo, exec_lo, s11
	v_add_co_u32 v6, vcc_lo, v31, v39
	s_wait_alu 0xfffd
	v_add_co_ci_u32_e32 v7, vcc_lo, 0, v32, vcc_lo
	s_branch .LBB3_1068
.LBB3_1065:                             ;   in Loop: Header=BB3_1068 Depth=2
	s_wait_alu 0xfffe
	s_or_b32 exec_lo, exec_lo, s11
	s_delay_alu instid0(VALU_DEP_1) | instskip(NEXT) | instid1(VALU_DEP_1)
	v_readfirstlane_b32 s11, v8
	s_cmp_eq_u32 s11, 0
	s_cbranch_scc1 .LBB3_1067
; %bb.1066:                             ;   in Loop: Header=BB3_1068 Depth=2
	s_sleep 1
	s_cbranch_execnz .LBB3_1068
	s_branch .LBB3_1070
.LBB3_1067:                             ;   in Loop: Header=BB3_999 Depth=1
	s_branch .LBB3_1070
.LBB3_1068:                             ;   Parent Loop BB3_999 Depth=1
                                        ; =>  This Inner Loop Header: Depth=2
	v_mov_b32_e32 v8, 1
	s_and_saveexec_b32 s11, s0
	s_cbranch_execz .LBB3_1065
; %bb.1069:                             ;   in Loop: Header=BB3_1068 Depth=2
	global_load_b32 v8, v[2:3], off offset:20 scope:SCOPE_SYS
	s_wait_loadcnt 0x0
	global_inv scope:SCOPE_SYS
	v_and_b32_e32 v8, 1, v8
	s_branch .LBB3_1065
.LBB3_1070:                             ;   in Loop: Header=BB3_999 Depth=1
	global_load_b128 v[6:9], v[6:7], off
	s_and_saveexec_b32 s11, s0
	s_cbranch_execz .LBB3_998
; %bb.1071:                             ;   in Loop: Header=BB3_999 Depth=1
	s_clause 0x2
	global_load_b64 v[2:3], v10, s[22:23] offset:40
	global_load_b64 v[8:9], v10, s[22:23] offset:24 scope:SCOPE_SYS
	global_load_b64 v[15:16], v10, s[22:23]
	s_wait_loadcnt 0x2
	v_add_co_u32 v17, vcc_lo, v2, 1
	s_wait_alu 0xfffd
	v_add_co_ci_u32_e32 v18, vcc_lo, 0, v3, vcc_lo
	s_delay_alu instid0(VALU_DEP_2) | instskip(SKIP_1) | instid1(VALU_DEP_2)
	v_add_co_u32 v13, vcc_lo, v17, s10
	s_wait_alu 0xfffd
	v_add_co_ci_u32_e32 v14, vcc_lo, s1, v18, vcc_lo
	s_delay_alu instid0(VALU_DEP_1) | instskip(SKIP_2) | instid1(VALU_DEP_1)
	v_cmp_eq_u64_e32 vcc_lo, 0, v[13:14]
	s_wait_alu 0xfffd
	v_dual_cndmask_b32 v14, v14, v18 :: v_dual_cndmask_b32 v13, v13, v17
	v_and_b32_e32 v3, v14, v3
	s_delay_alu instid0(VALU_DEP_2) | instskip(NEXT) | instid1(VALU_DEP_2)
	v_and_b32_e32 v2, v13, v2
	v_mul_lo_u32 v3, 24, v3
	s_delay_alu instid0(VALU_DEP_2) | instskip(SKIP_2) | instid1(VALU_DEP_3)
	v_mul_lo_u32 v17, 0, v2
	v_mul_hi_u32 v18, 24, v2
	v_mul_lo_u32 v2, 24, v2
	v_add_nc_u32_e32 v3, v3, v17
	s_wait_loadcnt 0x0
	s_delay_alu instid0(VALU_DEP_2) | instskip(SKIP_1) | instid1(VALU_DEP_3)
	v_add_co_u32 v2, vcc_lo, v15, v2
	v_mov_b32_e32 v15, v8
	v_add_nc_u32_e32 v3, v3, v18
	s_wait_alu 0xfffd
	s_delay_alu instid0(VALU_DEP_1)
	v_add_co_ci_u32_e32 v3, vcc_lo, v16, v3, vcc_lo
	v_mov_b32_e32 v16, v9
	global_store_b64 v[2:3], v[8:9], off
	global_wb scope:SCOPE_SYS
	s_wait_storecnt 0x0
	global_atomic_cmpswap_b64 v[15:16], v10, v[13:16], s[22:23] offset:24 th:TH_ATOMIC_RETURN scope:SCOPE_SYS
	s_wait_loadcnt 0x0
	v_cmp_ne_u64_e32 vcc_lo, v[15:16], v[8:9]
	s_and_b32 exec_lo, exec_lo, vcc_lo
	s_cbranch_execz .LBB3_998
; %bb.1072:                             ;   in Loop: Header=BB3_999 Depth=1
	s_mov_b32 s0, 0
.LBB3_1073:                             ;   Parent Loop BB3_999 Depth=1
                                        ; =>  This Inner Loop Header: Depth=2
	s_sleep 1
	global_store_b64 v[2:3], v[15:16], off
	global_wb scope:SCOPE_SYS
	s_wait_storecnt 0x0
	global_atomic_cmpswap_b64 v[8:9], v10, v[13:16], s[22:23] offset:24 th:TH_ATOMIC_RETURN scope:SCOPE_SYS
	s_wait_loadcnt 0x0
	v_cmp_eq_u64_e32 vcc_lo, v[8:9], v[15:16]
	v_dual_mov_b32 v16, v9 :: v_dual_mov_b32 v15, v8
	s_wait_alu 0xfffe
	s_or_b32 s0, vcc_lo, s0
	s_wait_alu 0xfffe
	s_and_not1_b32 exec_lo, exec_lo, s0
	s_cbranch_execnz .LBB3_1073
	s_branch .LBB3_998
.LBB3_1074:
	s_branch .LBB3_1103
.LBB3_1075:
                                        ; implicit-def: $vgpr6_vgpr7
	s_cbranch_execz .LBB3_1103
; %bb.1076:
	v_readfirstlane_b32 s0, v50
	v_mov_b32_e32 v10, 0
	v_mov_b32_e32 v11, 0
	s_wait_alu 0xf1ff
	s_delay_alu instid0(VALU_DEP_3) | instskip(NEXT) | instid1(VALU_DEP_1)
	v_cmp_eq_u32_e64 s0, s0, v50
	s_and_saveexec_b32 s1, s0
	s_cbranch_execz .LBB3_1082
; %bb.1077:
	v_mov_b32_e32 v2, 0
	s_mov_b32 s2, exec_lo
	global_load_b64 v[8:9], v2, s[22:23] offset:24 scope:SCOPE_SYS
	s_wait_loadcnt 0x0
	global_inv scope:SCOPE_SYS
	s_clause 0x1
	global_load_b64 v[6:7], v2, s[22:23] offset:40
	global_load_b64 v[10:11], v2, s[22:23]
	s_wait_loadcnt 0x1
	v_and_b32_e32 v3, v7, v9
	v_and_b32_e32 v6, v6, v8
	s_delay_alu instid0(VALU_DEP_2) | instskip(NEXT) | instid1(VALU_DEP_2)
	v_mul_lo_u32 v3, 24, v3
	v_mul_lo_u32 v7, 0, v6
	v_mul_hi_u32 v12, 24, v6
	v_mul_lo_u32 v6, 24, v6
	s_delay_alu instid0(VALU_DEP_3) | instskip(SKIP_1) | instid1(VALU_DEP_2)
	v_add_nc_u32_e32 v3, v3, v7
	s_wait_loadcnt 0x0
	v_add_co_u32 v6, vcc_lo, v10, v6
	s_delay_alu instid0(VALU_DEP_2) | instskip(SKIP_1) | instid1(VALU_DEP_1)
	v_add_nc_u32_e32 v3, v3, v12
	s_wait_alu 0xfffd
	v_add_co_ci_u32_e32 v7, vcc_lo, v11, v3, vcc_lo
	global_load_b64 v[6:7], v[6:7], off scope:SCOPE_SYS
	s_wait_loadcnt 0x0
	global_atomic_cmpswap_b64 v[10:11], v2, v[6:9], s[22:23] offset:24 th:TH_ATOMIC_RETURN scope:SCOPE_SYS
	s_wait_loadcnt 0x0
	global_inv scope:SCOPE_SYS
	v_cmpx_ne_u64_e64 v[10:11], v[8:9]
	s_cbranch_execz .LBB3_1081
; %bb.1078:
	s_mov_b32 s3, 0
.LBB3_1079:                             ; =>This Inner Loop Header: Depth=1
	s_sleep 1
	s_clause 0x1
	global_load_b64 v[6:7], v2, s[22:23] offset:40
	global_load_b64 v[12:13], v2, s[22:23]
	v_dual_mov_b32 v8, v10 :: v_dual_mov_b32 v9, v11
	s_wait_loadcnt 0x1
	s_delay_alu instid0(VALU_DEP_1) | instskip(NEXT) | instid1(VALU_DEP_2)
	v_and_b32_e32 v3, v6, v8
	v_and_b32_e32 v6, v7, v9
	s_wait_loadcnt 0x0
	s_delay_alu instid0(VALU_DEP_2) | instskip(NEXT) | instid1(VALU_DEP_1)
	v_mad_co_u64_u32 v[10:11], null, v3, 24, v[12:13]
	v_mov_b32_e32 v3, v11
	s_delay_alu instid0(VALU_DEP_1) | instskip(NEXT) | instid1(VALU_DEP_1)
	v_mad_co_u64_u32 v[6:7], null, v6, 24, v[3:4]
	v_mov_b32_e32 v11, v6
	global_load_b64 v[6:7], v[10:11], off scope:SCOPE_SYS
	s_wait_loadcnt 0x0
	global_atomic_cmpswap_b64 v[10:11], v2, v[6:9], s[22:23] offset:24 th:TH_ATOMIC_RETURN scope:SCOPE_SYS
	s_wait_loadcnt 0x0
	global_inv scope:SCOPE_SYS
	v_cmp_eq_u64_e32 vcc_lo, v[10:11], v[8:9]
	s_wait_alu 0xfffe
	s_or_b32 s3, vcc_lo, s3
	s_wait_alu 0xfffe
	s_and_not1_b32 exec_lo, exec_lo, s3
	s_cbranch_execnz .LBB3_1079
; %bb.1080:
	s_or_b32 exec_lo, exec_lo, s3
.LBB3_1081:
	s_wait_alu 0xfffe
	s_or_b32 exec_lo, exec_lo, s2
.LBB3_1082:
	s_wait_alu 0xfffe
	s_or_b32 exec_lo, exec_lo, s1
	v_readfirstlane_b32 s1, v11
	v_mov_b32_e32 v2, 0
	v_readfirstlane_b32 s2, v10
	s_mov_b32 s3, exec_lo
	s_clause 0x1
	global_load_b64 v[12:13], v2, s[22:23] offset:40
	global_load_b128 v[6:9], v2, s[22:23]
	s_wait_loadcnt 0x1
	s_wait_alu 0xf1ff
	v_and_b32_e32 v13, s1, v13
	v_and_b32_e32 v12, s2, v12
	s_delay_alu instid0(VALU_DEP_2) | instskip(NEXT) | instid1(VALU_DEP_2)
	v_mul_lo_u32 v3, 24, v13
	v_mul_lo_u32 v10, 0, v12
	v_mul_hi_u32 v11, 24, v12
	v_mul_lo_u32 v14, 24, v12
	s_delay_alu instid0(VALU_DEP_3) | instskip(SKIP_1) | instid1(VALU_DEP_2)
	v_add_nc_u32_e32 v3, v3, v10
	s_wait_loadcnt 0x0
	v_add_co_u32 v10, vcc_lo, v6, v14
	s_delay_alu instid0(VALU_DEP_2) | instskip(SKIP_1) | instid1(VALU_DEP_1)
	v_add_nc_u32_e32 v3, v3, v11
	s_wait_alu 0xfffd
	v_add_co_ci_u32_e32 v11, vcc_lo, v7, v3, vcc_lo
	s_and_saveexec_b32 s4, s0
	s_cbranch_execz .LBB3_1084
; %bb.1083:
	s_wait_alu 0xfffe
	v_dual_mov_b32 v14, s3 :: v_dual_mov_b32 v15, v2
	v_dual_mov_b32 v16, 2 :: v_dual_mov_b32 v17, 1
	global_store_b128 v[10:11], v[14:17], off offset:8
.LBB3_1084:
	s_wait_alu 0xfffe
	s_or_b32 exec_lo, exec_lo, s4
	v_lshlrev_b64_e32 v[12:13], 12, v[12:13]
	s_mov_b32 s4, 0
	v_and_or_b32 v0, 0xffffff1f, v0, 32
	s_wait_alu 0xfffe
	s_mov_b32 s7, s4
	s_mov_b32 s5, s4
	;; [unrolled: 1-line block ×3, first 2 shown]
	v_add_co_u32 v8, vcc_lo, v8, v12
	s_wait_alu 0xfffd
	v_add_co_ci_u32_e32 v9, vcc_lo, v9, v13, vcc_lo
	v_mov_b32_e32 v3, v2
	s_delay_alu instid0(VALU_DEP_3) | instskip(SKIP_1) | instid1(VALU_DEP_4)
	v_readfirstlane_b32 s10, v8
	v_add_co_u32 v8, vcc_lo, v8, v39
	v_readfirstlane_b32 s11, v9
	s_wait_alu 0xfffe
	v_dual_mov_b32 v15, s7 :: v_dual_mov_b32 v12, s4
	s_wait_alu 0xfffd
	v_add_co_ci_u32_e32 v9, vcc_lo, 0, v9, vcc_lo
	v_dual_mov_b32 v14, s6 :: v_dual_mov_b32 v13, s5
	s_clause 0x3
	global_store_b128 v39, v[0:3], s[10:11]
	global_store_b128 v39, v[12:15], s[10:11] offset:16
	global_store_b128 v39, v[12:15], s[10:11] offset:32
	;; [unrolled: 1-line block ×3, first 2 shown]
	s_and_saveexec_b32 s3, s0
	s_cbranch_execz .LBB3_1092
; %bb.1085:
	v_mov_b32_e32 v12, 0
	s_mov_b32 s4, exec_lo
	s_clause 0x1
	global_load_b64 v[15:16], v12, s[22:23] offset:32 scope:SCOPE_SYS
	global_load_b64 v[0:1], v12, s[22:23] offset:40
	v_dual_mov_b32 v13, s2 :: v_dual_mov_b32 v14, s1
	s_wait_loadcnt 0x0
	v_and_b32_e32 v1, s1, v1
	v_and_b32_e32 v0, s2, v0
	s_delay_alu instid0(VALU_DEP_2) | instskip(NEXT) | instid1(VALU_DEP_2)
	v_mul_lo_u32 v1, 24, v1
	v_mul_lo_u32 v2, 0, v0
	v_mul_hi_u32 v3, 24, v0
	v_mul_lo_u32 v0, 24, v0
	s_delay_alu instid0(VALU_DEP_3) | instskip(NEXT) | instid1(VALU_DEP_2)
	v_add_nc_u32_e32 v1, v1, v2
	v_add_co_u32 v6, vcc_lo, v6, v0
	s_delay_alu instid0(VALU_DEP_2) | instskip(SKIP_1) | instid1(VALU_DEP_1)
	v_add_nc_u32_e32 v1, v1, v3
	s_wait_alu 0xfffd
	v_add_co_ci_u32_e32 v7, vcc_lo, v7, v1, vcc_lo
	global_store_b64 v[6:7], v[15:16], off
	global_wb scope:SCOPE_SYS
	s_wait_storecnt 0x0
	global_atomic_cmpswap_b64 v[2:3], v12, v[13:16], s[22:23] offset:32 th:TH_ATOMIC_RETURN scope:SCOPE_SYS
	s_wait_loadcnt 0x0
	v_cmpx_ne_u64_e64 v[2:3], v[15:16]
	s_cbranch_execz .LBB3_1088
; %bb.1086:
	s_mov_b32 s5, 0
.LBB3_1087:                             ; =>This Inner Loop Header: Depth=1
	v_dual_mov_b32 v0, s2 :: v_dual_mov_b32 v1, s1
	s_sleep 1
	global_store_b64 v[6:7], v[2:3], off
	global_wb scope:SCOPE_SYS
	s_wait_storecnt 0x0
	global_atomic_cmpswap_b64 v[0:1], v12, v[0:3], s[22:23] offset:32 th:TH_ATOMIC_RETURN scope:SCOPE_SYS
	s_wait_loadcnt 0x0
	v_cmp_eq_u64_e32 vcc_lo, v[0:1], v[2:3]
	v_dual_mov_b32 v3, v1 :: v_dual_mov_b32 v2, v0
	s_wait_alu 0xfffe
	s_or_b32 s5, vcc_lo, s5
	s_wait_alu 0xfffe
	s_and_not1_b32 exec_lo, exec_lo, s5
	s_cbranch_execnz .LBB3_1087
.LBB3_1088:
	s_wait_alu 0xfffe
	s_or_b32 exec_lo, exec_lo, s4
	v_mov_b32_e32 v3, 0
	s_mov_b32 s5, exec_lo
	s_mov_b32 s4, exec_lo
	s_wait_alu 0xfffe
	v_mbcnt_lo_u32_b32 v2, s5, 0
	global_load_b64 v[0:1], v3, s[22:23] offset:16
	v_cmpx_eq_u32_e32 0, v2
	s_cbranch_execz .LBB3_1090
; %bb.1089:
	s_bcnt1_i32_b32 s5, s5
	s_wait_alu 0xfffe
	v_mov_b32_e32 v2, s5
	global_wb scope:SCOPE_SYS
	s_wait_loadcnt 0x0
	global_atomic_add_u64 v[0:1], v[2:3], off offset:8 scope:SCOPE_SYS
.LBB3_1090:
	s_or_b32 exec_lo, exec_lo, s4
	s_wait_loadcnt 0x0
	global_load_b64 v[2:3], v[0:1], off offset:16
	s_wait_loadcnt 0x0
	v_cmp_eq_u64_e32 vcc_lo, 0, v[2:3]
	s_cbranch_vccnz .LBB3_1092
; %bb.1091:
	global_load_b32 v0, v[0:1], off offset:24
	s_wait_loadcnt 0x0
	v_dual_mov_b32 v1, 0 :: v_dual_and_b32 v6, 0xffffff, v0
	global_wb scope:SCOPE_SYS
	s_wait_storecnt 0x0
	global_store_b64 v[2:3], v[0:1], off scope:SCOPE_SYS
	v_readfirstlane_b32 m0, v6
	s_sendmsg sendmsg(MSG_INTERRUPT)
.LBB3_1092:
	s_wait_alu 0xfffe
	s_or_b32 exec_lo, exec_lo, s3
	s_branch .LBB3_1096
.LBB3_1093:                             ;   in Loop: Header=BB3_1096 Depth=1
	s_wait_alu 0xfffe
	s_or_b32 exec_lo, exec_lo, s3
	s_delay_alu instid0(VALU_DEP_1) | instskip(NEXT) | instid1(VALU_DEP_1)
	v_readfirstlane_b32 s3, v0
	s_cmp_eq_u32 s3, 0
	s_cbranch_scc1 .LBB3_1095
; %bb.1094:                             ;   in Loop: Header=BB3_1096 Depth=1
	s_sleep 1
	s_cbranch_execnz .LBB3_1096
	s_branch .LBB3_1098
.LBB3_1095:
	s_branch .LBB3_1098
.LBB3_1096:                             ; =>This Inner Loop Header: Depth=1
	v_mov_b32_e32 v0, 1
	s_and_saveexec_b32 s3, s0
	s_cbranch_execz .LBB3_1093
; %bb.1097:                             ;   in Loop: Header=BB3_1096 Depth=1
	global_load_b32 v0, v[10:11], off offset:20 scope:SCOPE_SYS
	s_wait_loadcnt 0x0
	global_inv scope:SCOPE_SYS
	v_and_b32_e32 v0, 1, v0
	s_branch .LBB3_1093
.LBB3_1098:
	global_load_b64 v[6:7], v[8:9], off
	s_and_saveexec_b32 s3, s0
	s_cbranch_execz .LBB3_1102
; %bb.1099:
	v_mov_b32_e32 v10, 0
	s_clause 0x2
	global_load_b64 v[2:3], v10, s[22:23] offset:40
	global_load_b64 v[11:12], v10, s[22:23] offset:24 scope:SCOPE_SYS
	global_load_b64 v[8:9], v10, s[22:23]
	s_wait_loadcnt 0x2
	v_add_co_u32 v13, vcc_lo, v2, 1
	s_wait_alu 0xfffd
	v_add_co_ci_u32_e32 v14, vcc_lo, 0, v3, vcc_lo
	s_delay_alu instid0(VALU_DEP_2) | instskip(SKIP_1) | instid1(VALU_DEP_2)
	v_add_co_u32 v0, vcc_lo, v13, s2
	s_wait_alu 0xfffd
	v_add_co_ci_u32_e32 v1, vcc_lo, s1, v14, vcc_lo
	s_delay_alu instid0(VALU_DEP_1) | instskip(SKIP_2) | instid1(VALU_DEP_1)
	v_cmp_eq_u64_e32 vcc_lo, 0, v[0:1]
	s_wait_alu 0xfffd
	v_dual_cndmask_b32 v1, v1, v14 :: v_dual_cndmask_b32 v0, v0, v13
	v_and_b32_e32 v3, v1, v3
	s_delay_alu instid0(VALU_DEP_2) | instskip(NEXT) | instid1(VALU_DEP_2)
	v_and_b32_e32 v2, v0, v2
	v_mul_lo_u32 v3, 24, v3
	s_delay_alu instid0(VALU_DEP_2) | instskip(SKIP_2) | instid1(VALU_DEP_3)
	v_mul_lo_u32 v13, 0, v2
	v_mul_hi_u32 v14, 24, v2
	v_mul_lo_u32 v2, 24, v2
	v_add_nc_u32_e32 v3, v3, v13
	s_wait_loadcnt 0x0
	s_delay_alu instid0(VALU_DEP_2) | instskip(SKIP_1) | instid1(VALU_DEP_3)
	v_add_co_u32 v8, vcc_lo, v8, v2
	v_mov_b32_e32 v2, v11
	v_add_nc_u32_e32 v3, v3, v14
	s_wait_alu 0xfffd
	s_delay_alu instid0(VALU_DEP_1)
	v_add_co_ci_u32_e32 v9, vcc_lo, v9, v3, vcc_lo
	v_mov_b32_e32 v3, v12
	global_store_b64 v[8:9], v[11:12], off
	global_wb scope:SCOPE_SYS
	s_wait_storecnt 0x0
	global_atomic_cmpswap_b64 v[2:3], v10, v[0:3], s[22:23] offset:24 th:TH_ATOMIC_RETURN scope:SCOPE_SYS
	s_wait_loadcnt 0x0
	v_cmp_ne_u64_e32 vcc_lo, v[2:3], v[11:12]
	s_and_b32 exec_lo, exec_lo, vcc_lo
	s_cbranch_execz .LBB3_1102
; %bb.1100:
	s_mov_b32 s0, 0
.LBB3_1101:                             ; =>This Inner Loop Header: Depth=1
	s_sleep 1
	global_store_b64 v[8:9], v[2:3], off
	global_wb scope:SCOPE_SYS
	s_wait_storecnt 0x0
	global_atomic_cmpswap_b64 v[11:12], v10, v[0:3], s[22:23] offset:24 th:TH_ATOMIC_RETURN scope:SCOPE_SYS
	s_wait_loadcnt 0x0
	v_cmp_eq_u64_e32 vcc_lo, v[11:12], v[2:3]
	v_dual_mov_b32 v2, v11 :: v_dual_mov_b32 v3, v12
	s_wait_alu 0xfffe
	s_or_b32 s0, vcc_lo, s0
	s_wait_alu 0xfffe
	s_and_not1_b32 exec_lo, exec_lo, s0
	s_cbranch_execnz .LBB3_1101
.LBB3_1102:
	s_wait_alu 0xfffe
	s_or_b32 exec_lo, exec_lo, s3
.LBB3_1103:
	v_readfirstlane_b32 s0, v50
	v_mov_b32_e32 v10, 0
	v_mov_b32_e32 v11, 0
	s_wait_alu 0xf1ff
	s_delay_alu instid0(VALU_DEP_3) | instskip(NEXT) | instid1(VALU_DEP_1)
	v_cmp_eq_u32_e64 s0, s0, v50
	s_and_saveexec_b32 s1, s0
	s_cbranch_execz .LBB3_1109
; %bb.1104:
	s_wait_loadcnt 0x0
	v_mov_b32_e32 v0, 0
	s_mov_b32 s2, exec_lo
	global_load_b64 v[12:13], v0, s[22:23] offset:24 scope:SCOPE_SYS
	s_wait_loadcnt 0x0
	global_inv scope:SCOPE_SYS
	s_clause 0x1
	global_load_b64 v[1:2], v0, s[22:23] offset:40
	global_load_b64 v[8:9], v0, s[22:23]
	s_wait_loadcnt 0x1
	v_and_b32_e32 v1, v1, v12
	v_and_b32_e32 v2, v2, v13
	s_delay_alu instid0(VALU_DEP_2) | instskip(NEXT) | instid1(VALU_DEP_2)
	v_mul_lo_u32 v3, 0, v1
	v_mul_lo_u32 v2, 24, v2
	v_mul_hi_u32 v10, 24, v1
	v_mul_lo_u32 v1, 24, v1
	s_delay_alu instid0(VALU_DEP_3) | instskip(SKIP_1) | instid1(VALU_DEP_2)
	v_add_nc_u32_e32 v2, v2, v3
	s_wait_loadcnt 0x0
	v_add_co_u32 v1, vcc_lo, v8, v1
	s_delay_alu instid0(VALU_DEP_2) | instskip(SKIP_1) | instid1(VALU_DEP_1)
	v_add_nc_u32_e32 v2, v2, v10
	s_wait_alu 0xfffd
	v_add_co_ci_u32_e32 v2, vcc_lo, v9, v2, vcc_lo
	global_load_b64 v[10:11], v[1:2], off scope:SCOPE_SYS
	s_wait_loadcnt 0x0
	global_atomic_cmpswap_b64 v[10:11], v0, v[10:13], s[22:23] offset:24 th:TH_ATOMIC_RETURN scope:SCOPE_SYS
	s_wait_loadcnt 0x0
	global_inv scope:SCOPE_SYS
	v_cmpx_ne_u64_e64 v[10:11], v[12:13]
	s_cbranch_execz .LBB3_1108
; %bb.1105:
	s_mov_b32 s3, 0
.LBB3_1106:                             ; =>This Inner Loop Header: Depth=1
	s_sleep 1
	s_clause 0x1
	global_load_b64 v[1:2], v0, s[22:23] offset:40
	global_load_b64 v[8:9], v0, s[22:23]
	v_dual_mov_b32 v13, v11 :: v_dual_mov_b32 v12, v10
	s_wait_loadcnt 0x1
	s_delay_alu instid0(VALU_DEP_1) | instskip(SKIP_1) | instid1(VALU_DEP_1)
	v_and_b32_e32 v1, v1, v12
	s_wait_loadcnt 0x0
	v_mad_co_u64_u32 v[8:9], null, v1, 24, v[8:9]
	s_delay_alu instid0(VALU_DEP_1) | instskip(NEXT) | instid1(VALU_DEP_1)
	v_dual_mov_b32 v1, v9 :: v_dual_and_b32 v2, v2, v13
	v_mad_co_u64_u32 v[1:2], null, v2, 24, v[1:2]
	s_delay_alu instid0(VALU_DEP_1)
	v_mov_b32_e32 v9, v1
	global_load_b64 v[10:11], v[8:9], off scope:SCOPE_SYS
	s_wait_loadcnt 0x0
	global_atomic_cmpswap_b64 v[10:11], v0, v[10:13], s[22:23] offset:24 th:TH_ATOMIC_RETURN scope:SCOPE_SYS
	s_wait_loadcnt 0x0
	global_inv scope:SCOPE_SYS
	v_cmp_eq_u64_e32 vcc_lo, v[10:11], v[12:13]
	s_wait_alu 0xfffe
	s_or_b32 s3, vcc_lo, s3
	s_wait_alu 0xfffe
	s_and_not1_b32 exec_lo, exec_lo, s3
	s_cbranch_execnz .LBB3_1106
; %bb.1107:
	s_or_b32 exec_lo, exec_lo, s3
.LBB3_1108:
	s_wait_alu 0xfffe
	s_or_b32 exec_lo, exec_lo, s2
.LBB3_1109:
	s_wait_alu 0xfffe
	s_or_b32 exec_lo, exec_lo, s1
	v_readfirstlane_b32 s2, v10
	s_wait_loadcnt 0x0
	v_mov_b32_e32 v9, 0
	v_readfirstlane_b32 s1, v11
	s_mov_b32 s3, exec_lo
	s_clause 0x1
	global_load_b64 v[12:13], v9, s[22:23] offset:40
	global_load_b128 v[0:3], v9, s[22:23]
	s_wait_loadcnt 0x1
	s_wait_alu 0xf1ff
	v_and_b32_e32 v12, s2, v12
	v_and_b32_e32 v13, s1, v13
	s_delay_alu instid0(VALU_DEP_2) | instskip(NEXT) | instid1(VALU_DEP_2)
	v_mul_lo_u32 v10, 0, v12
	v_mul_lo_u32 v8, 24, v13
	v_mul_hi_u32 v11, 24, v12
	v_mul_lo_u32 v14, 24, v12
	s_delay_alu instid0(VALU_DEP_3) | instskip(SKIP_1) | instid1(VALU_DEP_2)
	v_add_nc_u32_e32 v8, v8, v10
	s_wait_loadcnt 0x0
	v_add_co_u32 v10, vcc_lo, v0, v14
	s_delay_alu instid0(VALU_DEP_2) | instskip(SKIP_1) | instid1(VALU_DEP_1)
	v_add_nc_u32_e32 v8, v8, v11
	s_wait_alu 0xfffd
	v_add_co_ci_u32_e32 v11, vcc_lo, v1, v8, vcc_lo
	s_and_saveexec_b32 s4, s0
	s_cbranch_execz .LBB3_1111
; %bb.1110:
	s_wait_alu 0xfffe
	v_dual_mov_b32 v8, s3 :: v_dual_mov_b32 v17, 1
	v_dual_mov_b32 v16, 2 :: v_dual_mov_b32 v15, v9
	s_delay_alu instid0(VALU_DEP_2)
	v_mov_b32_e32 v14, v8
	global_store_b128 v[10:11], v[14:17], off offset:8
.LBB3_1111:
	s_wait_alu 0xfffe
	s_or_b32 exec_lo, exec_lo, s4
	v_lshlrev_b64_e32 v[12:13], 12, v[12:13]
	s_mov_b32 s4, 0
	v_and_or_b32 v6, 0xffffff1d, v6, 34
	s_wait_alu 0xfffe
	s_mov_b32 s7, s4
	s_mov_b32 s5, s4
	;; [unrolled: 1-line block ×3, first 2 shown]
	v_add_co_u32 v2, vcc_lo, v2, v12
	s_wait_alu 0xfffd
	v_add_co_ci_u32_e32 v3, vcc_lo, v3, v13, vcc_lo
	s_wait_alu 0xfffe
	v_dual_mov_b32 v8, 58 :: v_dual_mov_b32 v15, s7
	v_readfirstlane_b32 s10, v2
	s_delay_alu instid0(VALU_DEP_3)
	v_readfirstlane_b32 s11, v3
	v_dual_mov_b32 v14, s6 :: v_dual_mov_b32 v13, s5
	v_mov_b32_e32 v12, s4
	s_clause 0x3
	global_store_b128 v39, v[6:9], s[10:11]
	global_store_b128 v39, v[12:15], s[10:11] offset:16
	global_store_b128 v39, v[12:15], s[10:11] offset:32
	;; [unrolled: 1-line block ×3, first 2 shown]
	s_and_saveexec_b32 s3, s0
	s_cbranch_execz .LBB3_1119
; %bb.1112:
	v_mov_b32_e32 v8, 0
	s_mov_b32 s4, exec_lo
	s_clause 0x1
	global_load_b64 v[14:15], v8, s[22:23] offset:32 scope:SCOPE_SYS
	global_load_b64 v[2:3], v8, s[22:23] offset:40
	v_dual_mov_b32 v13, s1 :: v_dual_mov_b32 v12, s2
	s_wait_loadcnt 0x0
	v_and_b32_e32 v3, s1, v3
	v_and_b32_e32 v2, s2, v2
	s_delay_alu instid0(VALU_DEP_2) | instskip(NEXT) | instid1(VALU_DEP_2)
	v_mul_lo_u32 v3, 24, v3
	v_mul_lo_u32 v6, 0, v2
	v_mul_hi_u32 v7, 24, v2
	v_mul_lo_u32 v2, 24, v2
	s_delay_alu instid0(VALU_DEP_3) | instskip(NEXT) | instid1(VALU_DEP_2)
	v_add_nc_u32_e32 v3, v3, v6
	v_add_co_u32 v6, vcc_lo, v0, v2
	s_delay_alu instid0(VALU_DEP_2) | instskip(SKIP_1) | instid1(VALU_DEP_1)
	v_add_nc_u32_e32 v3, v3, v7
	s_wait_alu 0xfffd
	v_add_co_ci_u32_e32 v7, vcc_lo, v1, v3, vcc_lo
	global_store_b64 v[6:7], v[14:15], off
	global_wb scope:SCOPE_SYS
	s_wait_storecnt 0x0
	global_atomic_cmpswap_b64 v[2:3], v8, v[12:15], s[22:23] offset:32 th:TH_ATOMIC_RETURN scope:SCOPE_SYS
	s_wait_loadcnt 0x0
	v_cmpx_ne_u64_e64 v[2:3], v[14:15]
	s_cbranch_execz .LBB3_1115
; %bb.1113:
	s_mov_b32 s5, 0
.LBB3_1114:                             ; =>This Inner Loop Header: Depth=1
	v_dual_mov_b32 v0, s2 :: v_dual_mov_b32 v1, s1
	s_sleep 1
	global_store_b64 v[6:7], v[2:3], off
	global_wb scope:SCOPE_SYS
	s_wait_storecnt 0x0
	global_atomic_cmpswap_b64 v[0:1], v8, v[0:3], s[22:23] offset:32 th:TH_ATOMIC_RETURN scope:SCOPE_SYS
	s_wait_loadcnt 0x0
	v_cmp_eq_u64_e32 vcc_lo, v[0:1], v[2:3]
	v_dual_mov_b32 v3, v1 :: v_dual_mov_b32 v2, v0
	s_wait_alu 0xfffe
	s_or_b32 s5, vcc_lo, s5
	s_wait_alu 0xfffe
	s_and_not1_b32 exec_lo, exec_lo, s5
	s_cbranch_execnz .LBB3_1114
.LBB3_1115:
	s_wait_alu 0xfffe
	s_or_b32 exec_lo, exec_lo, s4
	v_mov_b32_e32 v3, 0
	s_mov_b32 s5, exec_lo
	s_mov_b32 s4, exec_lo
	s_wait_alu 0xfffe
	v_mbcnt_lo_u32_b32 v2, s5, 0
	global_load_b64 v[0:1], v3, s[22:23] offset:16
	v_cmpx_eq_u32_e32 0, v2
	s_cbranch_execz .LBB3_1117
; %bb.1116:
	s_bcnt1_i32_b32 s5, s5
	s_wait_alu 0xfffe
	v_mov_b32_e32 v2, s5
	global_wb scope:SCOPE_SYS
	s_wait_loadcnt 0x0
	global_atomic_add_u64 v[0:1], v[2:3], off offset:8 scope:SCOPE_SYS
.LBB3_1117:
	s_or_b32 exec_lo, exec_lo, s4
	s_wait_loadcnt 0x0
	global_load_b64 v[2:3], v[0:1], off offset:16
	s_wait_loadcnt 0x0
	v_cmp_eq_u64_e32 vcc_lo, 0, v[2:3]
	s_cbranch_vccnz .LBB3_1119
; %bb.1118:
	global_load_b32 v0, v[0:1], off offset:24
	s_wait_loadcnt 0x0
	v_dual_mov_b32 v1, 0 :: v_dual_and_b32 v6, 0xffffff, v0
	global_wb scope:SCOPE_SYS
	s_wait_storecnt 0x0
	global_store_b64 v[2:3], v[0:1], off scope:SCOPE_SYS
	v_readfirstlane_b32 m0, v6
	s_sendmsg sendmsg(MSG_INTERRUPT)
.LBB3_1119:
	s_wait_alu 0xfffe
	s_or_b32 exec_lo, exec_lo, s3
	s_branch .LBB3_1123
.LBB3_1120:                             ;   in Loop: Header=BB3_1123 Depth=1
	s_wait_alu 0xfffe
	s_or_b32 exec_lo, exec_lo, s3
	s_delay_alu instid0(VALU_DEP_1) | instskip(NEXT) | instid1(VALU_DEP_1)
	v_readfirstlane_b32 s3, v0
	s_cmp_eq_u32 s3, 0
	s_cbranch_scc1 .LBB3_1122
; %bb.1121:                             ;   in Loop: Header=BB3_1123 Depth=1
	s_sleep 1
	s_cbranch_execnz .LBB3_1123
	s_branch .LBB3_1125
.LBB3_1122:
	s_branch .LBB3_1125
.LBB3_1123:                             ; =>This Inner Loop Header: Depth=1
	v_mov_b32_e32 v0, 1
	s_and_saveexec_b32 s3, s0
	s_cbranch_execz .LBB3_1120
; %bb.1124:                             ;   in Loop: Header=BB3_1123 Depth=1
	global_load_b32 v0, v[10:11], off offset:20 scope:SCOPE_SYS
	s_wait_loadcnt 0x0
	global_inv scope:SCOPE_SYS
	v_and_b32_e32 v0, 1, v0
	s_branch .LBB3_1120
.LBB3_1125:
	s_and_saveexec_b32 s3, s0
	s_cbranch_execz .LBB3_1129
; %bb.1126:
	v_mov_b32_e32 v8, 0
	s_clause 0x2
	global_load_b64 v[2:3], v8, s[22:23] offset:40
	global_load_b64 v[9:10], v8, s[22:23] offset:24 scope:SCOPE_SYS
	global_load_b64 v[6:7], v8, s[22:23]
	s_wait_loadcnt 0x2
	v_add_co_u32 v11, vcc_lo, v2, 1
	s_wait_alu 0xfffd
	v_add_co_ci_u32_e32 v12, vcc_lo, 0, v3, vcc_lo
	s_delay_alu instid0(VALU_DEP_2) | instskip(SKIP_1) | instid1(VALU_DEP_2)
	v_add_co_u32 v0, vcc_lo, v11, s2
	s_wait_alu 0xfffd
	v_add_co_ci_u32_e32 v1, vcc_lo, s1, v12, vcc_lo
	s_delay_alu instid0(VALU_DEP_1) | instskip(SKIP_2) | instid1(VALU_DEP_1)
	v_cmp_eq_u64_e32 vcc_lo, 0, v[0:1]
	s_wait_alu 0xfffd
	v_dual_cndmask_b32 v1, v1, v12 :: v_dual_cndmask_b32 v0, v0, v11
	v_and_b32_e32 v3, v1, v3
	s_delay_alu instid0(VALU_DEP_2) | instskip(NEXT) | instid1(VALU_DEP_2)
	v_and_b32_e32 v2, v0, v2
	v_mul_lo_u32 v3, 24, v3
	s_delay_alu instid0(VALU_DEP_2) | instskip(SKIP_2) | instid1(VALU_DEP_3)
	v_mul_lo_u32 v11, 0, v2
	v_mul_hi_u32 v12, 24, v2
	v_mul_lo_u32 v2, 24, v2
	v_add_nc_u32_e32 v3, v3, v11
	s_wait_loadcnt 0x0
	s_delay_alu instid0(VALU_DEP_2) | instskip(NEXT) | instid1(VALU_DEP_2)
	v_add_co_u32 v6, vcc_lo, v6, v2
	v_dual_mov_b32 v2, v9 :: v_dual_add_nc_u32 v3, v3, v12
	s_wait_alu 0xfffd
	s_delay_alu instid0(VALU_DEP_1)
	v_add_co_ci_u32_e32 v7, vcc_lo, v7, v3, vcc_lo
	v_mov_b32_e32 v3, v10
	global_store_b64 v[6:7], v[9:10], off
	global_wb scope:SCOPE_SYS
	s_wait_storecnt 0x0
	global_atomic_cmpswap_b64 v[2:3], v8, v[0:3], s[22:23] offset:24 th:TH_ATOMIC_RETURN scope:SCOPE_SYS
	s_wait_loadcnt 0x0
	v_cmp_ne_u64_e32 vcc_lo, v[2:3], v[9:10]
	s_and_b32 exec_lo, exec_lo, vcc_lo
	s_cbranch_execz .LBB3_1129
; %bb.1127:
	s_mov_b32 s0, 0
.LBB3_1128:                             ; =>This Inner Loop Header: Depth=1
	s_sleep 1
	global_store_b64 v[6:7], v[2:3], off
	global_wb scope:SCOPE_SYS
	s_wait_storecnt 0x0
	global_atomic_cmpswap_b64 v[9:10], v8, v[0:3], s[22:23] offset:24 th:TH_ATOMIC_RETURN scope:SCOPE_SYS
	s_wait_loadcnt 0x0
	v_cmp_eq_u64_e32 vcc_lo, v[9:10], v[2:3]
	v_dual_mov_b32 v2, v9 :: v_dual_mov_b32 v3, v10
	s_wait_alu 0xfffe
	s_or_b32 s0, vcc_lo, s0
	s_wait_alu 0xfffe
	s_and_not1_b32 exec_lo, exec_lo, s0
	s_cbranch_execnz .LBB3_1128
.LBB3_1129:
	s_wait_alu 0xfffe
	s_or_b32 exec_lo, exec_lo, s3
	v_readfirstlane_b32 s0, v50
	v_mov_b32_e32 v8, 0
	v_mov_b32_e32 v9, 0
	s_wait_alu 0xf1ff
	s_delay_alu instid0(VALU_DEP_3) | instskip(NEXT) | instid1(VALU_DEP_1)
	v_cmp_eq_u32_e64 s0, s0, v50
	s_and_saveexec_b32 s1, s0
	s_cbranch_execz .LBB3_1135
; %bb.1130:
	v_mov_b32_e32 v0, 0
	s_mov_b32 s2, exec_lo
	global_load_b64 v[10:11], v0, s[22:23] offset:24 scope:SCOPE_SYS
	s_wait_loadcnt 0x0
	global_inv scope:SCOPE_SYS
	s_clause 0x1
	global_load_b64 v[1:2], v0, s[22:23] offset:40
	global_load_b64 v[6:7], v0, s[22:23]
	s_wait_loadcnt 0x1
	v_and_b32_e32 v1, v1, v10
	v_and_b32_e32 v2, v2, v11
	s_delay_alu instid0(VALU_DEP_2) | instskip(NEXT) | instid1(VALU_DEP_2)
	v_mul_lo_u32 v3, 0, v1
	v_mul_lo_u32 v2, 24, v2
	v_mul_hi_u32 v8, 24, v1
	v_mul_lo_u32 v1, 24, v1
	s_delay_alu instid0(VALU_DEP_3) | instskip(SKIP_1) | instid1(VALU_DEP_2)
	v_add_nc_u32_e32 v2, v2, v3
	s_wait_loadcnt 0x0
	v_add_co_u32 v1, vcc_lo, v6, v1
	s_delay_alu instid0(VALU_DEP_2) | instskip(SKIP_1) | instid1(VALU_DEP_1)
	v_add_nc_u32_e32 v2, v2, v8
	s_wait_alu 0xfffd
	v_add_co_ci_u32_e32 v2, vcc_lo, v7, v2, vcc_lo
	global_load_b64 v[8:9], v[1:2], off scope:SCOPE_SYS
	s_wait_loadcnt 0x0
	global_atomic_cmpswap_b64 v[8:9], v0, v[8:11], s[22:23] offset:24 th:TH_ATOMIC_RETURN scope:SCOPE_SYS
	s_wait_loadcnt 0x0
	global_inv scope:SCOPE_SYS
	v_cmpx_ne_u64_e64 v[8:9], v[10:11]
	s_cbranch_execz .LBB3_1134
; %bb.1131:
	s_mov_b32 s3, 0
.LBB3_1132:                             ; =>This Inner Loop Header: Depth=1
	s_sleep 1
	s_clause 0x1
	global_load_b64 v[1:2], v0, s[22:23] offset:40
	global_load_b64 v[6:7], v0, s[22:23]
	v_dual_mov_b32 v11, v9 :: v_dual_mov_b32 v10, v8
	s_wait_loadcnt 0x1
	s_delay_alu instid0(VALU_DEP_1) | instskip(SKIP_1) | instid1(VALU_DEP_1)
	v_and_b32_e32 v1, v1, v10
	s_wait_loadcnt 0x0
	v_mad_co_u64_u32 v[6:7], null, v1, 24, v[6:7]
	s_delay_alu instid0(VALU_DEP_1) | instskip(NEXT) | instid1(VALU_DEP_1)
	v_dual_mov_b32 v1, v7 :: v_dual_and_b32 v2, v2, v11
	v_mad_co_u64_u32 v[1:2], null, v2, 24, v[1:2]
	s_delay_alu instid0(VALU_DEP_1)
	v_mov_b32_e32 v7, v1
	global_load_b64 v[8:9], v[6:7], off scope:SCOPE_SYS
	s_wait_loadcnt 0x0
	global_atomic_cmpswap_b64 v[8:9], v0, v[8:11], s[22:23] offset:24 th:TH_ATOMIC_RETURN scope:SCOPE_SYS
	s_wait_loadcnt 0x0
	global_inv scope:SCOPE_SYS
	v_cmp_eq_u64_e32 vcc_lo, v[8:9], v[10:11]
	s_wait_alu 0xfffe
	s_or_b32 s3, vcc_lo, s3
	s_wait_alu 0xfffe
	s_and_not1_b32 exec_lo, exec_lo, s3
	s_cbranch_execnz .LBB3_1132
; %bb.1133:
	s_or_b32 exec_lo, exec_lo, s3
.LBB3_1134:
	s_wait_alu 0xfffe
	s_or_b32 exec_lo, exec_lo, s2
.LBB3_1135:
	s_wait_alu 0xfffe
	s_or_b32 exec_lo, exec_lo, s1
	v_readfirstlane_b32 s2, v8
	v_mov_b32_e32 v7, 0
	v_readfirstlane_b32 s1, v9
	s_mov_b32 s3, exec_lo
	s_clause 0x1
	global_load_b64 v[10:11], v7, s[22:23] offset:40
	global_load_b128 v[0:3], v7, s[22:23]
	s_wait_loadcnt 0x1
	s_wait_alu 0xf1ff
	v_and_b32_e32 v12, s2, v10
	v_and_b32_e32 v13, s1, v11
	s_delay_alu instid0(VALU_DEP_2) | instskip(NEXT) | instid1(VALU_DEP_2)
	v_mul_lo_u32 v8, 0, v12
	v_mul_lo_u32 v6, 24, v13
	v_mul_hi_u32 v9, 24, v12
	v_mul_lo_u32 v10, 24, v12
	s_delay_alu instid0(VALU_DEP_3) | instskip(SKIP_1) | instid1(VALU_DEP_2)
	v_add_nc_u32_e32 v6, v6, v8
	s_wait_loadcnt 0x0
	v_add_co_u32 v10, vcc_lo, v0, v10
	s_delay_alu instid0(VALU_DEP_2) | instskip(SKIP_1) | instid1(VALU_DEP_1)
	v_add_nc_u32_e32 v6, v6, v9
	s_wait_alu 0xfffd
	v_add_co_ci_u32_e32 v11, vcc_lo, v1, v6, vcc_lo
	s_and_saveexec_b32 s4, s0
	s_cbranch_execz .LBB3_1137
; %bb.1136:
	s_wait_alu 0xfffe
	v_dual_mov_b32 v6, s3 :: v_dual_mov_b32 v9, 1
	v_mov_b32_e32 v8, 2
	global_store_b128 v[10:11], v[6:9], off offset:8
.LBB3_1137:
	s_wait_alu 0xfffe
	s_or_b32 exec_lo, exec_lo, s4
	v_lshlrev_b64_e32 v[12:13], 12, v[12:13]
	s_mov_b32 s4, 0
	v_dual_mov_b32 v6, 33 :: v_dual_mov_b32 v9, v7
	s_wait_alu 0xfffe
	s_mov_b32 s7, s4
	s_mov_b32 s5, s4
	v_add_co_u32 v2, vcc_lo, v2, v12
	s_wait_alu 0xfffd
	v_add_co_ci_u32_e32 v3, vcc_lo, v3, v13, vcc_lo
	s_mov_b32 s6, s4
	s_delay_alu instid0(VALU_DEP_2)
	v_add_co_u32 v12, vcc_lo, v2, v39
	s_wait_alu 0xfffe
	v_dual_mov_b32 v8, v7 :: v_dual_mov_b32 v17, s7
	v_readfirstlane_b32 s10, v2
	v_readfirstlane_b32 s11, v3
	s_wait_alu 0xfffd
	v_add_co_ci_u32_e32 v13, vcc_lo, 0, v3, vcc_lo
	v_dual_mov_b32 v16, s6 :: v_dual_mov_b32 v15, s5
	v_mov_b32_e32 v14, s4
	s_clause 0x3
	global_store_b128 v39, v[6:9], s[10:11]
	global_store_b128 v39, v[14:17], s[10:11] offset:16
	global_store_b128 v39, v[14:17], s[10:11] offset:32
	;; [unrolled: 1-line block ×3, first 2 shown]
	s_and_saveexec_b32 s3, s0
	s_cbranch_execz .LBB3_1145
; %bb.1138:
	v_mov_b32_e32 v8, 0
	s_mov_b32 s4, exec_lo
	s_clause 0x1
	global_load_b64 v[16:17], v8, s[22:23] offset:32 scope:SCOPE_SYS
	global_load_b64 v[2:3], v8, s[22:23] offset:40
	v_dual_mov_b32 v15, s1 :: v_dual_mov_b32 v14, s2
	s_wait_loadcnt 0x0
	v_and_b32_e32 v3, s1, v3
	v_and_b32_e32 v2, s2, v2
	s_delay_alu instid0(VALU_DEP_2) | instskip(NEXT) | instid1(VALU_DEP_2)
	v_mul_lo_u32 v3, 24, v3
	v_mul_lo_u32 v6, 0, v2
	v_mul_hi_u32 v7, 24, v2
	v_mul_lo_u32 v2, 24, v2
	s_delay_alu instid0(VALU_DEP_3) | instskip(NEXT) | instid1(VALU_DEP_2)
	v_add_nc_u32_e32 v3, v3, v6
	v_add_co_u32 v6, vcc_lo, v0, v2
	s_delay_alu instid0(VALU_DEP_2) | instskip(SKIP_1) | instid1(VALU_DEP_1)
	v_add_nc_u32_e32 v3, v3, v7
	s_wait_alu 0xfffd
	v_add_co_ci_u32_e32 v7, vcc_lo, v1, v3, vcc_lo
	global_store_b64 v[6:7], v[16:17], off
	global_wb scope:SCOPE_SYS
	s_wait_storecnt 0x0
	global_atomic_cmpswap_b64 v[2:3], v8, v[14:17], s[22:23] offset:32 th:TH_ATOMIC_RETURN scope:SCOPE_SYS
	s_wait_loadcnt 0x0
	v_cmpx_ne_u64_e64 v[2:3], v[16:17]
	s_cbranch_execz .LBB3_1141
; %bb.1139:
	s_mov_b32 s5, 0
.LBB3_1140:                             ; =>This Inner Loop Header: Depth=1
	v_dual_mov_b32 v0, s2 :: v_dual_mov_b32 v1, s1
	s_sleep 1
	global_store_b64 v[6:7], v[2:3], off
	global_wb scope:SCOPE_SYS
	s_wait_storecnt 0x0
	global_atomic_cmpswap_b64 v[0:1], v8, v[0:3], s[22:23] offset:32 th:TH_ATOMIC_RETURN scope:SCOPE_SYS
	s_wait_loadcnt 0x0
	v_cmp_eq_u64_e32 vcc_lo, v[0:1], v[2:3]
	v_dual_mov_b32 v3, v1 :: v_dual_mov_b32 v2, v0
	s_wait_alu 0xfffe
	s_or_b32 s5, vcc_lo, s5
	s_wait_alu 0xfffe
	s_and_not1_b32 exec_lo, exec_lo, s5
	s_cbranch_execnz .LBB3_1140
.LBB3_1141:
	s_wait_alu 0xfffe
	s_or_b32 exec_lo, exec_lo, s4
	v_mov_b32_e32 v3, 0
	s_mov_b32 s5, exec_lo
	s_mov_b32 s4, exec_lo
	s_wait_alu 0xfffe
	v_mbcnt_lo_u32_b32 v2, s5, 0
	global_load_b64 v[0:1], v3, s[22:23] offset:16
	v_cmpx_eq_u32_e32 0, v2
	s_cbranch_execz .LBB3_1143
; %bb.1142:
	s_bcnt1_i32_b32 s5, s5
	s_wait_alu 0xfffe
	v_mov_b32_e32 v2, s5
	global_wb scope:SCOPE_SYS
	s_wait_loadcnt 0x0
	global_atomic_add_u64 v[0:1], v[2:3], off offset:8 scope:SCOPE_SYS
.LBB3_1143:
	s_or_b32 exec_lo, exec_lo, s4
	s_wait_loadcnt 0x0
	global_load_b64 v[2:3], v[0:1], off offset:16
	s_wait_loadcnt 0x0
	v_cmp_eq_u64_e32 vcc_lo, 0, v[2:3]
	s_cbranch_vccnz .LBB3_1145
; %bb.1144:
	global_load_b32 v0, v[0:1], off offset:24
	s_wait_loadcnt 0x0
	v_dual_mov_b32 v1, 0 :: v_dual_and_b32 v6, 0xffffff, v0
	global_wb scope:SCOPE_SYS
	s_wait_storecnt 0x0
	global_store_b64 v[2:3], v[0:1], off scope:SCOPE_SYS
	v_readfirstlane_b32 m0, v6
	s_sendmsg sendmsg(MSG_INTERRUPT)
.LBB3_1145:
	s_wait_alu 0xfffe
	s_or_b32 exec_lo, exec_lo, s3
	s_branch .LBB3_1149
.LBB3_1146:                             ;   in Loop: Header=BB3_1149 Depth=1
	s_wait_alu 0xfffe
	s_or_b32 exec_lo, exec_lo, s3
	s_delay_alu instid0(VALU_DEP_1) | instskip(NEXT) | instid1(VALU_DEP_1)
	v_readfirstlane_b32 s3, v0
	s_cmp_eq_u32 s3, 0
	s_cbranch_scc1 .LBB3_1148
; %bb.1147:                             ;   in Loop: Header=BB3_1149 Depth=1
	s_sleep 1
	s_cbranch_execnz .LBB3_1149
	s_branch .LBB3_1151
.LBB3_1148:
	s_branch .LBB3_1151
.LBB3_1149:                             ; =>This Inner Loop Header: Depth=1
	v_mov_b32_e32 v0, 1
	s_and_saveexec_b32 s3, s0
	s_cbranch_execz .LBB3_1146
; %bb.1150:                             ;   in Loop: Header=BB3_1149 Depth=1
	global_load_b32 v0, v[10:11], off offset:20 scope:SCOPE_SYS
	s_wait_loadcnt 0x0
	global_inv scope:SCOPE_SYS
	v_and_b32_e32 v0, 1, v0
	s_branch .LBB3_1146
.LBB3_1151:
	global_load_b64 v[0:1], v[12:13], off
	s_and_saveexec_b32 s3, s0
	s_cbranch_execz .LBB3_1155
; %bb.1152:
	v_mov_b32_e32 v10, 0
	s_clause 0x2
	global_load_b64 v[2:3], v10, s[22:23] offset:40
	global_load_b64 v[11:12], v10, s[22:23] offset:24 scope:SCOPE_SYS
	global_load_b64 v[8:9], v10, s[22:23]
	s_wait_loadcnt 0x2
	v_add_co_u32 v13, vcc_lo, v2, 1
	s_wait_alu 0xfffd
	v_add_co_ci_u32_e32 v14, vcc_lo, 0, v3, vcc_lo
	s_delay_alu instid0(VALU_DEP_2) | instskip(SKIP_1) | instid1(VALU_DEP_2)
	v_add_co_u32 v6, vcc_lo, v13, s2
	s_wait_alu 0xfffd
	v_add_co_ci_u32_e32 v7, vcc_lo, s1, v14, vcc_lo
	s_delay_alu instid0(VALU_DEP_1) | instskip(SKIP_2) | instid1(VALU_DEP_1)
	v_cmp_eq_u64_e32 vcc_lo, 0, v[6:7]
	s_wait_alu 0xfffd
	v_dual_cndmask_b32 v7, v7, v14 :: v_dual_cndmask_b32 v6, v6, v13
	v_and_b32_e32 v3, v7, v3
	s_delay_alu instid0(VALU_DEP_2) | instskip(NEXT) | instid1(VALU_DEP_2)
	v_and_b32_e32 v2, v6, v2
	v_mul_lo_u32 v3, 24, v3
	s_delay_alu instid0(VALU_DEP_2) | instskip(SKIP_2) | instid1(VALU_DEP_3)
	v_mul_lo_u32 v13, 0, v2
	v_mul_hi_u32 v14, 24, v2
	v_mul_lo_u32 v2, 24, v2
	v_add_nc_u32_e32 v3, v3, v13
	s_wait_loadcnt 0x0
	s_delay_alu instid0(VALU_DEP_2) | instskip(SKIP_1) | instid1(VALU_DEP_3)
	v_add_co_u32 v2, vcc_lo, v8, v2
	v_mov_b32_e32 v8, v11
	v_add_nc_u32_e32 v3, v3, v14
	s_wait_alu 0xfffd
	s_delay_alu instid0(VALU_DEP_1)
	v_add_co_ci_u32_e32 v3, vcc_lo, v9, v3, vcc_lo
	v_mov_b32_e32 v9, v12
	global_store_b64 v[2:3], v[11:12], off
	global_wb scope:SCOPE_SYS
	s_wait_storecnt 0x0
	global_atomic_cmpswap_b64 v[8:9], v10, v[6:9], s[22:23] offset:24 th:TH_ATOMIC_RETURN scope:SCOPE_SYS
	s_wait_loadcnt 0x0
	v_cmp_ne_u64_e32 vcc_lo, v[8:9], v[11:12]
	s_and_b32 exec_lo, exec_lo, vcc_lo
	s_cbranch_execz .LBB3_1155
; %bb.1153:
	s_mov_b32 s0, 0
.LBB3_1154:                             ; =>This Inner Loop Header: Depth=1
	s_sleep 1
	global_store_b64 v[2:3], v[8:9], off
	global_wb scope:SCOPE_SYS
	s_wait_storecnt 0x0
	global_atomic_cmpswap_b64 v[11:12], v10, v[6:9], s[22:23] offset:24 th:TH_ATOMIC_RETURN scope:SCOPE_SYS
	s_wait_loadcnt 0x0
	v_cmp_eq_u64_e32 vcc_lo, v[11:12], v[8:9]
	v_dual_mov_b32 v8, v11 :: v_dual_mov_b32 v9, v12
	s_wait_alu 0xfffe
	s_or_b32 s0, vcc_lo, s0
	s_wait_alu 0xfffe
	s_and_not1_b32 exec_lo, exec_lo, s0
	s_cbranch_execnz .LBB3_1154
.LBB3_1155:
	s_wait_alu 0xfffe
	s_or_b32 exec_lo, exec_lo, s3
	s_delay_alu instid0(SALU_CYCLE_1)
	s_and_b32 vcc_lo, exec_lo, s26
	s_wait_alu 0xfffe
	s_cbranch_vccz .LBB3_1234
; %bb.1156:
	s_wait_loadcnt 0x0
	v_dual_mov_b32 v10, 0 :: v_dual_and_b32 v33, 2, v0
	v_dual_mov_b32 v7, v1 :: v_dual_and_b32 v6, -3, v0
	v_dual_mov_b32 v11, 2 :: v_dual_mov_b32 v12, 1
	s_mov_b64 s[4:5], 3
	s_getpc_b64 s[2:3]
	s_wait_alu 0xfffe
	s_sext_i32_i16 s3, s3
	s_add_co_u32 s2, s2, .str.8@rel32@lo+12
	s_wait_alu 0xfffe
	s_add_co_ci_u32 s3, s3, .str.8@rel32@hi+24
	s_branch .LBB3_1158
.LBB3_1157:                             ;   in Loop: Header=BB3_1158 Depth=1
	s_wait_alu 0xfffe
	s_or_b32 exec_lo, exec_lo, s11
	s_sub_nc_u64 s[4:5], s[4:5], s[6:7]
	s_add_nc_u64 s[2:3], s[2:3], s[6:7]
	s_wait_alu 0xfffe
	s_cmp_lg_u64 s[4:5], 0
	s_cbranch_scc0 .LBB3_1233
.LBB3_1158:                             ; =>This Loop Header: Depth=1
                                        ;     Child Loop BB3_1167 Depth 2
                                        ;     Child Loop BB3_1163 Depth 2
	;; [unrolled: 1-line block ×11, first 2 shown]
	v_cmp_lt_u64_e64 s0, s[4:5], 56
	v_cmp_gt_u64_e64 s1, s[4:5], 7
                                        ; implicit-def: $vgpr15_vgpr16
                                        ; implicit-def: $sgpr18
	s_delay_alu instid0(VALU_DEP_2) | instskip(SKIP_2) | instid1(VALU_DEP_1)
	s_and_b32 s0, s0, exec_lo
	s_cselect_b32 s7, s5, 0
	s_cselect_b32 s6, s4, 56
	s_and_b32 vcc_lo, exec_lo, s1
	s_mov_b32 s0, -1
	s_wait_alu 0xfffe
	s_cbranch_vccz .LBB3_1165
; %bb.1159:                             ;   in Loop: Header=BB3_1158 Depth=1
	s_and_not1_b32 vcc_lo, exec_lo, s0
	s_mov_b64 s[0:1], s[2:3]
	s_wait_alu 0xfffe
	s_cbranch_vccz .LBB3_1169
.LBB3_1160:                             ;   in Loop: Header=BB3_1158 Depth=1
	s_wait_alu 0xfffe
	s_cmp_gt_u32 s18, 7
	s_cbranch_scc1 .LBB3_1170
.LBB3_1161:                             ;   in Loop: Header=BB3_1158 Depth=1
	v_mov_b32_e32 v17, 0
	v_mov_b32_e32 v18, 0
	s_cmp_eq_u32 s18, 0
	s_cbranch_scc1 .LBB3_1164
; %bb.1162:                             ;   in Loop: Header=BB3_1158 Depth=1
	s_mov_b64 s[10:11], 0
	s_mov_b64 s[16:17], 0
.LBB3_1163:                             ;   Parent Loop BB3_1158 Depth=1
                                        ; =>  This Inner Loop Header: Depth=2
	s_wait_alu 0xfffe
	s_add_nc_u64 s[20:21], s[0:1], s[16:17]
	s_add_nc_u64 s[16:17], s[16:17], 1
	global_load_u8 v2, v10, s[20:21]
	s_wait_alu 0xfffe
	s_cmp_lg_u32 s18, s16
	s_wait_loadcnt 0x0
	v_and_b32_e32 v9, 0xffff, v2
	s_delay_alu instid0(VALU_DEP_1) | instskip(SKIP_1) | instid1(VALU_DEP_1)
	v_lshlrev_b64_e32 v[2:3], s10, v[9:10]
	s_add_nc_u64 s[10:11], s[10:11], 8
	v_or_b32_e32 v17, v2, v17
	s_delay_alu instid0(VALU_DEP_2)
	v_or_b32_e32 v18, v3, v18
	s_cbranch_scc1 .LBB3_1163
.LBB3_1164:                             ;   in Loop: Header=BB3_1158 Depth=1
	s_mov_b32 s19, 0
	s_cbranch_execz .LBB3_1171
	s_branch .LBB3_1172
.LBB3_1165:                             ;   in Loop: Header=BB3_1158 Depth=1
	v_mov_b32_e32 v15, 0
	v_mov_b32_e32 v16, 0
	s_cmp_eq_u64 s[4:5], 0
	s_mov_b64 s[0:1], 0
	s_cbranch_scc1 .LBB3_1168
; %bb.1166:                             ;   in Loop: Header=BB3_1158 Depth=1
	v_mov_b32_e32 v15, 0
	v_mov_b32_e32 v16, 0
	s_mov_b64 s[10:11], 0
.LBB3_1167:                             ;   Parent Loop BB3_1158 Depth=1
                                        ; =>  This Inner Loop Header: Depth=2
	s_wait_alu 0xfffe
	s_add_nc_u64 s[16:17], s[2:3], s[10:11]
	s_add_nc_u64 s[10:11], s[10:11], 1
	global_load_u8 v2, v10, s[16:17]
	s_wait_alu 0xfffe
	s_cmp_lg_u32 s6, s10
	s_wait_loadcnt 0x0
	v_and_b32_e32 v9, 0xffff, v2
	s_delay_alu instid0(VALU_DEP_1) | instskip(SKIP_1) | instid1(VALU_DEP_1)
	v_lshlrev_b64_e32 v[2:3], s0, v[9:10]
	s_add_nc_u64 s[0:1], s[0:1], 8
	v_or_b32_e32 v15, v2, v15
	s_delay_alu instid0(VALU_DEP_2)
	v_or_b32_e32 v16, v3, v16
	s_cbranch_scc1 .LBB3_1167
.LBB3_1168:                             ;   in Loop: Header=BB3_1158 Depth=1
	s_mov_b32 s18, 0
	s_mov_b64 s[0:1], s[2:3]
	s_cbranch_execnz .LBB3_1160
.LBB3_1169:                             ;   in Loop: Header=BB3_1158 Depth=1
	global_load_b64 v[15:16], v10, s[2:3]
	s_add_co_i32 s18, s6, -8
	s_add_nc_u64 s[0:1], s[2:3], 8
	s_wait_alu 0xfffe
	s_cmp_gt_u32 s18, 7
	s_cbranch_scc0 .LBB3_1161
.LBB3_1170:                             ;   in Loop: Header=BB3_1158 Depth=1
                                        ; implicit-def: $vgpr17_vgpr18
                                        ; implicit-def: $sgpr19
.LBB3_1171:                             ;   in Loop: Header=BB3_1158 Depth=1
	global_load_b64 v[17:18], v10, s[0:1]
	s_add_co_i32 s19, s18, -8
	s_add_nc_u64 s[0:1], s[0:1], 8
.LBB3_1172:                             ;   in Loop: Header=BB3_1158 Depth=1
	s_wait_alu 0xfffe
	s_cmp_gt_u32 s19, 7
	s_cbranch_scc1 .LBB3_1177
; %bb.1173:                             ;   in Loop: Header=BB3_1158 Depth=1
	v_mov_b32_e32 v19, 0
	v_mov_b32_e32 v20, 0
	s_cmp_eq_u32 s19, 0
	s_cbranch_scc1 .LBB3_1176
; %bb.1174:                             ;   in Loop: Header=BB3_1158 Depth=1
	s_mov_b64 s[10:11], 0
	s_mov_b64 s[16:17], 0
.LBB3_1175:                             ;   Parent Loop BB3_1158 Depth=1
                                        ; =>  This Inner Loop Header: Depth=2
	s_wait_alu 0xfffe
	s_add_nc_u64 s[20:21], s[0:1], s[16:17]
	s_add_nc_u64 s[16:17], s[16:17], 1
	global_load_u8 v2, v10, s[20:21]
	s_wait_alu 0xfffe
	s_cmp_lg_u32 s19, s16
	s_wait_loadcnt 0x0
	v_and_b32_e32 v9, 0xffff, v2
	s_delay_alu instid0(VALU_DEP_1) | instskip(SKIP_1) | instid1(VALU_DEP_1)
	v_lshlrev_b64_e32 v[2:3], s10, v[9:10]
	s_add_nc_u64 s[10:11], s[10:11], 8
	v_or_b32_e32 v19, v2, v19
	s_delay_alu instid0(VALU_DEP_2)
	v_or_b32_e32 v20, v3, v20
	s_cbranch_scc1 .LBB3_1175
.LBB3_1176:                             ;   in Loop: Header=BB3_1158 Depth=1
	s_mov_b32 s18, 0
	s_cbranch_execz .LBB3_1178
	s_branch .LBB3_1179
.LBB3_1177:                             ;   in Loop: Header=BB3_1158 Depth=1
                                        ; implicit-def: $sgpr18
.LBB3_1178:                             ;   in Loop: Header=BB3_1158 Depth=1
	global_load_b64 v[19:20], v10, s[0:1]
	s_add_co_i32 s18, s19, -8
	s_add_nc_u64 s[0:1], s[0:1], 8
.LBB3_1179:                             ;   in Loop: Header=BB3_1158 Depth=1
	s_wait_alu 0xfffe
	s_cmp_gt_u32 s18, 7
	s_cbranch_scc1 .LBB3_1184
; %bb.1180:                             ;   in Loop: Header=BB3_1158 Depth=1
	v_mov_b32_e32 v21, 0
	v_mov_b32_e32 v22, 0
	s_cmp_eq_u32 s18, 0
	s_cbranch_scc1 .LBB3_1183
; %bb.1181:                             ;   in Loop: Header=BB3_1158 Depth=1
	s_mov_b64 s[10:11], 0
	s_mov_b64 s[16:17], 0
.LBB3_1182:                             ;   Parent Loop BB3_1158 Depth=1
                                        ; =>  This Inner Loop Header: Depth=2
	s_wait_alu 0xfffe
	s_add_nc_u64 s[20:21], s[0:1], s[16:17]
	s_add_nc_u64 s[16:17], s[16:17], 1
	global_load_u8 v2, v10, s[20:21]
	s_wait_alu 0xfffe
	s_cmp_lg_u32 s18, s16
	s_wait_loadcnt 0x0
	v_and_b32_e32 v9, 0xffff, v2
	s_delay_alu instid0(VALU_DEP_1) | instskip(SKIP_1) | instid1(VALU_DEP_1)
	v_lshlrev_b64_e32 v[2:3], s10, v[9:10]
	s_add_nc_u64 s[10:11], s[10:11], 8
	v_or_b32_e32 v21, v2, v21
	s_delay_alu instid0(VALU_DEP_2)
	v_or_b32_e32 v22, v3, v22
	s_cbranch_scc1 .LBB3_1182
.LBB3_1183:                             ;   in Loop: Header=BB3_1158 Depth=1
	s_mov_b32 s19, 0
	s_cbranch_execz .LBB3_1185
	s_branch .LBB3_1186
.LBB3_1184:                             ;   in Loop: Header=BB3_1158 Depth=1
                                        ; implicit-def: $vgpr21_vgpr22
                                        ; implicit-def: $sgpr19
.LBB3_1185:                             ;   in Loop: Header=BB3_1158 Depth=1
	global_load_b64 v[21:22], v10, s[0:1]
	s_add_co_i32 s19, s18, -8
	s_add_nc_u64 s[0:1], s[0:1], 8
.LBB3_1186:                             ;   in Loop: Header=BB3_1158 Depth=1
	s_wait_alu 0xfffe
	s_cmp_gt_u32 s19, 7
	s_cbranch_scc1 .LBB3_1191
; %bb.1187:                             ;   in Loop: Header=BB3_1158 Depth=1
	v_mov_b32_e32 v23, 0
	v_mov_b32_e32 v24, 0
	s_cmp_eq_u32 s19, 0
	s_cbranch_scc1 .LBB3_1190
; %bb.1188:                             ;   in Loop: Header=BB3_1158 Depth=1
	s_mov_b64 s[10:11], 0
	s_mov_b64 s[16:17], 0
.LBB3_1189:                             ;   Parent Loop BB3_1158 Depth=1
                                        ; =>  This Inner Loop Header: Depth=2
	s_wait_alu 0xfffe
	s_add_nc_u64 s[20:21], s[0:1], s[16:17]
	s_add_nc_u64 s[16:17], s[16:17], 1
	global_load_u8 v2, v10, s[20:21]
	s_wait_alu 0xfffe
	s_cmp_lg_u32 s19, s16
	s_wait_loadcnt 0x0
	v_and_b32_e32 v9, 0xffff, v2
	s_delay_alu instid0(VALU_DEP_1) | instskip(SKIP_1) | instid1(VALU_DEP_1)
	v_lshlrev_b64_e32 v[2:3], s10, v[9:10]
	s_add_nc_u64 s[10:11], s[10:11], 8
	v_or_b32_e32 v23, v2, v23
	s_delay_alu instid0(VALU_DEP_2)
	v_or_b32_e32 v24, v3, v24
	s_cbranch_scc1 .LBB3_1189
.LBB3_1190:                             ;   in Loop: Header=BB3_1158 Depth=1
	s_mov_b32 s18, 0
	s_cbranch_execz .LBB3_1192
	s_branch .LBB3_1193
.LBB3_1191:                             ;   in Loop: Header=BB3_1158 Depth=1
                                        ; implicit-def: $sgpr18
.LBB3_1192:                             ;   in Loop: Header=BB3_1158 Depth=1
	global_load_b64 v[23:24], v10, s[0:1]
	s_add_co_i32 s18, s19, -8
	s_add_nc_u64 s[0:1], s[0:1], 8
.LBB3_1193:                             ;   in Loop: Header=BB3_1158 Depth=1
	s_wait_alu 0xfffe
	s_cmp_gt_u32 s18, 7
	s_cbranch_scc1 .LBB3_1198
; %bb.1194:                             ;   in Loop: Header=BB3_1158 Depth=1
	v_mov_b32_e32 v25, 0
	v_mov_b32_e32 v26, 0
	s_cmp_eq_u32 s18, 0
	s_cbranch_scc1 .LBB3_1197
; %bb.1195:                             ;   in Loop: Header=BB3_1158 Depth=1
	s_mov_b64 s[10:11], 0
	s_mov_b64 s[16:17], 0
.LBB3_1196:                             ;   Parent Loop BB3_1158 Depth=1
                                        ; =>  This Inner Loop Header: Depth=2
	s_wait_alu 0xfffe
	s_add_nc_u64 s[20:21], s[0:1], s[16:17]
	s_add_nc_u64 s[16:17], s[16:17], 1
	global_load_u8 v2, v10, s[20:21]
	s_wait_alu 0xfffe
	s_cmp_lg_u32 s18, s16
	s_wait_loadcnt 0x0
	v_and_b32_e32 v9, 0xffff, v2
	s_delay_alu instid0(VALU_DEP_1) | instskip(SKIP_1) | instid1(VALU_DEP_1)
	v_lshlrev_b64_e32 v[2:3], s10, v[9:10]
	s_add_nc_u64 s[10:11], s[10:11], 8
	v_or_b32_e32 v25, v2, v25
	s_delay_alu instid0(VALU_DEP_2)
	v_or_b32_e32 v26, v3, v26
	s_cbranch_scc1 .LBB3_1196
.LBB3_1197:                             ;   in Loop: Header=BB3_1158 Depth=1
	s_mov_b32 s19, 0
	s_cbranch_execz .LBB3_1199
	s_branch .LBB3_1200
.LBB3_1198:                             ;   in Loop: Header=BB3_1158 Depth=1
                                        ; implicit-def: $vgpr25_vgpr26
                                        ; implicit-def: $sgpr19
.LBB3_1199:                             ;   in Loop: Header=BB3_1158 Depth=1
	global_load_b64 v[25:26], v10, s[0:1]
	s_add_co_i32 s19, s18, -8
	s_add_nc_u64 s[0:1], s[0:1], 8
.LBB3_1200:                             ;   in Loop: Header=BB3_1158 Depth=1
	s_wait_alu 0xfffe
	s_cmp_gt_u32 s19, 7
	s_cbranch_scc1 .LBB3_1205
; %bb.1201:                             ;   in Loop: Header=BB3_1158 Depth=1
	v_mov_b32_e32 v27, 0
	v_mov_b32_e32 v28, 0
	s_cmp_eq_u32 s19, 0
	s_cbranch_scc1 .LBB3_1204
; %bb.1202:                             ;   in Loop: Header=BB3_1158 Depth=1
	s_mov_b64 s[10:11], 0
	s_mov_b64 s[16:17], s[0:1]
.LBB3_1203:                             ;   Parent Loop BB3_1158 Depth=1
                                        ; =>  This Inner Loop Header: Depth=2
	global_load_u8 v2, v10, s[16:17]
	s_add_co_i32 s19, s19, -1
	s_wait_alu 0xfffe
	s_add_nc_u64 s[16:17], s[16:17], 1
	s_cmp_lg_u32 s19, 0
	s_wait_loadcnt 0x0
	v_and_b32_e32 v9, 0xffff, v2
	s_delay_alu instid0(VALU_DEP_1) | instskip(SKIP_1) | instid1(VALU_DEP_1)
	v_lshlrev_b64_e32 v[2:3], s10, v[9:10]
	s_add_nc_u64 s[10:11], s[10:11], 8
	v_or_b32_e32 v27, v2, v27
	s_delay_alu instid0(VALU_DEP_2)
	v_or_b32_e32 v28, v3, v28
	s_cbranch_scc1 .LBB3_1203
.LBB3_1204:                             ;   in Loop: Header=BB3_1158 Depth=1
	s_cbranch_execz .LBB3_1206
	s_branch .LBB3_1207
.LBB3_1205:                             ;   in Loop: Header=BB3_1158 Depth=1
.LBB3_1206:                             ;   in Loop: Header=BB3_1158 Depth=1
	global_load_b64 v[27:28], v10, s[0:1]
.LBB3_1207:                             ;   in Loop: Header=BB3_1158 Depth=1
	v_readfirstlane_b32 s0, v50
	v_mov_b32_e32 v2, 0
	v_mov_b32_e32 v3, 0
	s_wait_alu 0xf1ff
	s_delay_alu instid0(VALU_DEP_3) | instskip(NEXT) | instid1(VALU_DEP_1)
	v_cmp_eq_u32_e64 s0, s0, v50
	s_and_saveexec_b32 s1, s0
	s_cbranch_execz .LBB3_1213
; %bb.1208:                             ;   in Loop: Header=BB3_1158 Depth=1
	global_load_b64 v[31:32], v10, s[22:23] offset:24 scope:SCOPE_SYS
	s_wait_loadcnt 0x0
	global_inv scope:SCOPE_SYS
	s_clause 0x1
	global_load_b64 v[2:3], v10, s[22:23] offset:40
	global_load_b64 v[8:9], v10, s[22:23]
	s_mov_b32 s10, exec_lo
	s_wait_loadcnt 0x1
	v_and_b32_e32 v3, v3, v32
	v_and_b32_e32 v2, v2, v31
	s_delay_alu instid0(VALU_DEP_2) | instskip(NEXT) | instid1(VALU_DEP_2)
	v_mul_lo_u32 v3, 24, v3
	v_mul_lo_u32 v13, 0, v2
	v_mul_hi_u32 v14, 24, v2
	v_mul_lo_u32 v2, 24, v2
	s_delay_alu instid0(VALU_DEP_3) | instskip(SKIP_1) | instid1(VALU_DEP_2)
	v_add_nc_u32_e32 v3, v3, v13
	s_wait_loadcnt 0x0
	v_add_co_u32 v2, vcc_lo, v8, v2
	s_delay_alu instid0(VALU_DEP_2) | instskip(SKIP_1) | instid1(VALU_DEP_1)
	v_add_nc_u32_e32 v3, v3, v14
	s_wait_alu 0xfffd
	v_add_co_ci_u32_e32 v3, vcc_lo, v9, v3, vcc_lo
	global_load_b64 v[29:30], v[2:3], off scope:SCOPE_SYS
	s_wait_loadcnt 0x0
	global_atomic_cmpswap_b64 v[2:3], v10, v[29:32], s[22:23] offset:24 th:TH_ATOMIC_RETURN scope:SCOPE_SYS
	s_wait_loadcnt 0x0
	global_inv scope:SCOPE_SYS
	v_cmpx_ne_u64_e64 v[2:3], v[31:32]
	s_cbranch_execz .LBB3_1212
; %bb.1209:                             ;   in Loop: Header=BB3_1158 Depth=1
	s_mov_b32 s11, 0
.LBB3_1210:                             ;   Parent Loop BB3_1158 Depth=1
                                        ; =>  This Inner Loop Header: Depth=2
	s_sleep 1
	s_clause 0x1
	global_load_b64 v[8:9], v10, s[22:23] offset:40
	global_load_b64 v[13:14], v10, s[22:23]
	v_dual_mov_b32 v32, v3 :: v_dual_mov_b32 v31, v2
	s_wait_loadcnt 0x1
	s_delay_alu instid0(VALU_DEP_1) | instskip(NEXT) | instid1(VALU_DEP_2)
	v_and_b32_e32 v2, v8, v31
	v_and_b32_e32 v8, v9, v32
	s_wait_loadcnt 0x0
	s_delay_alu instid0(VALU_DEP_2) | instskip(NEXT) | instid1(VALU_DEP_1)
	v_mad_co_u64_u32 v[2:3], null, v2, 24, v[13:14]
	v_mad_co_u64_u32 v[8:9], null, v8, 24, v[3:4]
	s_delay_alu instid0(VALU_DEP_1)
	v_mov_b32_e32 v3, v8
	global_load_b64 v[29:30], v[2:3], off scope:SCOPE_SYS
	s_wait_loadcnt 0x0
	global_atomic_cmpswap_b64 v[2:3], v10, v[29:32], s[22:23] offset:24 th:TH_ATOMIC_RETURN scope:SCOPE_SYS
	s_wait_loadcnt 0x0
	global_inv scope:SCOPE_SYS
	v_cmp_eq_u64_e32 vcc_lo, v[2:3], v[31:32]
	s_wait_alu 0xfffe
	s_or_b32 s11, vcc_lo, s11
	s_wait_alu 0xfffe
	s_and_not1_b32 exec_lo, exec_lo, s11
	s_cbranch_execnz .LBB3_1210
; %bb.1211:                             ;   in Loop: Header=BB3_1158 Depth=1
	s_or_b32 exec_lo, exec_lo, s11
.LBB3_1212:                             ;   in Loop: Header=BB3_1158 Depth=1
	s_wait_alu 0xfffe
	s_or_b32 exec_lo, exec_lo, s10
.LBB3_1213:                             ;   in Loop: Header=BB3_1158 Depth=1
	s_wait_alu 0xfffe
	s_or_b32 exec_lo, exec_lo, s1
	s_clause 0x1
	global_load_b64 v[8:9], v10, s[22:23] offset:40
	global_load_b128 v[29:32], v10, s[22:23]
	v_readfirstlane_b32 s1, v3
	v_readfirstlane_b32 s10, v2
	s_mov_b32 s11, exec_lo
	s_wait_loadcnt 0x1
	s_wait_alu 0xf1ff
	v_and_b32_e32 v14, s1, v9
	v_and_b32_e32 v13, s10, v8
	s_delay_alu instid0(VALU_DEP_2) | instskip(NEXT) | instid1(VALU_DEP_2)
	v_mul_lo_u32 v2, 24, v14
	v_mul_lo_u32 v3, 0, v13
	v_mul_hi_u32 v8, 24, v13
	v_mul_lo_u32 v9, 24, v13
	s_delay_alu instid0(VALU_DEP_3) | instskip(NEXT) | instid1(VALU_DEP_1)
	v_add_nc_u32_e32 v2, v2, v3
	v_add_nc_u32_e32 v3, v2, v8
	s_wait_loadcnt 0x0
	s_delay_alu instid0(VALU_DEP_3) | instskip(SKIP_1) | instid1(VALU_DEP_2)
	v_add_co_u32 v2, vcc_lo, v29, v9
	s_wait_alu 0xfffd
	v_add_co_ci_u32_e32 v3, vcc_lo, v30, v3, vcc_lo
	s_and_saveexec_b32 s16, s0
	s_cbranch_execz .LBB3_1215
; %bb.1214:                             ;   in Loop: Header=BB3_1158 Depth=1
	s_wait_alu 0xfffe
	v_mov_b32_e32 v9, s11
	global_store_b128 v[2:3], v[9:12], off offset:8
.LBB3_1215:                             ;   in Loop: Header=BB3_1158 Depth=1
	s_wait_alu 0xfffe
	s_or_b32 exec_lo, exec_lo, s16
	v_cmp_gt_u64_e64 vcc_lo, s[4:5], 56
	v_lshlrev_b64_e32 v[8:9], 12, v[13:14]
	v_or_b32_e32 v34, 0, v7
	v_or_b32_e32 v35, v6, v33
	s_lshl_b32 s11, s6, 2
	s_wait_alu 0xfffe
	s_add_co_i32 s11, s11, 28
	s_wait_alu 0xfffd
	v_cndmask_b32_e32 v14, v34, v7, vcc_lo
	v_cndmask_b32_e32 v6, v35, v6, vcc_lo
	v_add_co_u32 v31, vcc_lo, v31, v8
	s_wait_alu 0xfffd
	v_add_co_ci_u32_e32 v32, vcc_lo, v32, v9, vcc_lo
	s_wait_alu 0xfffe
	s_and_b32 s11, s11, 0x1e0
	v_readfirstlane_b32 s16, v31
	s_wait_alu 0xfffe
	v_and_or_b32 v13, 0xffffff1f, v6, s11
	v_readfirstlane_b32 s17, v32
	s_clause 0x3
	global_store_b128 v39, v[13:16], s[16:17]
	global_store_b128 v39, v[17:20], s[16:17] offset:16
	global_store_b128 v39, v[21:24], s[16:17] offset:32
	;; [unrolled: 1-line block ×3, first 2 shown]
	s_and_saveexec_b32 s11, s0
	s_cbranch_execz .LBB3_1223
; %bb.1216:                             ;   in Loop: Header=BB3_1158 Depth=1
	s_clause 0x1
	global_load_b64 v[17:18], v10, s[22:23] offset:32 scope:SCOPE_SYS
	global_load_b64 v[6:7], v10, s[22:23] offset:40
	s_mov_b32 s16, exec_lo
	v_dual_mov_b32 v15, s10 :: v_dual_mov_b32 v16, s1
	s_wait_loadcnt 0x0
	v_and_b32_e32 v7, s1, v7
	v_and_b32_e32 v6, s10, v6
	s_delay_alu instid0(VALU_DEP_2) | instskip(NEXT) | instid1(VALU_DEP_2)
	v_mul_lo_u32 v7, 24, v7
	v_mul_lo_u32 v8, 0, v6
	v_mul_hi_u32 v9, 24, v6
	v_mul_lo_u32 v6, 24, v6
	s_delay_alu instid0(VALU_DEP_3) | instskip(NEXT) | instid1(VALU_DEP_2)
	v_add_nc_u32_e32 v7, v7, v8
	v_add_co_u32 v13, vcc_lo, v29, v6
	s_delay_alu instid0(VALU_DEP_2) | instskip(SKIP_1) | instid1(VALU_DEP_1)
	v_add_nc_u32_e32 v7, v7, v9
	s_wait_alu 0xfffd
	v_add_co_ci_u32_e32 v14, vcc_lo, v30, v7, vcc_lo
	global_store_b64 v[13:14], v[17:18], off
	global_wb scope:SCOPE_SYS
	s_wait_storecnt 0x0
	global_atomic_cmpswap_b64 v[8:9], v10, v[15:18], s[22:23] offset:32 th:TH_ATOMIC_RETURN scope:SCOPE_SYS
	s_wait_loadcnt 0x0
	v_cmpx_ne_u64_e64 v[8:9], v[17:18]
	s_cbranch_execz .LBB3_1219
; %bb.1217:                             ;   in Loop: Header=BB3_1158 Depth=1
	s_mov_b32 s17, 0
.LBB3_1218:                             ;   Parent Loop BB3_1158 Depth=1
                                        ; =>  This Inner Loop Header: Depth=2
	v_dual_mov_b32 v6, s10 :: v_dual_mov_b32 v7, s1
	s_sleep 1
	global_store_b64 v[13:14], v[8:9], off
	global_wb scope:SCOPE_SYS
	s_wait_storecnt 0x0
	global_atomic_cmpswap_b64 v[6:7], v10, v[6:9], s[22:23] offset:32 th:TH_ATOMIC_RETURN scope:SCOPE_SYS
	s_wait_loadcnt 0x0
	v_cmp_eq_u64_e32 vcc_lo, v[6:7], v[8:9]
	v_dual_mov_b32 v9, v7 :: v_dual_mov_b32 v8, v6
	s_wait_alu 0xfffe
	s_or_b32 s17, vcc_lo, s17
	s_wait_alu 0xfffe
	s_and_not1_b32 exec_lo, exec_lo, s17
	s_cbranch_execnz .LBB3_1218
.LBB3_1219:                             ;   in Loop: Header=BB3_1158 Depth=1
	s_wait_alu 0xfffe
	s_or_b32 exec_lo, exec_lo, s16
	global_load_b64 v[6:7], v10, s[22:23] offset:16
	s_mov_b32 s17, exec_lo
	s_mov_b32 s16, exec_lo
	s_wait_alu 0xfffe
	v_mbcnt_lo_u32_b32 v8, s17, 0
	s_delay_alu instid0(VALU_DEP_1)
	v_cmpx_eq_u32_e32 0, v8
	s_cbranch_execz .LBB3_1221
; %bb.1220:                             ;   in Loop: Header=BB3_1158 Depth=1
	s_bcnt1_i32_b32 s17, s17
	s_wait_alu 0xfffe
	v_mov_b32_e32 v9, s17
	global_wb scope:SCOPE_SYS
	s_wait_loadcnt 0x0
	global_atomic_add_u64 v[6:7], v[9:10], off offset:8 scope:SCOPE_SYS
.LBB3_1221:                             ;   in Loop: Header=BB3_1158 Depth=1
	s_or_b32 exec_lo, exec_lo, s16
	s_wait_loadcnt 0x0
	global_load_b64 v[13:14], v[6:7], off offset:16
	s_wait_loadcnt 0x0
	v_cmp_eq_u64_e32 vcc_lo, 0, v[13:14]
	s_cbranch_vccnz .LBB3_1223
; %bb.1222:                             ;   in Loop: Header=BB3_1158 Depth=1
	global_load_b32 v9, v[6:7], off offset:24
	s_wait_loadcnt 0x0
	v_and_b32_e32 v6, 0xffffff, v9
	global_wb scope:SCOPE_SYS
	s_wait_storecnt 0x0
	global_store_b64 v[13:14], v[9:10], off scope:SCOPE_SYS
	v_readfirstlane_b32 m0, v6
	s_sendmsg sendmsg(MSG_INTERRUPT)
.LBB3_1223:                             ;   in Loop: Header=BB3_1158 Depth=1
	s_wait_alu 0xfffe
	s_or_b32 exec_lo, exec_lo, s11
	v_add_co_u32 v6, vcc_lo, v31, v39
	s_wait_alu 0xfffd
	v_add_co_ci_u32_e32 v7, vcc_lo, 0, v32, vcc_lo
	s_branch .LBB3_1227
.LBB3_1224:                             ;   in Loop: Header=BB3_1227 Depth=2
	s_wait_alu 0xfffe
	s_or_b32 exec_lo, exec_lo, s11
	s_delay_alu instid0(VALU_DEP_1) | instskip(NEXT) | instid1(VALU_DEP_1)
	v_readfirstlane_b32 s11, v8
	s_cmp_eq_u32 s11, 0
	s_cbranch_scc1 .LBB3_1226
; %bb.1225:                             ;   in Loop: Header=BB3_1227 Depth=2
	s_sleep 1
	s_cbranch_execnz .LBB3_1227
	s_branch .LBB3_1229
.LBB3_1226:                             ;   in Loop: Header=BB3_1158 Depth=1
	s_branch .LBB3_1229
.LBB3_1227:                             ;   Parent Loop BB3_1158 Depth=1
                                        ; =>  This Inner Loop Header: Depth=2
	v_mov_b32_e32 v8, 1
	s_and_saveexec_b32 s11, s0
	s_cbranch_execz .LBB3_1224
; %bb.1228:                             ;   in Loop: Header=BB3_1227 Depth=2
	global_load_b32 v8, v[2:3], off offset:20 scope:SCOPE_SYS
	s_wait_loadcnt 0x0
	global_inv scope:SCOPE_SYS
	v_and_b32_e32 v8, 1, v8
	s_branch .LBB3_1224
.LBB3_1229:                             ;   in Loop: Header=BB3_1158 Depth=1
	global_load_b128 v[6:9], v[6:7], off
	s_and_saveexec_b32 s11, s0
	s_cbranch_execz .LBB3_1157
; %bb.1230:                             ;   in Loop: Header=BB3_1158 Depth=1
	s_clause 0x2
	global_load_b64 v[2:3], v10, s[22:23] offset:40
	global_load_b64 v[8:9], v10, s[22:23] offset:24 scope:SCOPE_SYS
	global_load_b64 v[15:16], v10, s[22:23]
	s_wait_loadcnt 0x2
	v_add_co_u32 v17, vcc_lo, v2, 1
	s_wait_alu 0xfffd
	v_add_co_ci_u32_e32 v18, vcc_lo, 0, v3, vcc_lo
	s_delay_alu instid0(VALU_DEP_2) | instskip(SKIP_1) | instid1(VALU_DEP_2)
	v_add_co_u32 v13, vcc_lo, v17, s10
	s_wait_alu 0xfffd
	v_add_co_ci_u32_e32 v14, vcc_lo, s1, v18, vcc_lo
	s_delay_alu instid0(VALU_DEP_1) | instskip(SKIP_2) | instid1(VALU_DEP_1)
	v_cmp_eq_u64_e32 vcc_lo, 0, v[13:14]
	s_wait_alu 0xfffd
	v_dual_cndmask_b32 v14, v14, v18 :: v_dual_cndmask_b32 v13, v13, v17
	v_and_b32_e32 v3, v14, v3
	s_delay_alu instid0(VALU_DEP_2) | instskip(NEXT) | instid1(VALU_DEP_2)
	v_and_b32_e32 v2, v13, v2
	v_mul_lo_u32 v3, 24, v3
	s_delay_alu instid0(VALU_DEP_2) | instskip(SKIP_2) | instid1(VALU_DEP_3)
	v_mul_lo_u32 v17, 0, v2
	v_mul_hi_u32 v18, 24, v2
	v_mul_lo_u32 v2, 24, v2
	v_add_nc_u32_e32 v3, v3, v17
	s_wait_loadcnt 0x0
	s_delay_alu instid0(VALU_DEP_2) | instskip(SKIP_1) | instid1(VALU_DEP_3)
	v_add_co_u32 v2, vcc_lo, v15, v2
	v_mov_b32_e32 v15, v8
	v_add_nc_u32_e32 v3, v3, v18
	s_wait_alu 0xfffd
	s_delay_alu instid0(VALU_DEP_1)
	v_add_co_ci_u32_e32 v3, vcc_lo, v16, v3, vcc_lo
	v_mov_b32_e32 v16, v9
	global_store_b64 v[2:3], v[8:9], off
	global_wb scope:SCOPE_SYS
	s_wait_storecnt 0x0
	global_atomic_cmpswap_b64 v[15:16], v10, v[13:16], s[22:23] offset:24 th:TH_ATOMIC_RETURN scope:SCOPE_SYS
	s_wait_loadcnt 0x0
	v_cmp_ne_u64_e32 vcc_lo, v[15:16], v[8:9]
	s_and_b32 exec_lo, exec_lo, vcc_lo
	s_cbranch_execz .LBB3_1157
; %bb.1231:                             ;   in Loop: Header=BB3_1158 Depth=1
	s_mov_b32 s0, 0
.LBB3_1232:                             ;   Parent Loop BB3_1158 Depth=1
                                        ; =>  This Inner Loop Header: Depth=2
	s_sleep 1
	global_store_b64 v[2:3], v[15:16], off
	global_wb scope:SCOPE_SYS
	s_wait_storecnt 0x0
	global_atomic_cmpswap_b64 v[8:9], v10, v[13:16], s[22:23] offset:24 th:TH_ATOMIC_RETURN scope:SCOPE_SYS
	s_wait_loadcnt 0x0
	v_cmp_eq_u64_e32 vcc_lo, v[8:9], v[15:16]
	v_dual_mov_b32 v16, v9 :: v_dual_mov_b32 v15, v8
	s_wait_alu 0xfffe
	s_or_b32 s0, vcc_lo, s0
	s_wait_alu 0xfffe
	s_and_not1_b32 exec_lo, exec_lo, s0
	s_cbranch_execnz .LBB3_1232
	s_branch .LBB3_1157
.LBB3_1233:
	s_branch .LBB3_1262
.LBB3_1234:
                                        ; implicit-def: $vgpr6_vgpr7
	s_cbranch_execz .LBB3_1262
; %bb.1235:
	v_readfirstlane_b32 s0, v50
	v_mov_b32_e32 v10, 0
	v_mov_b32_e32 v11, 0
	s_wait_alu 0xf1ff
	s_delay_alu instid0(VALU_DEP_3) | instskip(NEXT) | instid1(VALU_DEP_1)
	v_cmp_eq_u32_e64 s0, s0, v50
	s_and_saveexec_b32 s1, s0
	s_cbranch_execz .LBB3_1241
; %bb.1236:
	v_mov_b32_e32 v2, 0
	s_mov_b32 s2, exec_lo
	global_load_b64 v[8:9], v2, s[22:23] offset:24 scope:SCOPE_SYS
	s_wait_loadcnt 0x0
	global_inv scope:SCOPE_SYS
	s_clause 0x1
	global_load_b64 v[6:7], v2, s[22:23] offset:40
	global_load_b64 v[10:11], v2, s[22:23]
	s_wait_loadcnt 0x1
	v_and_b32_e32 v3, v7, v9
	v_and_b32_e32 v6, v6, v8
	s_delay_alu instid0(VALU_DEP_2) | instskip(NEXT) | instid1(VALU_DEP_2)
	v_mul_lo_u32 v3, 24, v3
	v_mul_lo_u32 v7, 0, v6
	v_mul_hi_u32 v12, 24, v6
	v_mul_lo_u32 v6, 24, v6
	s_delay_alu instid0(VALU_DEP_3) | instskip(SKIP_1) | instid1(VALU_DEP_2)
	v_add_nc_u32_e32 v3, v3, v7
	s_wait_loadcnt 0x0
	v_add_co_u32 v6, vcc_lo, v10, v6
	s_delay_alu instid0(VALU_DEP_2) | instskip(SKIP_1) | instid1(VALU_DEP_1)
	v_add_nc_u32_e32 v3, v3, v12
	s_wait_alu 0xfffd
	v_add_co_ci_u32_e32 v7, vcc_lo, v11, v3, vcc_lo
	global_load_b64 v[6:7], v[6:7], off scope:SCOPE_SYS
	s_wait_loadcnt 0x0
	global_atomic_cmpswap_b64 v[10:11], v2, v[6:9], s[22:23] offset:24 th:TH_ATOMIC_RETURN scope:SCOPE_SYS
	s_wait_loadcnt 0x0
	global_inv scope:SCOPE_SYS
	v_cmpx_ne_u64_e64 v[10:11], v[8:9]
	s_cbranch_execz .LBB3_1240
; %bb.1237:
	s_mov_b32 s3, 0
.LBB3_1238:                             ; =>This Inner Loop Header: Depth=1
	s_sleep 1
	s_clause 0x1
	global_load_b64 v[6:7], v2, s[22:23] offset:40
	global_load_b64 v[12:13], v2, s[22:23]
	v_dual_mov_b32 v8, v10 :: v_dual_mov_b32 v9, v11
	s_wait_loadcnt 0x1
	s_delay_alu instid0(VALU_DEP_1) | instskip(NEXT) | instid1(VALU_DEP_2)
	v_and_b32_e32 v3, v6, v8
	v_and_b32_e32 v6, v7, v9
	s_wait_loadcnt 0x0
	s_delay_alu instid0(VALU_DEP_2) | instskip(NEXT) | instid1(VALU_DEP_1)
	v_mad_co_u64_u32 v[10:11], null, v3, 24, v[12:13]
	v_mov_b32_e32 v3, v11
	s_delay_alu instid0(VALU_DEP_1) | instskip(NEXT) | instid1(VALU_DEP_1)
	v_mad_co_u64_u32 v[6:7], null, v6, 24, v[3:4]
	v_mov_b32_e32 v11, v6
	global_load_b64 v[6:7], v[10:11], off scope:SCOPE_SYS
	s_wait_loadcnt 0x0
	global_atomic_cmpswap_b64 v[10:11], v2, v[6:9], s[22:23] offset:24 th:TH_ATOMIC_RETURN scope:SCOPE_SYS
	s_wait_loadcnt 0x0
	global_inv scope:SCOPE_SYS
	v_cmp_eq_u64_e32 vcc_lo, v[10:11], v[8:9]
	s_wait_alu 0xfffe
	s_or_b32 s3, vcc_lo, s3
	s_wait_alu 0xfffe
	s_and_not1_b32 exec_lo, exec_lo, s3
	s_cbranch_execnz .LBB3_1238
; %bb.1239:
	s_or_b32 exec_lo, exec_lo, s3
.LBB3_1240:
	s_wait_alu 0xfffe
	s_or_b32 exec_lo, exec_lo, s2
.LBB3_1241:
	s_wait_alu 0xfffe
	s_or_b32 exec_lo, exec_lo, s1
	v_readfirstlane_b32 s1, v11
	v_mov_b32_e32 v2, 0
	v_readfirstlane_b32 s2, v10
	s_mov_b32 s3, exec_lo
	s_clause 0x1
	global_load_b64 v[12:13], v2, s[22:23] offset:40
	global_load_b128 v[6:9], v2, s[22:23]
	s_wait_loadcnt 0x1
	s_wait_alu 0xf1ff
	v_and_b32_e32 v13, s1, v13
	v_and_b32_e32 v12, s2, v12
	s_delay_alu instid0(VALU_DEP_2) | instskip(NEXT) | instid1(VALU_DEP_2)
	v_mul_lo_u32 v3, 24, v13
	v_mul_lo_u32 v10, 0, v12
	v_mul_hi_u32 v11, 24, v12
	v_mul_lo_u32 v14, 24, v12
	s_delay_alu instid0(VALU_DEP_3) | instskip(SKIP_1) | instid1(VALU_DEP_2)
	v_add_nc_u32_e32 v3, v3, v10
	s_wait_loadcnt 0x0
	v_add_co_u32 v10, vcc_lo, v6, v14
	s_delay_alu instid0(VALU_DEP_2) | instskip(SKIP_1) | instid1(VALU_DEP_1)
	v_add_nc_u32_e32 v3, v3, v11
	s_wait_alu 0xfffd
	v_add_co_ci_u32_e32 v11, vcc_lo, v7, v3, vcc_lo
	s_and_saveexec_b32 s4, s0
	s_cbranch_execz .LBB3_1243
; %bb.1242:
	s_wait_alu 0xfffe
	v_dual_mov_b32 v14, s3 :: v_dual_mov_b32 v15, v2
	v_dual_mov_b32 v16, 2 :: v_dual_mov_b32 v17, 1
	global_store_b128 v[10:11], v[14:17], off offset:8
.LBB3_1243:
	s_wait_alu 0xfffe
	s_or_b32 exec_lo, exec_lo, s4
	v_lshlrev_b64_e32 v[12:13], 12, v[12:13]
	s_mov_b32 s4, 0
	v_and_or_b32 v0, 0xffffff1f, v0, 32
	s_wait_alu 0xfffe
	s_mov_b32 s7, s4
	s_mov_b32 s5, s4
	s_mov_b32 s6, s4
	v_add_co_u32 v8, vcc_lo, v8, v12
	s_wait_alu 0xfffd
	v_add_co_ci_u32_e32 v9, vcc_lo, v9, v13, vcc_lo
	v_mov_b32_e32 v3, v2
	s_delay_alu instid0(VALU_DEP_3) | instskip(SKIP_1) | instid1(VALU_DEP_4)
	v_readfirstlane_b32 s10, v8
	v_add_co_u32 v8, vcc_lo, v8, v39
	v_readfirstlane_b32 s11, v9
	s_wait_alu 0xfffe
	v_dual_mov_b32 v15, s7 :: v_dual_mov_b32 v12, s4
	s_wait_alu 0xfffd
	v_add_co_ci_u32_e32 v9, vcc_lo, 0, v9, vcc_lo
	v_dual_mov_b32 v14, s6 :: v_dual_mov_b32 v13, s5
	s_clause 0x3
	global_store_b128 v39, v[0:3], s[10:11]
	global_store_b128 v39, v[12:15], s[10:11] offset:16
	global_store_b128 v39, v[12:15], s[10:11] offset:32
	;; [unrolled: 1-line block ×3, first 2 shown]
	s_and_saveexec_b32 s3, s0
	s_cbranch_execz .LBB3_1251
; %bb.1244:
	v_mov_b32_e32 v12, 0
	s_mov_b32 s4, exec_lo
	s_clause 0x1
	global_load_b64 v[15:16], v12, s[22:23] offset:32 scope:SCOPE_SYS
	global_load_b64 v[0:1], v12, s[22:23] offset:40
	v_dual_mov_b32 v13, s2 :: v_dual_mov_b32 v14, s1
	s_wait_loadcnt 0x0
	v_and_b32_e32 v1, s1, v1
	v_and_b32_e32 v0, s2, v0
	s_delay_alu instid0(VALU_DEP_2) | instskip(NEXT) | instid1(VALU_DEP_2)
	v_mul_lo_u32 v1, 24, v1
	v_mul_lo_u32 v2, 0, v0
	v_mul_hi_u32 v3, 24, v0
	v_mul_lo_u32 v0, 24, v0
	s_delay_alu instid0(VALU_DEP_3) | instskip(NEXT) | instid1(VALU_DEP_2)
	v_add_nc_u32_e32 v1, v1, v2
	v_add_co_u32 v6, vcc_lo, v6, v0
	s_delay_alu instid0(VALU_DEP_2) | instskip(SKIP_1) | instid1(VALU_DEP_1)
	v_add_nc_u32_e32 v1, v1, v3
	s_wait_alu 0xfffd
	v_add_co_ci_u32_e32 v7, vcc_lo, v7, v1, vcc_lo
	global_store_b64 v[6:7], v[15:16], off
	global_wb scope:SCOPE_SYS
	s_wait_storecnt 0x0
	global_atomic_cmpswap_b64 v[2:3], v12, v[13:16], s[22:23] offset:32 th:TH_ATOMIC_RETURN scope:SCOPE_SYS
	s_wait_loadcnt 0x0
	v_cmpx_ne_u64_e64 v[2:3], v[15:16]
	s_cbranch_execz .LBB3_1247
; %bb.1245:
	s_mov_b32 s5, 0
.LBB3_1246:                             ; =>This Inner Loop Header: Depth=1
	v_dual_mov_b32 v0, s2 :: v_dual_mov_b32 v1, s1
	s_sleep 1
	global_store_b64 v[6:7], v[2:3], off
	global_wb scope:SCOPE_SYS
	s_wait_storecnt 0x0
	global_atomic_cmpswap_b64 v[0:1], v12, v[0:3], s[22:23] offset:32 th:TH_ATOMIC_RETURN scope:SCOPE_SYS
	s_wait_loadcnt 0x0
	v_cmp_eq_u64_e32 vcc_lo, v[0:1], v[2:3]
	v_dual_mov_b32 v3, v1 :: v_dual_mov_b32 v2, v0
	s_wait_alu 0xfffe
	s_or_b32 s5, vcc_lo, s5
	s_wait_alu 0xfffe
	s_and_not1_b32 exec_lo, exec_lo, s5
	s_cbranch_execnz .LBB3_1246
.LBB3_1247:
	s_wait_alu 0xfffe
	s_or_b32 exec_lo, exec_lo, s4
	v_mov_b32_e32 v3, 0
	s_mov_b32 s5, exec_lo
	s_mov_b32 s4, exec_lo
	s_wait_alu 0xfffe
	v_mbcnt_lo_u32_b32 v2, s5, 0
	global_load_b64 v[0:1], v3, s[22:23] offset:16
	v_cmpx_eq_u32_e32 0, v2
	s_cbranch_execz .LBB3_1249
; %bb.1248:
	s_bcnt1_i32_b32 s5, s5
	s_wait_alu 0xfffe
	v_mov_b32_e32 v2, s5
	global_wb scope:SCOPE_SYS
	s_wait_loadcnt 0x0
	global_atomic_add_u64 v[0:1], v[2:3], off offset:8 scope:SCOPE_SYS
.LBB3_1249:
	s_or_b32 exec_lo, exec_lo, s4
	s_wait_loadcnt 0x0
	global_load_b64 v[2:3], v[0:1], off offset:16
	s_wait_loadcnt 0x0
	v_cmp_eq_u64_e32 vcc_lo, 0, v[2:3]
	s_cbranch_vccnz .LBB3_1251
; %bb.1250:
	global_load_b32 v0, v[0:1], off offset:24
	s_wait_loadcnt 0x0
	v_dual_mov_b32 v1, 0 :: v_dual_and_b32 v6, 0xffffff, v0
	global_wb scope:SCOPE_SYS
	s_wait_storecnt 0x0
	global_store_b64 v[2:3], v[0:1], off scope:SCOPE_SYS
	v_readfirstlane_b32 m0, v6
	s_sendmsg sendmsg(MSG_INTERRUPT)
.LBB3_1251:
	s_wait_alu 0xfffe
	s_or_b32 exec_lo, exec_lo, s3
	s_branch .LBB3_1255
.LBB3_1252:                             ;   in Loop: Header=BB3_1255 Depth=1
	s_wait_alu 0xfffe
	s_or_b32 exec_lo, exec_lo, s3
	s_delay_alu instid0(VALU_DEP_1) | instskip(NEXT) | instid1(VALU_DEP_1)
	v_readfirstlane_b32 s3, v0
	s_cmp_eq_u32 s3, 0
	s_cbranch_scc1 .LBB3_1254
; %bb.1253:                             ;   in Loop: Header=BB3_1255 Depth=1
	s_sleep 1
	s_cbranch_execnz .LBB3_1255
	s_branch .LBB3_1257
.LBB3_1254:
	s_branch .LBB3_1257
.LBB3_1255:                             ; =>This Inner Loop Header: Depth=1
	v_mov_b32_e32 v0, 1
	s_and_saveexec_b32 s3, s0
	s_cbranch_execz .LBB3_1252
; %bb.1256:                             ;   in Loop: Header=BB3_1255 Depth=1
	global_load_b32 v0, v[10:11], off offset:20 scope:SCOPE_SYS
	s_wait_loadcnt 0x0
	global_inv scope:SCOPE_SYS
	v_and_b32_e32 v0, 1, v0
	s_branch .LBB3_1252
.LBB3_1257:
	global_load_b64 v[6:7], v[8:9], off
	s_and_saveexec_b32 s3, s0
	s_cbranch_execz .LBB3_1261
; %bb.1258:
	v_mov_b32_e32 v10, 0
	s_clause 0x2
	global_load_b64 v[2:3], v10, s[22:23] offset:40
	global_load_b64 v[11:12], v10, s[22:23] offset:24 scope:SCOPE_SYS
	global_load_b64 v[8:9], v10, s[22:23]
	s_wait_loadcnt 0x2
	v_add_co_u32 v13, vcc_lo, v2, 1
	s_wait_alu 0xfffd
	v_add_co_ci_u32_e32 v14, vcc_lo, 0, v3, vcc_lo
	s_delay_alu instid0(VALU_DEP_2) | instskip(SKIP_1) | instid1(VALU_DEP_2)
	v_add_co_u32 v0, vcc_lo, v13, s2
	s_wait_alu 0xfffd
	v_add_co_ci_u32_e32 v1, vcc_lo, s1, v14, vcc_lo
	s_delay_alu instid0(VALU_DEP_1) | instskip(SKIP_2) | instid1(VALU_DEP_1)
	v_cmp_eq_u64_e32 vcc_lo, 0, v[0:1]
	s_wait_alu 0xfffd
	v_dual_cndmask_b32 v1, v1, v14 :: v_dual_cndmask_b32 v0, v0, v13
	v_and_b32_e32 v3, v1, v3
	s_delay_alu instid0(VALU_DEP_2) | instskip(NEXT) | instid1(VALU_DEP_2)
	v_and_b32_e32 v2, v0, v2
	v_mul_lo_u32 v3, 24, v3
	s_delay_alu instid0(VALU_DEP_2) | instskip(SKIP_2) | instid1(VALU_DEP_3)
	v_mul_lo_u32 v13, 0, v2
	v_mul_hi_u32 v14, 24, v2
	v_mul_lo_u32 v2, 24, v2
	v_add_nc_u32_e32 v3, v3, v13
	s_wait_loadcnt 0x0
	s_delay_alu instid0(VALU_DEP_2) | instskip(SKIP_1) | instid1(VALU_DEP_3)
	v_add_co_u32 v8, vcc_lo, v8, v2
	v_mov_b32_e32 v2, v11
	v_add_nc_u32_e32 v3, v3, v14
	s_wait_alu 0xfffd
	s_delay_alu instid0(VALU_DEP_1)
	v_add_co_ci_u32_e32 v9, vcc_lo, v9, v3, vcc_lo
	v_mov_b32_e32 v3, v12
	global_store_b64 v[8:9], v[11:12], off
	global_wb scope:SCOPE_SYS
	s_wait_storecnt 0x0
	global_atomic_cmpswap_b64 v[2:3], v10, v[0:3], s[22:23] offset:24 th:TH_ATOMIC_RETURN scope:SCOPE_SYS
	s_wait_loadcnt 0x0
	v_cmp_ne_u64_e32 vcc_lo, v[2:3], v[11:12]
	s_and_b32 exec_lo, exec_lo, vcc_lo
	s_cbranch_execz .LBB3_1261
; %bb.1259:
	s_mov_b32 s0, 0
.LBB3_1260:                             ; =>This Inner Loop Header: Depth=1
	s_sleep 1
	global_store_b64 v[8:9], v[2:3], off
	global_wb scope:SCOPE_SYS
	s_wait_storecnt 0x0
	global_atomic_cmpswap_b64 v[11:12], v10, v[0:3], s[22:23] offset:24 th:TH_ATOMIC_RETURN scope:SCOPE_SYS
	s_wait_loadcnt 0x0
	v_cmp_eq_u64_e32 vcc_lo, v[11:12], v[2:3]
	v_dual_mov_b32 v2, v11 :: v_dual_mov_b32 v3, v12
	s_wait_alu 0xfffe
	s_or_b32 s0, vcc_lo, s0
	s_wait_alu 0xfffe
	s_and_not1_b32 exec_lo, exec_lo, s0
	s_cbranch_execnz .LBB3_1260
.LBB3_1261:
	s_wait_alu 0xfffe
	s_or_b32 exec_lo, exec_lo, s3
.LBB3_1262:
	v_readfirstlane_b32 s0, v50
	v_mov_b32_e32 v10, 0
	v_mov_b32_e32 v11, 0
	s_wait_alu 0xf1ff
	s_delay_alu instid0(VALU_DEP_3) | instskip(NEXT) | instid1(VALU_DEP_1)
	v_cmp_eq_u32_e64 s0, s0, v50
	s_and_saveexec_b32 s1, s0
	s_cbranch_execz .LBB3_1268
; %bb.1263:
	s_wait_loadcnt 0x0
	v_mov_b32_e32 v0, 0
	s_mov_b32 s2, exec_lo
	global_load_b64 v[12:13], v0, s[22:23] offset:24 scope:SCOPE_SYS
	s_wait_loadcnt 0x0
	global_inv scope:SCOPE_SYS
	s_clause 0x1
	global_load_b64 v[1:2], v0, s[22:23] offset:40
	global_load_b64 v[8:9], v0, s[22:23]
	s_wait_loadcnt 0x1
	v_and_b32_e32 v1, v1, v12
	v_and_b32_e32 v2, v2, v13
	s_delay_alu instid0(VALU_DEP_2) | instskip(NEXT) | instid1(VALU_DEP_2)
	v_mul_lo_u32 v3, 0, v1
	v_mul_lo_u32 v2, 24, v2
	v_mul_hi_u32 v10, 24, v1
	v_mul_lo_u32 v1, 24, v1
	s_delay_alu instid0(VALU_DEP_3) | instskip(SKIP_1) | instid1(VALU_DEP_2)
	v_add_nc_u32_e32 v2, v2, v3
	s_wait_loadcnt 0x0
	v_add_co_u32 v1, vcc_lo, v8, v1
	s_delay_alu instid0(VALU_DEP_2) | instskip(SKIP_1) | instid1(VALU_DEP_1)
	v_add_nc_u32_e32 v2, v2, v10
	s_wait_alu 0xfffd
	v_add_co_ci_u32_e32 v2, vcc_lo, v9, v2, vcc_lo
	global_load_b64 v[10:11], v[1:2], off scope:SCOPE_SYS
	s_wait_loadcnt 0x0
	global_atomic_cmpswap_b64 v[10:11], v0, v[10:13], s[22:23] offset:24 th:TH_ATOMIC_RETURN scope:SCOPE_SYS
	s_wait_loadcnt 0x0
	global_inv scope:SCOPE_SYS
	v_cmpx_ne_u64_e64 v[10:11], v[12:13]
	s_cbranch_execz .LBB3_1267
; %bb.1264:
	s_mov_b32 s3, 0
.LBB3_1265:                             ; =>This Inner Loop Header: Depth=1
	s_sleep 1
	s_clause 0x1
	global_load_b64 v[1:2], v0, s[22:23] offset:40
	global_load_b64 v[8:9], v0, s[22:23]
	v_dual_mov_b32 v13, v11 :: v_dual_mov_b32 v12, v10
	s_wait_loadcnt 0x1
	s_delay_alu instid0(VALU_DEP_1) | instskip(SKIP_1) | instid1(VALU_DEP_1)
	v_and_b32_e32 v1, v1, v12
	s_wait_loadcnt 0x0
	v_mad_co_u64_u32 v[8:9], null, v1, 24, v[8:9]
	s_delay_alu instid0(VALU_DEP_1) | instskip(NEXT) | instid1(VALU_DEP_1)
	v_dual_mov_b32 v1, v9 :: v_dual_and_b32 v2, v2, v13
	v_mad_co_u64_u32 v[1:2], null, v2, 24, v[1:2]
	s_delay_alu instid0(VALU_DEP_1)
	v_mov_b32_e32 v9, v1
	global_load_b64 v[10:11], v[8:9], off scope:SCOPE_SYS
	s_wait_loadcnt 0x0
	global_atomic_cmpswap_b64 v[10:11], v0, v[10:13], s[22:23] offset:24 th:TH_ATOMIC_RETURN scope:SCOPE_SYS
	s_wait_loadcnt 0x0
	global_inv scope:SCOPE_SYS
	v_cmp_eq_u64_e32 vcc_lo, v[10:11], v[12:13]
	s_wait_alu 0xfffe
	s_or_b32 s3, vcc_lo, s3
	s_wait_alu 0xfffe
	s_and_not1_b32 exec_lo, exec_lo, s3
	s_cbranch_execnz .LBB3_1265
; %bb.1266:
	s_or_b32 exec_lo, exec_lo, s3
.LBB3_1267:
	s_wait_alu 0xfffe
	s_or_b32 exec_lo, exec_lo, s2
.LBB3_1268:
	s_wait_alu 0xfffe
	s_or_b32 exec_lo, exec_lo, s1
	v_readfirstlane_b32 s2, v10
	s_wait_loadcnt 0x0
	v_mov_b32_e32 v9, 0
	v_readfirstlane_b32 s1, v11
	s_mov_b32 s3, exec_lo
	s_clause 0x1
	global_load_b64 v[12:13], v9, s[22:23] offset:40
	global_load_b128 v[0:3], v9, s[22:23]
	s_wait_loadcnt 0x1
	s_wait_alu 0xf1ff
	v_and_b32_e32 v12, s2, v12
	v_and_b32_e32 v13, s1, v13
	s_delay_alu instid0(VALU_DEP_2) | instskip(NEXT) | instid1(VALU_DEP_2)
	v_mul_lo_u32 v10, 0, v12
	v_mul_lo_u32 v8, 24, v13
	v_mul_hi_u32 v11, 24, v12
	v_mul_lo_u32 v14, 24, v12
	s_delay_alu instid0(VALU_DEP_3) | instskip(SKIP_1) | instid1(VALU_DEP_2)
	v_add_nc_u32_e32 v8, v8, v10
	s_wait_loadcnt 0x0
	v_add_co_u32 v10, vcc_lo, v0, v14
	s_delay_alu instid0(VALU_DEP_2) | instskip(SKIP_1) | instid1(VALU_DEP_1)
	v_add_nc_u32_e32 v8, v8, v11
	s_wait_alu 0xfffd
	v_add_co_ci_u32_e32 v11, vcc_lo, v1, v8, vcc_lo
	s_and_saveexec_b32 s4, s0
	s_cbranch_execz .LBB3_1270
; %bb.1269:
	s_wait_alu 0xfffe
	v_dual_mov_b32 v8, s3 :: v_dual_mov_b32 v17, 1
	v_dual_mov_b32 v16, 2 :: v_dual_mov_b32 v15, v9
	s_delay_alu instid0(VALU_DEP_2)
	v_mov_b32_e32 v14, v8
	global_store_b128 v[10:11], v[14:17], off offset:8
.LBB3_1270:
	s_wait_alu 0xfffe
	s_or_b32 exec_lo, exec_lo, s4
	v_lshlrev_b64_e32 v[12:13], 12, v[12:13]
	s_mov_b32 s4, 0
	v_and_or_b32 v6, 0xffffff1d, v6, 34
	s_wait_alu 0xfffe
	s_mov_b32 s7, s4
	s_mov_b32 s5, s4
	;; [unrolled: 1-line block ×3, first 2 shown]
	v_add_co_u32 v2, vcc_lo, v2, v12
	s_wait_alu 0xfffd
	v_add_co_ci_u32_e32 v3, vcc_lo, v3, v13, vcc_lo
	s_wait_alu 0xfffe
	v_dual_mov_b32 v8, 10 :: v_dual_mov_b32 v15, s7
	v_readfirstlane_b32 s10, v2
	s_delay_alu instid0(VALU_DEP_3)
	v_readfirstlane_b32 s11, v3
	v_dual_mov_b32 v14, s6 :: v_dual_mov_b32 v13, s5
	v_mov_b32_e32 v12, s4
	s_clause 0x3
	global_store_b128 v39, v[6:9], s[10:11]
	global_store_b128 v39, v[12:15], s[10:11] offset:16
	global_store_b128 v39, v[12:15], s[10:11] offset:32
	;; [unrolled: 1-line block ×3, first 2 shown]
	s_and_saveexec_b32 s3, s0
	s_cbranch_execz .LBB3_1278
; %bb.1271:
	v_mov_b32_e32 v8, 0
	s_mov_b32 s4, exec_lo
	s_clause 0x1
	global_load_b64 v[14:15], v8, s[22:23] offset:32 scope:SCOPE_SYS
	global_load_b64 v[2:3], v8, s[22:23] offset:40
	v_dual_mov_b32 v13, s1 :: v_dual_mov_b32 v12, s2
	s_wait_loadcnt 0x0
	v_and_b32_e32 v3, s1, v3
	v_and_b32_e32 v2, s2, v2
	s_delay_alu instid0(VALU_DEP_2) | instskip(NEXT) | instid1(VALU_DEP_2)
	v_mul_lo_u32 v3, 24, v3
	v_mul_lo_u32 v6, 0, v2
	v_mul_hi_u32 v7, 24, v2
	v_mul_lo_u32 v2, 24, v2
	s_delay_alu instid0(VALU_DEP_3) | instskip(NEXT) | instid1(VALU_DEP_2)
	v_add_nc_u32_e32 v3, v3, v6
	v_add_co_u32 v6, vcc_lo, v0, v2
	s_delay_alu instid0(VALU_DEP_2) | instskip(SKIP_1) | instid1(VALU_DEP_1)
	v_add_nc_u32_e32 v3, v3, v7
	s_wait_alu 0xfffd
	v_add_co_ci_u32_e32 v7, vcc_lo, v1, v3, vcc_lo
	global_store_b64 v[6:7], v[14:15], off
	global_wb scope:SCOPE_SYS
	s_wait_storecnt 0x0
	global_atomic_cmpswap_b64 v[2:3], v8, v[12:15], s[22:23] offset:32 th:TH_ATOMIC_RETURN scope:SCOPE_SYS
	s_wait_loadcnt 0x0
	v_cmpx_ne_u64_e64 v[2:3], v[14:15]
	s_cbranch_execz .LBB3_1274
; %bb.1272:
	s_mov_b32 s5, 0
.LBB3_1273:                             ; =>This Inner Loop Header: Depth=1
	v_dual_mov_b32 v0, s2 :: v_dual_mov_b32 v1, s1
	s_sleep 1
	global_store_b64 v[6:7], v[2:3], off
	global_wb scope:SCOPE_SYS
	s_wait_storecnt 0x0
	global_atomic_cmpswap_b64 v[0:1], v8, v[0:3], s[22:23] offset:32 th:TH_ATOMIC_RETURN scope:SCOPE_SYS
	s_wait_loadcnt 0x0
	v_cmp_eq_u64_e32 vcc_lo, v[0:1], v[2:3]
	v_dual_mov_b32 v3, v1 :: v_dual_mov_b32 v2, v0
	s_wait_alu 0xfffe
	s_or_b32 s5, vcc_lo, s5
	s_wait_alu 0xfffe
	s_and_not1_b32 exec_lo, exec_lo, s5
	s_cbranch_execnz .LBB3_1273
.LBB3_1274:
	s_wait_alu 0xfffe
	s_or_b32 exec_lo, exec_lo, s4
	v_mov_b32_e32 v3, 0
	s_mov_b32 s5, exec_lo
	s_mov_b32 s4, exec_lo
	s_wait_alu 0xfffe
	v_mbcnt_lo_u32_b32 v2, s5, 0
	global_load_b64 v[0:1], v3, s[22:23] offset:16
	v_cmpx_eq_u32_e32 0, v2
	s_cbranch_execz .LBB3_1276
; %bb.1275:
	s_bcnt1_i32_b32 s5, s5
	s_wait_alu 0xfffe
	v_mov_b32_e32 v2, s5
	global_wb scope:SCOPE_SYS
	s_wait_loadcnt 0x0
	global_atomic_add_u64 v[0:1], v[2:3], off offset:8 scope:SCOPE_SYS
.LBB3_1276:
	s_or_b32 exec_lo, exec_lo, s4
	s_wait_loadcnt 0x0
	global_load_b64 v[2:3], v[0:1], off offset:16
	s_wait_loadcnt 0x0
	v_cmp_eq_u64_e32 vcc_lo, 0, v[2:3]
	s_cbranch_vccnz .LBB3_1278
; %bb.1277:
	global_load_b32 v0, v[0:1], off offset:24
	s_wait_loadcnt 0x0
	v_dual_mov_b32 v1, 0 :: v_dual_and_b32 v6, 0xffffff, v0
	global_wb scope:SCOPE_SYS
	s_wait_storecnt 0x0
	global_store_b64 v[2:3], v[0:1], off scope:SCOPE_SYS
	v_readfirstlane_b32 m0, v6
	s_sendmsg sendmsg(MSG_INTERRUPT)
.LBB3_1278:
	s_wait_alu 0xfffe
	s_or_b32 exec_lo, exec_lo, s3
	s_branch .LBB3_1282
.LBB3_1279:                             ;   in Loop: Header=BB3_1282 Depth=1
	s_wait_alu 0xfffe
	s_or_b32 exec_lo, exec_lo, s3
	s_delay_alu instid0(VALU_DEP_1) | instskip(NEXT) | instid1(VALU_DEP_1)
	v_readfirstlane_b32 s3, v0
	s_cmp_eq_u32 s3, 0
	s_cbranch_scc1 .LBB3_1281
; %bb.1280:                             ;   in Loop: Header=BB3_1282 Depth=1
	s_sleep 1
	s_cbranch_execnz .LBB3_1282
	s_branch .LBB3_1284
.LBB3_1281:
	s_branch .LBB3_1284
.LBB3_1282:                             ; =>This Inner Loop Header: Depth=1
	v_mov_b32_e32 v0, 1
	s_and_saveexec_b32 s3, s0
	s_cbranch_execz .LBB3_1279
; %bb.1283:                             ;   in Loop: Header=BB3_1282 Depth=1
	global_load_b32 v0, v[10:11], off offset:20 scope:SCOPE_SYS
	s_wait_loadcnt 0x0
	global_inv scope:SCOPE_SYS
	v_and_b32_e32 v0, 1, v0
	s_branch .LBB3_1279
.LBB3_1284:
	s_and_saveexec_b32 s3, s0
	s_cbranch_execz .LBB3_1288
; %bb.1285:
	v_mov_b32_e32 v8, 0
	s_clause 0x2
	global_load_b64 v[2:3], v8, s[22:23] offset:40
	global_load_b64 v[9:10], v8, s[22:23] offset:24 scope:SCOPE_SYS
	global_load_b64 v[6:7], v8, s[22:23]
	s_wait_loadcnt 0x2
	v_add_co_u32 v11, vcc_lo, v2, 1
	s_wait_alu 0xfffd
	v_add_co_ci_u32_e32 v12, vcc_lo, 0, v3, vcc_lo
	s_delay_alu instid0(VALU_DEP_2) | instskip(SKIP_1) | instid1(VALU_DEP_2)
	v_add_co_u32 v0, vcc_lo, v11, s2
	s_wait_alu 0xfffd
	v_add_co_ci_u32_e32 v1, vcc_lo, s1, v12, vcc_lo
	s_delay_alu instid0(VALU_DEP_1) | instskip(SKIP_2) | instid1(VALU_DEP_1)
	v_cmp_eq_u64_e32 vcc_lo, 0, v[0:1]
	s_wait_alu 0xfffd
	v_dual_cndmask_b32 v1, v1, v12 :: v_dual_cndmask_b32 v0, v0, v11
	v_and_b32_e32 v3, v1, v3
	s_delay_alu instid0(VALU_DEP_2) | instskip(NEXT) | instid1(VALU_DEP_2)
	v_and_b32_e32 v2, v0, v2
	v_mul_lo_u32 v3, 24, v3
	s_delay_alu instid0(VALU_DEP_2) | instskip(SKIP_2) | instid1(VALU_DEP_3)
	v_mul_lo_u32 v11, 0, v2
	v_mul_hi_u32 v12, 24, v2
	v_mul_lo_u32 v2, 24, v2
	v_add_nc_u32_e32 v3, v3, v11
	s_wait_loadcnt 0x0
	s_delay_alu instid0(VALU_DEP_2) | instskip(NEXT) | instid1(VALU_DEP_2)
	v_add_co_u32 v6, vcc_lo, v6, v2
	v_dual_mov_b32 v2, v9 :: v_dual_add_nc_u32 v3, v3, v12
	s_wait_alu 0xfffd
	s_delay_alu instid0(VALU_DEP_1)
	v_add_co_ci_u32_e32 v7, vcc_lo, v7, v3, vcc_lo
	v_mov_b32_e32 v3, v10
	global_store_b64 v[6:7], v[9:10], off
	global_wb scope:SCOPE_SYS
	s_wait_storecnt 0x0
	global_atomic_cmpswap_b64 v[2:3], v8, v[0:3], s[22:23] offset:24 th:TH_ATOMIC_RETURN scope:SCOPE_SYS
	s_wait_loadcnt 0x0
	v_cmp_ne_u64_e32 vcc_lo, v[2:3], v[9:10]
	s_and_b32 exec_lo, exec_lo, vcc_lo
	s_cbranch_execz .LBB3_1288
; %bb.1286:
	s_mov_b32 s0, 0
.LBB3_1287:                             ; =>This Inner Loop Header: Depth=1
	s_sleep 1
	global_store_b64 v[6:7], v[2:3], off
	global_wb scope:SCOPE_SYS
	s_wait_storecnt 0x0
	global_atomic_cmpswap_b64 v[9:10], v8, v[0:3], s[22:23] offset:24 th:TH_ATOMIC_RETURN scope:SCOPE_SYS
	s_wait_loadcnt 0x0
	v_cmp_eq_u64_e32 vcc_lo, v[9:10], v[2:3]
	v_dual_mov_b32 v2, v9 :: v_dual_mov_b32 v3, v10
	s_wait_alu 0xfffe
	s_or_b32 s0, vcc_lo, s0
	s_wait_alu 0xfffe
	s_and_not1_b32 exec_lo, exec_lo, s0
	s_cbranch_execnz .LBB3_1287
.LBB3_1288:
	s_wait_alu 0xfffe
	s_or_b32 exec_lo, exec_lo, s3
	v_readfirstlane_b32 s0, v50
	v_mov_b32_e32 v8, 0
	v_mov_b32_e32 v9, 0
	s_wait_alu 0xf1ff
	s_delay_alu instid0(VALU_DEP_3) | instskip(NEXT) | instid1(VALU_DEP_1)
	v_cmp_eq_u32_e64 s0, s0, v50
	s_and_saveexec_b32 s1, s0
	s_cbranch_execz .LBB3_1294
; %bb.1289:
	v_mov_b32_e32 v0, 0
	s_mov_b32 s2, exec_lo
	global_load_b64 v[10:11], v0, s[22:23] offset:24 scope:SCOPE_SYS
	s_wait_loadcnt 0x0
	global_inv scope:SCOPE_SYS
	s_clause 0x1
	global_load_b64 v[1:2], v0, s[22:23] offset:40
	global_load_b64 v[6:7], v0, s[22:23]
	s_wait_loadcnt 0x1
	v_and_b32_e32 v1, v1, v10
	v_and_b32_e32 v2, v2, v11
	s_delay_alu instid0(VALU_DEP_2) | instskip(NEXT) | instid1(VALU_DEP_2)
	v_mul_lo_u32 v3, 0, v1
	v_mul_lo_u32 v2, 24, v2
	v_mul_hi_u32 v8, 24, v1
	v_mul_lo_u32 v1, 24, v1
	s_delay_alu instid0(VALU_DEP_3) | instskip(SKIP_1) | instid1(VALU_DEP_2)
	v_add_nc_u32_e32 v2, v2, v3
	s_wait_loadcnt 0x0
	v_add_co_u32 v1, vcc_lo, v6, v1
	s_delay_alu instid0(VALU_DEP_2) | instskip(SKIP_1) | instid1(VALU_DEP_1)
	v_add_nc_u32_e32 v2, v2, v8
	s_wait_alu 0xfffd
	v_add_co_ci_u32_e32 v2, vcc_lo, v7, v2, vcc_lo
	global_load_b64 v[8:9], v[1:2], off scope:SCOPE_SYS
	s_wait_loadcnt 0x0
	global_atomic_cmpswap_b64 v[8:9], v0, v[8:11], s[22:23] offset:24 th:TH_ATOMIC_RETURN scope:SCOPE_SYS
	s_wait_loadcnt 0x0
	global_inv scope:SCOPE_SYS
	v_cmpx_ne_u64_e64 v[8:9], v[10:11]
	s_cbranch_execz .LBB3_1293
; %bb.1290:
	s_mov_b32 s3, 0
.LBB3_1291:                             ; =>This Inner Loop Header: Depth=1
	s_sleep 1
	s_clause 0x1
	global_load_b64 v[1:2], v0, s[22:23] offset:40
	global_load_b64 v[6:7], v0, s[22:23]
	v_dual_mov_b32 v11, v9 :: v_dual_mov_b32 v10, v8
	s_wait_loadcnt 0x1
	s_delay_alu instid0(VALU_DEP_1) | instskip(SKIP_1) | instid1(VALU_DEP_1)
	v_and_b32_e32 v1, v1, v10
	s_wait_loadcnt 0x0
	v_mad_co_u64_u32 v[6:7], null, v1, 24, v[6:7]
	s_delay_alu instid0(VALU_DEP_1) | instskip(NEXT) | instid1(VALU_DEP_1)
	v_dual_mov_b32 v1, v7 :: v_dual_and_b32 v2, v2, v11
	v_mad_co_u64_u32 v[1:2], null, v2, 24, v[1:2]
	s_delay_alu instid0(VALU_DEP_1)
	v_mov_b32_e32 v7, v1
	global_load_b64 v[8:9], v[6:7], off scope:SCOPE_SYS
	s_wait_loadcnt 0x0
	global_atomic_cmpswap_b64 v[8:9], v0, v[8:11], s[22:23] offset:24 th:TH_ATOMIC_RETURN scope:SCOPE_SYS
	s_wait_loadcnt 0x0
	global_inv scope:SCOPE_SYS
	v_cmp_eq_u64_e32 vcc_lo, v[8:9], v[10:11]
	s_wait_alu 0xfffe
	s_or_b32 s3, vcc_lo, s3
	s_wait_alu 0xfffe
	s_and_not1_b32 exec_lo, exec_lo, s3
	s_cbranch_execnz .LBB3_1291
; %bb.1292:
	s_or_b32 exec_lo, exec_lo, s3
.LBB3_1293:
	s_wait_alu 0xfffe
	s_or_b32 exec_lo, exec_lo, s2
.LBB3_1294:
	s_wait_alu 0xfffe
	s_or_b32 exec_lo, exec_lo, s1
	v_readfirstlane_b32 s2, v8
	v_mov_b32_e32 v7, 0
	v_readfirstlane_b32 s1, v9
	s_mov_b32 s3, exec_lo
	s_clause 0x1
	global_load_b64 v[10:11], v7, s[22:23] offset:40
	global_load_b128 v[0:3], v7, s[22:23]
	s_wait_loadcnt 0x1
	s_wait_alu 0xf1ff
	v_and_b32_e32 v12, s2, v10
	v_and_b32_e32 v13, s1, v11
	s_delay_alu instid0(VALU_DEP_2) | instskip(NEXT) | instid1(VALU_DEP_2)
	v_mul_lo_u32 v8, 0, v12
	v_mul_lo_u32 v6, 24, v13
	v_mul_hi_u32 v9, 24, v12
	v_mul_lo_u32 v10, 24, v12
	s_delay_alu instid0(VALU_DEP_3) | instskip(SKIP_1) | instid1(VALU_DEP_2)
	v_add_nc_u32_e32 v6, v6, v8
	s_wait_loadcnt 0x0
	v_add_co_u32 v10, vcc_lo, v0, v10
	s_delay_alu instid0(VALU_DEP_2) | instskip(SKIP_1) | instid1(VALU_DEP_1)
	v_add_nc_u32_e32 v6, v6, v9
	s_wait_alu 0xfffd
	v_add_co_ci_u32_e32 v11, vcc_lo, v1, v6, vcc_lo
	s_and_saveexec_b32 s4, s0
	s_cbranch_execz .LBB3_1296
; %bb.1295:
	s_wait_alu 0xfffe
	v_dual_mov_b32 v6, s3 :: v_dual_mov_b32 v9, 1
	v_mov_b32_e32 v8, 2
	global_store_b128 v[10:11], v[6:9], off offset:8
.LBB3_1296:
	s_wait_alu 0xfffe
	s_or_b32 exec_lo, exec_lo, s4
	v_lshlrev_b64_e32 v[12:13], 12, v[12:13]
	s_mov_b32 s4, 0
	v_dual_mov_b32 v6, 33 :: v_dual_mov_b32 v9, v7
	s_wait_alu 0xfffe
	s_mov_b32 s7, s4
	s_mov_b32 s5, s4
	v_add_co_u32 v2, vcc_lo, v2, v12
	s_wait_alu 0xfffd
	v_add_co_ci_u32_e32 v3, vcc_lo, v3, v13, vcc_lo
	s_mov_b32 s6, s4
	s_delay_alu instid0(VALU_DEP_2)
	v_add_co_u32 v12, vcc_lo, v2, v39
	s_wait_alu 0xfffe
	v_dual_mov_b32 v8, v7 :: v_dual_mov_b32 v17, s7
	v_readfirstlane_b32 s10, v2
	v_readfirstlane_b32 s11, v3
	s_wait_alu 0xfffd
	v_add_co_ci_u32_e32 v13, vcc_lo, 0, v3, vcc_lo
	v_dual_mov_b32 v16, s6 :: v_dual_mov_b32 v15, s5
	v_mov_b32_e32 v14, s4
	s_clause 0x3
	global_store_b128 v39, v[6:9], s[10:11]
	global_store_b128 v39, v[14:17], s[10:11] offset:16
	global_store_b128 v39, v[14:17], s[10:11] offset:32
	;; [unrolled: 1-line block ×3, first 2 shown]
	s_and_saveexec_b32 s3, s0
	s_cbranch_execz .LBB3_1304
; %bb.1297:
	v_mov_b32_e32 v8, 0
	s_mov_b32 s4, exec_lo
	s_clause 0x1
	global_load_b64 v[16:17], v8, s[22:23] offset:32 scope:SCOPE_SYS
	global_load_b64 v[2:3], v8, s[22:23] offset:40
	v_dual_mov_b32 v15, s1 :: v_dual_mov_b32 v14, s2
	s_wait_loadcnt 0x0
	v_and_b32_e32 v3, s1, v3
	v_and_b32_e32 v2, s2, v2
	s_delay_alu instid0(VALU_DEP_2) | instskip(NEXT) | instid1(VALU_DEP_2)
	v_mul_lo_u32 v3, 24, v3
	v_mul_lo_u32 v6, 0, v2
	v_mul_hi_u32 v7, 24, v2
	v_mul_lo_u32 v2, 24, v2
	s_delay_alu instid0(VALU_DEP_3) | instskip(NEXT) | instid1(VALU_DEP_2)
	v_add_nc_u32_e32 v3, v3, v6
	v_add_co_u32 v6, vcc_lo, v0, v2
	s_delay_alu instid0(VALU_DEP_2) | instskip(SKIP_1) | instid1(VALU_DEP_1)
	v_add_nc_u32_e32 v3, v3, v7
	s_wait_alu 0xfffd
	v_add_co_ci_u32_e32 v7, vcc_lo, v1, v3, vcc_lo
	global_store_b64 v[6:7], v[16:17], off
	global_wb scope:SCOPE_SYS
	s_wait_storecnt 0x0
	global_atomic_cmpswap_b64 v[2:3], v8, v[14:17], s[22:23] offset:32 th:TH_ATOMIC_RETURN scope:SCOPE_SYS
	s_wait_loadcnt 0x0
	v_cmpx_ne_u64_e64 v[2:3], v[16:17]
	s_cbranch_execz .LBB3_1300
; %bb.1298:
	s_mov_b32 s5, 0
.LBB3_1299:                             ; =>This Inner Loop Header: Depth=1
	v_dual_mov_b32 v0, s2 :: v_dual_mov_b32 v1, s1
	s_sleep 1
	global_store_b64 v[6:7], v[2:3], off
	global_wb scope:SCOPE_SYS
	s_wait_storecnt 0x0
	global_atomic_cmpswap_b64 v[0:1], v8, v[0:3], s[22:23] offset:32 th:TH_ATOMIC_RETURN scope:SCOPE_SYS
	s_wait_loadcnt 0x0
	v_cmp_eq_u64_e32 vcc_lo, v[0:1], v[2:3]
	v_dual_mov_b32 v3, v1 :: v_dual_mov_b32 v2, v0
	s_wait_alu 0xfffe
	s_or_b32 s5, vcc_lo, s5
	s_wait_alu 0xfffe
	s_and_not1_b32 exec_lo, exec_lo, s5
	s_cbranch_execnz .LBB3_1299
.LBB3_1300:
	s_wait_alu 0xfffe
	s_or_b32 exec_lo, exec_lo, s4
	v_mov_b32_e32 v3, 0
	s_mov_b32 s5, exec_lo
	s_mov_b32 s4, exec_lo
	s_wait_alu 0xfffe
	v_mbcnt_lo_u32_b32 v2, s5, 0
	global_load_b64 v[0:1], v3, s[22:23] offset:16
	v_cmpx_eq_u32_e32 0, v2
	s_cbranch_execz .LBB3_1302
; %bb.1301:
	s_bcnt1_i32_b32 s5, s5
	s_wait_alu 0xfffe
	v_mov_b32_e32 v2, s5
	global_wb scope:SCOPE_SYS
	s_wait_loadcnt 0x0
	global_atomic_add_u64 v[0:1], v[2:3], off offset:8 scope:SCOPE_SYS
.LBB3_1302:
	s_or_b32 exec_lo, exec_lo, s4
	s_wait_loadcnt 0x0
	global_load_b64 v[2:3], v[0:1], off offset:16
	s_wait_loadcnt 0x0
	v_cmp_eq_u64_e32 vcc_lo, 0, v[2:3]
	s_cbranch_vccnz .LBB3_1304
; %bb.1303:
	global_load_b32 v0, v[0:1], off offset:24
	s_wait_loadcnt 0x0
	v_dual_mov_b32 v1, 0 :: v_dual_and_b32 v6, 0xffffff, v0
	global_wb scope:SCOPE_SYS
	s_wait_storecnt 0x0
	global_store_b64 v[2:3], v[0:1], off scope:SCOPE_SYS
	v_readfirstlane_b32 m0, v6
	s_sendmsg sendmsg(MSG_INTERRUPT)
.LBB3_1304:
	s_wait_alu 0xfffe
	s_or_b32 exec_lo, exec_lo, s3
	s_branch .LBB3_1308
.LBB3_1305:                             ;   in Loop: Header=BB3_1308 Depth=1
	s_wait_alu 0xfffe
	s_or_b32 exec_lo, exec_lo, s3
	s_delay_alu instid0(VALU_DEP_1) | instskip(NEXT) | instid1(VALU_DEP_1)
	v_readfirstlane_b32 s3, v0
	s_cmp_eq_u32 s3, 0
	s_cbranch_scc1 .LBB3_1307
; %bb.1306:                             ;   in Loop: Header=BB3_1308 Depth=1
	s_sleep 1
	s_cbranch_execnz .LBB3_1308
	s_branch .LBB3_1310
.LBB3_1307:
	s_branch .LBB3_1310
.LBB3_1308:                             ; =>This Inner Loop Header: Depth=1
	v_mov_b32_e32 v0, 1
	s_and_saveexec_b32 s3, s0
	s_cbranch_execz .LBB3_1305
; %bb.1309:                             ;   in Loop: Header=BB3_1308 Depth=1
	global_load_b32 v0, v[10:11], off offset:20 scope:SCOPE_SYS
	s_wait_loadcnt 0x0
	global_inv scope:SCOPE_SYS
	v_and_b32_e32 v0, 1, v0
	s_branch .LBB3_1305
.LBB3_1310:
	global_load_b64 v[6:7], v[12:13], off
	s_and_saveexec_b32 s3, s0
	s_cbranch_execz .LBB3_1314
; %bb.1311:
	v_mov_b32_e32 v10, 0
	s_clause 0x2
	global_load_b64 v[2:3], v10, s[22:23] offset:40
	global_load_b64 v[11:12], v10, s[22:23] offset:24 scope:SCOPE_SYS
	global_load_b64 v[8:9], v10, s[22:23]
	s_wait_loadcnt 0x2
	v_add_co_u32 v13, vcc_lo, v2, 1
	s_wait_alu 0xfffd
	v_add_co_ci_u32_e32 v14, vcc_lo, 0, v3, vcc_lo
	s_delay_alu instid0(VALU_DEP_2) | instskip(SKIP_1) | instid1(VALU_DEP_2)
	v_add_co_u32 v0, vcc_lo, v13, s2
	s_wait_alu 0xfffd
	v_add_co_ci_u32_e32 v1, vcc_lo, s1, v14, vcc_lo
	s_delay_alu instid0(VALU_DEP_1) | instskip(SKIP_2) | instid1(VALU_DEP_1)
	v_cmp_eq_u64_e32 vcc_lo, 0, v[0:1]
	s_wait_alu 0xfffd
	v_dual_cndmask_b32 v1, v1, v14 :: v_dual_cndmask_b32 v0, v0, v13
	v_and_b32_e32 v3, v1, v3
	s_delay_alu instid0(VALU_DEP_2) | instskip(NEXT) | instid1(VALU_DEP_2)
	v_and_b32_e32 v2, v0, v2
	v_mul_lo_u32 v3, 24, v3
	s_delay_alu instid0(VALU_DEP_2) | instskip(SKIP_2) | instid1(VALU_DEP_3)
	v_mul_lo_u32 v13, 0, v2
	v_mul_hi_u32 v14, 24, v2
	v_mul_lo_u32 v2, 24, v2
	v_add_nc_u32_e32 v3, v3, v13
	s_wait_loadcnt 0x0
	s_delay_alu instid0(VALU_DEP_2) | instskip(SKIP_1) | instid1(VALU_DEP_3)
	v_add_co_u32 v8, vcc_lo, v8, v2
	v_mov_b32_e32 v2, v11
	v_add_nc_u32_e32 v3, v3, v14
	s_wait_alu 0xfffd
	s_delay_alu instid0(VALU_DEP_1)
	v_add_co_ci_u32_e32 v9, vcc_lo, v9, v3, vcc_lo
	v_mov_b32_e32 v3, v12
	global_store_b64 v[8:9], v[11:12], off
	global_wb scope:SCOPE_SYS
	s_wait_storecnt 0x0
	global_atomic_cmpswap_b64 v[2:3], v10, v[0:3], s[22:23] offset:24 th:TH_ATOMIC_RETURN scope:SCOPE_SYS
	s_wait_loadcnt 0x0
	v_cmp_ne_u64_e32 vcc_lo, v[2:3], v[11:12]
	s_and_b32 exec_lo, exec_lo, vcc_lo
	s_cbranch_execz .LBB3_1314
; %bb.1312:
	s_mov_b32 s0, 0
.LBB3_1313:                             ; =>This Inner Loop Header: Depth=1
	s_sleep 1
	global_store_b64 v[8:9], v[2:3], off
	global_wb scope:SCOPE_SYS
	s_wait_storecnt 0x0
	global_atomic_cmpswap_b64 v[11:12], v10, v[0:3], s[22:23] offset:24 th:TH_ATOMIC_RETURN scope:SCOPE_SYS
	s_wait_loadcnt 0x0
	v_cmp_eq_u64_e32 vcc_lo, v[11:12], v[2:3]
	v_dual_mov_b32 v2, v11 :: v_dual_mov_b32 v3, v12
	s_wait_alu 0xfffe
	s_or_b32 s0, vcc_lo, s0
	s_wait_alu 0xfffe
	s_and_not1_b32 exec_lo, exec_lo, s0
	s_cbranch_execnz .LBB3_1313
.LBB3_1314:
	s_wait_alu 0xfffe
	s_or_b32 exec_lo, exec_lo, s3
	s_delay_alu instid0(SALU_CYCLE_1)
	s_and_b32 vcc_lo, exec_lo, s15
	s_wait_alu 0xfffe
	s_cbranch_vccz .LBB3_1393
; %bb.1315:
	s_wait_loadcnt 0x0
	v_dual_mov_b32 v9, 0 :: v_dual_and_b32 v32, 2, v6
	v_dual_mov_b32 v1, v7 :: v_dual_and_b32 v0, -3, v6
	v_dual_mov_b32 v10, 2 :: v_dual_mov_b32 v11, 1
	s_mov_b64 s[4:5], 3
	s_getpc_b64 s[2:3]
	s_wait_alu 0xfffe
	s_sext_i32_i16 s3, s3
	s_add_co_u32 s2, s2, .str.7@rel32@lo+12
	s_wait_alu 0xfffe
	s_add_co_ci_u32 s3, s3, .str.7@rel32@hi+24
	s_branch .LBB3_1317
.LBB3_1316:                             ;   in Loop: Header=BB3_1317 Depth=1
	s_wait_alu 0xfffe
	s_or_b32 exec_lo, exec_lo, s11
	s_sub_nc_u64 s[4:5], s[4:5], s[6:7]
	s_add_nc_u64 s[2:3], s[2:3], s[6:7]
	s_wait_alu 0xfffe
	s_cmp_lg_u64 s[4:5], 0
	s_cbranch_scc0 .LBB3_1392
.LBB3_1317:                             ; =>This Loop Header: Depth=1
                                        ;     Child Loop BB3_1326 Depth 2
                                        ;     Child Loop BB3_1322 Depth 2
	;; [unrolled: 1-line block ×11, first 2 shown]
	v_cmp_lt_u64_e64 s0, s[4:5], 56
	v_cmp_gt_u64_e64 s1, s[4:5], 7
                                        ; implicit-def: $vgpr2_vgpr3
                                        ; implicit-def: $sgpr15
	s_delay_alu instid0(VALU_DEP_2) | instskip(SKIP_2) | instid1(VALU_DEP_1)
	s_and_b32 s0, s0, exec_lo
	s_cselect_b32 s7, s5, 0
	s_cselect_b32 s6, s4, 56
	s_and_b32 vcc_lo, exec_lo, s1
	s_mov_b32 s0, -1
	s_wait_alu 0xfffe
	s_cbranch_vccz .LBB3_1324
; %bb.1318:                             ;   in Loop: Header=BB3_1317 Depth=1
	s_and_not1_b32 vcc_lo, exec_lo, s0
	s_mov_b64 s[0:1], s[2:3]
	s_wait_alu 0xfffe
	s_cbranch_vccz .LBB3_1328
.LBB3_1319:                             ;   in Loop: Header=BB3_1317 Depth=1
	s_wait_alu 0xfffe
	s_cmp_gt_u32 s15, 7
	s_cbranch_scc1 .LBB3_1329
.LBB3_1320:                             ;   in Loop: Header=BB3_1317 Depth=1
	v_mov_b32_e32 v12, 0
	v_mov_b32_e32 v13, 0
	s_cmp_eq_u32 s15, 0
	s_cbranch_scc1 .LBB3_1323
; %bb.1321:                             ;   in Loop: Header=BB3_1317 Depth=1
	s_mov_b64 s[10:11], 0
	s_mov_b64 s[16:17], 0
.LBB3_1322:                             ;   Parent Loop BB3_1317 Depth=1
                                        ; =>  This Inner Loop Header: Depth=2
	s_wait_alu 0xfffe
	s_add_nc_u64 s[18:19], s[0:1], s[16:17]
	s_add_nc_u64 s[16:17], s[16:17], 1
	global_load_u8 v8, v9, s[18:19]
	s_wait_alu 0xfffe
	s_cmp_lg_u32 s15, s16
	s_wait_loadcnt 0x0
	v_and_b32_e32 v8, 0xffff, v8
	s_delay_alu instid0(VALU_DEP_1) | instskip(SKIP_1) | instid1(VALU_DEP_1)
	v_lshlrev_b64_e32 v[14:15], s10, v[8:9]
	s_add_nc_u64 s[10:11], s[10:11], 8
	v_or_b32_e32 v12, v14, v12
	s_delay_alu instid0(VALU_DEP_2)
	v_or_b32_e32 v13, v15, v13
	s_cbranch_scc1 .LBB3_1322
.LBB3_1323:                             ;   in Loop: Header=BB3_1317 Depth=1
	s_mov_b32 s18, 0
	s_cbranch_execz .LBB3_1330
	s_branch .LBB3_1331
.LBB3_1324:                             ;   in Loop: Header=BB3_1317 Depth=1
	s_wait_loadcnt 0x0
	v_mov_b32_e32 v2, 0
	v_mov_b32_e32 v3, 0
	s_cmp_eq_u64 s[4:5], 0
	s_mov_b64 s[0:1], 0
	s_cbranch_scc1 .LBB3_1327
; %bb.1325:                             ;   in Loop: Header=BB3_1317 Depth=1
	v_mov_b32_e32 v2, 0
	v_mov_b32_e32 v3, 0
	s_mov_b64 s[10:11], 0
.LBB3_1326:                             ;   Parent Loop BB3_1317 Depth=1
                                        ; =>  This Inner Loop Header: Depth=2
	s_wait_alu 0xfffe
	s_add_nc_u64 s[16:17], s[2:3], s[10:11]
	s_add_nc_u64 s[10:11], s[10:11], 1
	global_load_u8 v8, v9, s[16:17]
	s_wait_alu 0xfffe
	s_cmp_lg_u32 s6, s10
	s_wait_loadcnt 0x0
	v_and_b32_e32 v8, 0xffff, v8
	s_delay_alu instid0(VALU_DEP_1) | instskip(SKIP_1) | instid1(VALU_DEP_1)
	v_lshlrev_b64_e32 v[12:13], s0, v[8:9]
	s_add_nc_u64 s[0:1], s[0:1], 8
	v_or_b32_e32 v2, v12, v2
	s_delay_alu instid0(VALU_DEP_2)
	v_or_b32_e32 v3, v13, v3
	s_cbranch_scc1 .LBB3_1326
.LBB3_1327:                             ;   in Loop: Header=BB3_1317 Depth=1
	s_mov_b32 s15, 0
	s_mov_b64 s[0:1], s[2:3]
	s_cbranch_execnz .LBB3_1319
.LBB3_1328:                             ;   in Loop: Header=BB3_1317 Depth=1
	global_load_b64 v[2:3], v9, s[2:3]
	s_add_co_i32 s15, s6, -8
	s_add_nc_u64 s[0:1], s[2:3], 8
	s_wait_alu 0xfffe
	s_cmp_gt_u32 s15, 7
	s_cbranch_scc0 .LBB3_1320
.LBB3_1329:                             ;   in Loop: Header=BB3_1317 Depth=1
                                        ; implicit-def: $vgpr12_vgpr13
                                        ; implicit-def: $sgpr18
.LBB3_1330:                             ;   in Loop: Header=BB3_1317 Depth=1
	global_load_b64 v[12:13], v9, s[0:1]
	s_add_co_i32 s18, s15, -8
	s_add_nc_u64 s[0:1], s[0:1], 8
.LBB3_1331:                             ;   in Loop: Header=BB3_1317 Depth=1
	s_wait_alu 0xfffe
	s_cmp_gt_u32 s18, 7
	s_cbranch_scc1 .LBB3_1336
; %bb.1332:                             ;   in Loop: Header=BB3_1317 Depth=1
	v_mov_b32_e32 v14, 0
	v_mov_b32_e32 v15, 0
	s_cmp_eq_u32 s18, 0
	s_cbranch_scc1 .LBB3_1335
; %bb.1333:                             ;   in Loop: Header=BB3_1317 Depth=1
	s_mov_b64 s[10:11], 0
	s_mov_b64 s[16:17], 0
.LBB3_1334:                             ;   Parent Loop BB3_1317 Depth=1
                                        ; =>  This Inner Loop Header: Depth=2
	s_wait_alu 0xfffe
	s_add_nc_u64 s[20:21], s[0:1], s[16:17]
	s_add_nc_u64 s[16:17], s[16:17], 1
	global_load_u8 v8, v9, s[20:21]
	s_wait_alu 0xfffe
	s_cmp_lg_u32 s18, s16
	s_wait_loadcnt 0x0
	v_and_b32_e32 v8, 0xffff, v8
	s_delay_alu instid0(VALU_DEP_1) | instskip(SKIP_1) | instid1(VALU_DEP_1)
	v_lshlrev_b64_e32 v[16:17], s10, v[8:9]
	s_add_nc_u64 s[10:11], s[10:11], 8
	v_or_b32_e32 v14, v16, v14
	s_delay_alu instid0(VALU_DEP_2)
	v_or_b32_e32 v15, v17, v15
	s_cbranch_scc1 .LBB3_1334
.LBB3_1335:                             ;   in Loop: Header=BB3_1317 Depth=1
	s_mov_b32 s15, 0
	s_cbranch_execz .LBB3_1337
	s_branch .LBB3_1338
.LBB3_1336:                             ;   in Loop: Header=BB3_1317 Depth=1
                                        ; implicit-def: $sgpr15
.LBB3_1337:                             ;   in Loop: Header=BB3_1317 Depth=1
	global_load_b64 v[14:15], v9, s[0:1]
	s_add_co_i32 s15, s18, -8
	s_add_nc_u64 s[0:1], s[0:1], 8
.LBB3_1338:                             ;   in Loop: Header=BB3_1317 Depth=1
	s_wait_alu 0xfffe
	s_cmp_gt_u32 s15, 7
	s_cbranch_scc1 .LBB3_1343
; %bb.1339:                             ;   in Loop: Header=BB3_1317 Depth=1
	v_mov_b32_e32 v16, 0
	v_mov_b32_e32 v17, 0
	s_cmp_eq_u32 s15, 0
	s_cbranch_scc1 .LBB3_1342
; %bb.1340:                             ;   in Loop: Header=BB3_1317 Depth=1
	s_mov_b64 s[10:11], 0
	s_mov_b64 s[16:17], 0
.LBB3_1341:                             ;   Parent Loop BB3_1317 Depth=1
                                        ; =>  This Inner Loop Header: Depth=2
	s_wait_alu 0xfffe
	s_add_nc_u64 s[18:19], s[0:1], s[16:17]
	s_add_nc_u64 s[16:17], s[16:17], 1
	global_load_u8 v8, v9, s[18:19]
	s_wait_alu 0xfffe
	s_cmp_lg_u32 s15, s16
	s_wait_loadcnt 0x0
	v_and_b32_e32 v8, 0xffff, v8
	s_delay_alu instid0(VALU_DEP_1) | instskip(SKIP_1) | instid1(VALU_DEP_1)
	v_lshlrev_b64_e32 v[18:19], s10, v[8:9]
	s_add_nc_u64 s[10:11], s[10:11], 8
	v_or_b32_e32 v16, v18, v16
	s_delay_alu instid0(VALU_DEP_2)
	v_or_b32_e32 v17, v19, v17
	s_cbranch_scc1 .LBB3_1341
.LBB3_1342:                             ;   in Loop: Header=BB3_1317 Depth=1
	s_mov_b32 s18, 0
	s_cbranch_execz .LBB3_1344
	s_branch .LBB3_1345
.LBB3_1343:                             ;   in Loop: Header=BB3_1317 Depth=1
                                        ; implicit-def: $vgpr16_vgpr17
                                        ; implicit-def: $sgpr18
.LBB3_1344:                             ;   in Loop: Header=BB3_1317 Depth=1
	global_load_b64 v[16:17], v9, s[0:1]
	s_add_co_i32 s18, s15, -8
	s_add_nc_u64 s[0:1], s[0:1], 8
.LBB3_1345:                             ;   in Loop: Header=BB3_1317 Depth=1
	s_wait_alu 0xfffe
	s_cmp_gt_u32 s18, 7
	s_cbranch_scc1 .LBB3_1350
; %bb.1346:                             ;   in Loop: Header=BB3_1317 Depth=1
	v_mov_b32_e32 v18, 0
	v_mov_b32_e32 v19, 0
	s_cmp_eq_u32 s18, 0
	s_cbranch_scc1 .LBB3_1349
; %bb.1347:                             ;   in Loop: Header=BB3_1317 Depth=1
	s_mov_b64 s[10:11], 0
	s_mov_b64 s[16:17], 0
.LBB3_1348:                             ;   Parent Loop BB3_1317 Depth=1
                                        ; =>  This Inner Loop Header: Depth=2
	s_wait_alu 0xfffe
	s_add_nc_u64 s[20:21], s[0:1], s[16:17]
	s_add_nc_u64 s[16:17], s[16:17], 1
	global_load_u8 v8, v9, s[20:21]
	s_wait_alu 0xfffe
	s_cmp_lg_u32 s18, s16
	s_wait_loadcnt 0x0
	v_and_b32_e32 v8, 0xffff, v8
	s_delay_alu instid0(VALU_DEP_1) | instskip(SKIP_1) | instid1(VALU_DEP_1)
	v_lshlrev_b64_e32 v[20:21], s10, v[8:9]
	s_add_nc_u64 s[10:11], s[10:11], 8
	v_or_b32_e32 v18, v20, v18
	s_delay_alu instid0(VALU_DEP_2)
	v_or_b32_e32 v19, v21, v19
	s_cbranch_scc1 .LBB3_1348
.LBB3_1349:                             ;   in Loop: Header=BB3_1317 Depth=1
	s_mov_b32 s15, 0
	s_cbranch_execz .LBB3_1351
	s_branch .LBB3_1352
.LBB3_1350:                             ;   in Loop: Header=BB3_1317 Depth=1
                                        ; implicit-def: $sgpr15
.LBB3_1351:                             ;   in Loop: Header=BB3_1317 Depth=1
	global_load_b64 v[18:19], v9, s[0:1]
	s_add_co_i32 s15, s18, -8
	s_add_nc_u64 s[0:1], s[0:1], 8
.LBB3_1352:                             ;   in Loop: Header=BB3_1317 Depth=1
	s_wait_alu 0xfffe
	s_cmp_gt_u32 s15, 7
	s_cbranch_scc1 .LBB3_1357
; %bb.1353:                             ;   in Loop: Header=BB3_1317 Depth=1
	v_mov_b32_e32 v20, 0
	v_mov_b32_e32 v21, 0
	s_cmp_eq_u32 s15, 0
	s_cbranch_scc1 .LBB3_1356
; %bb.1354:                             ;   in Loop: Header=BB3_1317 Depth=1
	s_mov_b64 s[10:11], 0
	s_mov_b64 s[16:17], 0
.LBB3_1355:                             ;   Parent Loop BB3_1317 Depth=1
                                        ; =>  This Inner Loop Header: Depth=2
	s_wait_alu 0xfffe
	s_add_nc_u64 s[18:19], s[0:1], s[16:17]
	s_add_nc_u64 s[16:17], s[16:17], 1
	global_load_u8 v8, v9, s[18:19]
	s_wait_alu 0xfffe
	s_cmp_lg_u32 s15, s16
	s_wait_loadcnt 0x0
	v_and_b32_e32 v8, 0xffff, v8
	s_delay_alu instid0(VALU_DEP_1) | instskip(SKIP_1) | instid1(VALU_DEP_1)
	v_lshlrev_b64_e32 v[22:23], s10, v[8:9]
	s_add_nc_u64 s[10:11], s[10:11], 8
	v_or_b32_e32 v20, v22, v20
	s_delay_alu instid0(VALU_DEP_2)
	v_or_b32_e32 v21, v23, v21
	s_cbranch_scc1 .LBB3_1355
.LBB3_1356:                             ;   in Loop: Header=BB3_1317 Depth=1
	s_mov_b32 s18, 0
	s_cbranch_execz .LBB3_1358
	s_branch .LBB3_1359
.LBB3_1357:                             ;   in Loop: Header=BB3_1317 Depth=1
                                        ; implicit-def: $vgpr20_vgpr21
                                        ; implicit-def: $sgpr18
.LBB3_1358:                             ;   in Loop: Header=BB3_1317 Depth=1
	global_load_b64 v[20:21], v9, s[0:1]
	s_add_co_i32 s18, s15, -8
	s_add_nc_u64 s[0:1], s[0:1], 8
.LBB3_1359:                             ;   in Loop: Header=BB3_1317 Depth=1
	s_wait_alu 0xfffe
	s_cmp_gt_u32 s18, 7
	s_cbranch_scc1 .LBB3_1364
; %bb.1360:                             ;   in Loop: Header=BB3_1317 Depth=1
	v_mov_b32_e32 v22, 0
	v_mov_b32_e32 v23, 0
	s_cmp_eq_u32 s18, 0
	s_cbranch_scc1 .LBB3_1363
; %bb.1361:                             ;   in Loop: Header=BB3_1317 Depth=1
	s_mov_b64 s[10:11], 0
	s_mov_b64 s[16:17], s[0:1]
.LBB3_1362:                             ;   Parent Loop BB3_1317 Depth=1
                                        ; =>  This Inner Loop Header: Depth=2
	global_load_u8 v8, v9, s[16:17]
	s_add_co_i32 s18, s18, -1
	s_wait_alu 0xfffe
	s_add_nc_u64 s[16:17], s[16:17], 1
	s_cmp_lg_u32 s18, 0
	s_wait_loadcnt 0x0
	v_and_b32_e32 v8, 0xffff, v8
	s_delay_alu instid0(VALU_DEP_1) | instskip(SKIP_1) | instid1(VALU_DEP_1)
	v_lshlrev_b64_e32 v[24:25], s10, v[8:9]
	s_add_nc_u64 s[10:11], s[10:11], 8
	v_or_b32_e32 v22, v24, v22
	s_delay_alu instid0(VALU_DEP_2)
	v_or_b32_e32 v23, v25, v23
	s_cbranch_scc1 .LBB3_1362
.LBB3_1363:                             ;   in Loop: Header=BB3_1317 Depth=1
	s_cbranch_execz .LBB3_1365
	s_branch .LBB3_1366
.LBB3_1364:                             ;   in Loop: Header=BB3_1317 Depth=1
.LBB3_1365:                             ;   in Loop: Header=BB3_1317 Depth=1
	global_load_b64 v[22:23], v9, s[0:1]
.LBB3_1366:                             ;   in Loop: Header=BB3_1317 Depth=1
	v_readfirstlane_b32 s0, v50
	v_mov_b32_e32 v28, 0
	v_mov_b32_e32 v29, 0
	s_wait_alu 0xf1ff
	s_delay_alu instid0(VALU_DEP_3) | instskip(NEXT) | instid1(VALU_DEP_1)
	v_cmp_eq_u32_e64 s0, s0, v50
	s_and_saveexec_b32 s1, s0
	s_cbranch_execz .LBB3_1372
; %bb.1367:                             ;   in Loop: Header=BB3_1317 Depth=1
	global_load_b64 v[26:27], v9, s[22:23] offset:24 scope:SCOPE_SYS
	s_wait_loadcnt 0x0
	global_inv scope:SCOPE_SYS
	s_clause 0x1
	global_load_b64 v[24:25], v9, s[22:23] offset:40
	global_load_b64 v[28:29], v9, s[22:23]
	s_mov_b32 s10, exec_lo
	s_wait_loadcnt 0x1
	v_and_b32_e32 v8, v25, v27
	v_and_b32_e32 v24, v24, v26
	s_delay_alu instid0(VALU_DEP_2) | instskip(NEXT) | instid1(VALU_DEP_2)
	v_mul_lo_u32 v8, 24, v8
	v_mul_lo_u32 v25, 0, v24
	v_mul_hi_u32 v30, 24, v24
	v_mul_lo_u32 v24, 24, v24
	s_delay_alu instid0(VALU_DEP_3) | instskip(SKIP_1) | instid1(VALU_DEP_2)
	v_add_nc_u32_e32 v8, v8, v25
	s_wait_loadcnt 0x0
	v_add_co_u32 v24, vcc_lo, v28, v24
	s_delay_alu instid0(VALU_DEP_2) | instskip(SKIP_1) | instid1(VALU_DEP_1)
	v_add_nc_u32_e32 v8, v8, v30
	s_wait_alu 0xfffd
	v_add_co_ci_u32_e32 v25, vcc_lo, v29, v8, vcc_lo
	global_load_b64 v[24:25], v[24:25], off scope:SCOPE_SYS
	s_wait_loadcnt 0x0
	global_atomic_cmpswap_b64 v[28:29], v9, v[24:27], s[22:23] offset:24 th:TH_ATOMIC_RETURN scope:SCOPE_SYS
	s_wait_loadcnt 0x0
	global_inv scope:SCOPE_SYS
	v_cmpx_ne_u64_e64 v[28:29], v[26:27]
	s_cbranch_execz .LBB3_1371
; %bb.1368:                             ;   in Loop: Header=BB3_1317 Depth=1
	s_mov_b32 s11, 0
.LBB3_1369:                             ;   Parent Loop BB3_1317 Depth=1
                                        ; =>  This Inner Loop Header: Depth=2
	s_sleep 1
	s_clause 0x1
	global_load_b64 v[24:25], v9, s[22:23] offset:40
	global_load_b64 v[30:31], v9, s[22:23]
	v_dual_mov_b32 v26, v28 :: v_dual_mov_b32 v27, v29
	s_wait_loadcnt 0x1
	s_delay_alu instid0(VALU_DEP_1) | instskip(NEXT) | instid1(VALU_DEP_2)
	v_and_b32_e32 v8, v24, v26
	v_and_b32_e32 v24, v25, v27
	s_wait_loadcnt 0x0
	s_delay_alu instid0(VALU_DEP_2) | instskip(NEXT) | instid1(VALU_DEP_1)
	v_mad_co_u64_u32 v[28:29], null, v8, 24, v[30:31]
	v_mov_b32_e32 v8, v29
	s_delay_alu instid0(VALU_DEP_1) | instskip(NEXT) | instid1(VALU_DEP_1)
	v_mad_co_u64_u32 v[24:25], null, v24, 24, v[8:9]
	v_mov_b32_e32 v29, v24
	global_load_b64 v[24:25], v[28:29], off scope:SCOPE_SYS
	s_wait_loadcnt 0x0
	global_atomic_cmpswap_b64 v[28:29], v9, v[24:27], s[22:23] offset:24 th:TH_ATOMIC_RETURN scope:SCOPE_SYS
	s_wait_loadcnt 0x0
	global_inv scope:SCOPE_SYS
	v_cmp_eq_u64_e32 vcc_lo, v[28:29], v[26:27]
	s_wait_alu 0xfffe
	s_or_b32 s11, vcc_lo, s11
	s_wait_alu 0xfffe
	s_and_not1_b32 exec_lo, exec_lo, s11
	s_cbranch_execnz .LBB3_1369
; %bb.1370:                             ;   in Loop: Header=BB3_1317 Depth=1
	s_or_b32 exec_lo, exec_lo, s11
.LBB3_1371:                             ;   in Loop: Header=BB3_1317 Depth=1
	s_wait_alu 0xfffe
	s_or_b32 exec_lo, exec_lo, s10
.LBB3_1372:                             ;   in Loop: Header=BB3_1317 Depth=1
	s_wait_alu 0xfffe
	s_or_b32 exec_lo, exec_lo, s1
	s_clause 0x1
	global_load_b64 v[30:31], v9, s[22:23] offset:40
	global_load_b128 v[24:27], v9, s[22:23]
	v_readfirstlane_b32 s1, v29
	v_readfirstlane_b32 s10, v28
	s_mov_b32 s11, exec_lo
	s_wait_loadcnt 0x1
	s_wait_alu 0xf1ff
	v_and_b32_e32 v31, s1, v31
	v_and_b32_e32 v30, s10, v30
	s_delay_alu instid0(VALU_DEP_2) | instskip(NEXT) | instid1(VALU_DEP_2)
	v_mul_lo_u32 v8, 24, v31
	v_mul_lo_u32 v28, 0, v30
	v_mul_hi_u32 v29, 24, v30
	v_mul_lo_u32 v33, 24, v30
	s_delay_alu instid0(VALU_DEP_3) | instskip(SKIP_1) | instid1(VALU_DEP_2)
	v_add_nc_u32_e32 v8, v8, v28
	s_wait_loadcnt 0x0
	v_add_co_u32 v28, vcc_lo, v24, v33
	s_delay_alu instid0(VALU_DEP_2) | instskip(SKIP_1) | instid1(VALU_DEP_1)
	v_add_nc_u32_e32 v8, v8, v29
	s_wait_alu 0xfffd
	v_add_co_ci_u32_e32 v29, vcc_lo, v25, v8, vcc_lo
	s_and_saveexec_b32 s15, s0
	s_cbranch_execz .LBB3_1374
; %bb.1373:                             ;   in Loop: Header=BB3_1317 Depth=1
	s_wait_alu 0xfffe
	v_mov_b32_e32 v8, s11
	global_store_b128 v[28:29], v[8:11], off offset:8
.LBB3_1374:                             ;   in Loop: Header=BB3_1317 Depth=1
	s_wait_alu 0xfffe
	s_or_b32 exec_lo, exec_lo, s15
	v_cmp_gt_u64_e64 vcc_lo, s[4:5], 56
	v_lshlrev_b64_e32 v[30:31], 12, v[30:31]
	v_or_b32_e32 v8, 0, v1
	v_or_b32_e32 v33, v0, v32
	s_lshl_b32 s11, s6, 2
	s_wait_alu 0xfffe
	s_add_co_i32 s11, s11, 28
	s_wait_alu 0xfffd
	v_dual_cndmask_b32 v1, v8, v1 :: v_dual_cndmask_b32 v0, v33, v0
	v_add_co_u32 v26, vcc_lo, v26, v30
	s_wait_alu 0xfffd
	v_add_co_ci_u32_e32 v27, vcc_lo, v27, v31, vcc_lo
	s_wait_alu 0xfffe
	s_and_b32 s11, s11, 0x1e0
	v_readfirstlane_b32 s16, v26
	s_wait_alu 0xfffe
	v_and_or_b32 v0, 0xffffff1f, v0, s11
	v_readfirstlane_b32 s17, v27
	s_clause 0x3
	global_store_b128 v39, v[0:3], s[16:17]
	global_store_b128 v39, v[12:15], s[16:17] offset:16
	global_store_b128 v39, v[16:19], s[16:17] offset:32
	;; [unrolled: 1-line block ×3, first 2 shown]
	s_and_saveexec_b32 s11, s0
	s_cbranch_execz .LBB3_1382
; %bb.1375:                             ;   in Loop: Header=BB3_1317 Depth=1
	s_clause 0x1
	global_load_b64 v[16:17], v9, s[22:23] offset:32 scope:SCOPE_SYS
	global_load_b64 v[0:1], v9, s[22:23] offset:40
	s_mov_b32 s15, exec_lo
	v_dual_mov_b32 v14, s10 :: v_dual_mov_b32 v15, s1
	s_wait_loadcnt 0x0
	v_and_b32_e32 v1, s1, v1
	v_and_b32_e32 v0, s10, v0
	s_delay_alu instid0(VALU_DEP_2) | instskip(NEXT) | instid1(VALU_DEP_2)
	v_mul_lo_u32 v1, 24, v1
	v_mul_lo_u32 v2, 0, v0
	v_mul_hi_u32 v3, 24, v0
	v_mul_lo_u32 v0, 24, v0
	s_delay_alu instid0(VALU_DEP_3) | instskip(NEXT) | instid1(VALU_DEP_2)
	v_add_nc_u32_e32 v1, v1, v2
	v_add_co_u32 v12, vcc_lo, v24, v0
	s_delay_alu instid0(VALU_DEP_2) | instskip(SKIP_1) | instid1(VALU_DEP_1)
	v_add_nc_u32_e32 v1, v1, v3
	s_wait_alu 0xfffd
	v_add_co_ci_u32_e32 v13, vcc_lo, v25, v1, vcc_lo
	global_store_b64 v[12:13], v[16:17], off
	global_wb scope:SCOPE_SYS
	s_wait_storecnt 0x0
	global_atomic_cmpswap_b64 v[2:3], v9, v[14:17], s[22:23] offset:32 th:TH_ATOMIC_RETURN scope:SCOPE_SYS
	s_wait_loadcnt 0x0
	v_cmpx_ne_u64_e64 v[2:3], v[16:17]
	s_cbranch_execz .LBB3_1378
; %bb.1376:                             ;   in Loop: Header=BB3_1317 Depth=1
	s_mov_b32 s16, 0
.LBB3_1377:                             ;   Parent Loop BB3_1317 Depth=1
                                        ; =>  This Inner Loop Header: Depth=2
	v_dual_mov_b32 v0, s10 :: v_dual_mov_b32 v1, s1
	s_sleep 1
	global_store_b64 v[12:13], v[2:3], off
	global_wb scope:SCOPE_SYS
	s_wait_storecnt 0x0
	global_atomic_cmpswap_b64 v[0:1], v9, v[0:3], s[22:23] offset:32 th:TH_ATOMIC_RETURN scope:SCOPE_SYS
	s_wait_loadcnt 0x0
	v_cmp_eq_u64_e32 vcc_lo, v[0:1], v[2:3]
	v_dual_mov_b32 v3, v1 :: v_dual_mov_b32 v2, v0
	s_wait_alu 0xfffe
	s_or_b32 s16, vcc_lo, s16
	s_wait_alu 0xfffe
	s_and_not1_b32 exec_lo, exec_lo, s16
	s_cbranch_execnz .LBB3_1377
.LBB3_1378:                             ;   in Loop: Header=BB3_1317 Depth=1
	s_wait_alu 0xfffe
	s_or_b32 exec_lo, exec_lo, s15
	global_load_b64 v[0:1], v9, s[22:23] offset:16
	s_mov_b32 s16, exec_lo
	s_mov_b32 s15, exec_lo
	s_wait_alu 0xfffe
	v_mbcnt_lo_u32_b32 v2, s16, 0
	s_delay_alu instid0(VALU_DEP_1)
	v_cmpx_eq_u32_e32 0, v2
	s_cbranch_execz .LBB3_1380
; %bb.1379:                             ;   in Loop: Header=BB3_1317 Depth=1
	s_bcnt1_i32_b32 s16, s16
	s_wait_alu 0xfffe
	v_mov_b32_e32 v8, s16
	global_wb scope:SCOPE_SYS
	s_wait_loadcnt 0x0
	global_atomic_add_u64 v[0:1], v[8:9], off offset:8 scope:SCOPE_SYS
.LBB3_1380:                             ;   in Loop: Header=BB3_1317 Depth=1
	s_or_b32 exec_lo, exec_lo, s15
	s_wait_loadcnt 0x0
	global_load_b64 v[2:3], v[0:1], off offset:16
	s_wait_loadcnt 0x0
	v_cmp_eq_u64_e32 vcc_lo, 0, v[2:3]
	s_cbranch_vccnz .LBB3_1382
; %bb.1381:                             ;   in Loop: Header=BB3_1317 Depth=1
	global_load_b32 v8, v[0:1], off offset:24
	s_wait_loadcnt 0x0
	v_and_b32_e32 v0, 0xffffff, v8
	global_wb scope:SCOPE_SYS
	s_wait_storecnt 0x0
	global_store_b64 v[2:3], v[8:9], off scope:SCOPE_SYS
	v_readfirstlane_b32 m0, v0
	s_sendmsg sendmsg(MSG_INTERRUPT)
.LBB3_1382:                             ;   in Loop: Header=BB3_1317 Depth=1
	s_wait_alu 0xfffe
	s_or_b32 exec_lo, exec_lo, s11
	v_add_co_u32 v0, vcc_lo, v26, v39
	s_wait_alu 0xfffd
	v_add_co_ci_u32_e32 v1, vcc_lo, 0, v27, vcc_lo
	s_branch .LBB3_1386
.LBB3_1383:                             ;   in Loop: Header=BB3_1386 Depth=2
	s_wait_alu 0xfffe
	s_or_b32 exec_lo, exec_lo, s11
	s_delay_alu instid0(VALU_DEP_1) | instskip(NEXT) | instid1(VALU_DEP_1)
	v_readfirstlane_b32 s11, v2
	s_cmp_eq_u32 s11, 0
	s_cbranch_scc1 .LBB3_1385
; %bb.1384:                             ;   in Loop: Header=BB3_1386 Depth=2
	s_sleep 1
	s_cbranch_execnz .LBB3_1386
	s_branch .LBB3_1388
.LBB3_1385:                             ;   in Loop: Header=BB3_1317 Depth=1
	s_branch .LBB3_1388
.LBB3_1386:                             ;   Parent Loop BB3_1317 Depth=1
                                        ; =>  This Inner Loop Header: Depth=2
	v_mov_b32_e32 v2, 1
	s_and_saveexec_b32 s11, s0
	s_cbranch_execz .LBB3_1383
; %bb.1387:                             ;   in Loop: Header=BB3_1386 Depth=2
	global_load_b32 v2, v[28:29], off offset:20 scope:SCOPE_SYS
	s_wait_loadcnt 0x0
	global_inv scope:SCOPE_SYS
	v_and_b32_e32 v2, 1, v2
	s_branch .LBB3_1383
.LBB3_1388:                             ;   in Loop: Header=BB3_1317 Depth=1
	global_load_b128 v[0:3], v[0:1], off
	s_and_saveexec_b32 s11, s0
	s_cbranch_execz .LBB3_1316
; %bb.1389:                             ;   in Loop: Header=BB3_1317 Depth=1
	s_clause 0x2
	global_load_b64 v[2:3], v9, s[22:23] offset:40
	global_load_b64 v[16:17], v9, s[22:23] offset:24 scope:SCOPE_SYS
	global_load_b64 v[14:15], v9, s[22:23]
	s_wait_loadcnt 0x2
	v_add_co_u32 v8, vcc_lo, v2, 1
	s_wait_alu 0xfffd
	v_add_co_ci_u32_e32 v18, vcc_lo, 0, v3, vcc_lo
	s_delay_alu instid0(VALU_DEP_2) | instskip(SKIP_1) | instid1(VALU_DEP_2)
	v_add_co_u32 v12, vcc_lo, v8, s10
	s_wait_alu 0xfffd
	v_add_co_ci_u32_e32 v13, vcc_lo, s1, v18, vcc_lo
	s_delay_alu instid0(VALU_DEP_1) | instskip(SKIP_2) | instid1(VALU_DEP_1)
	v_cmp_eq_u64_e32 vcc_lo, 0, v[12:13]
	s_wait_alu 0xfffd
	v_dual_cndmask_b32 v13, v13, v18 :: v_dual_cndmask_b32 v12, v12, v8
	v_and_b32_e32 v3, v13, v3
	s_delay_alu instid0(VALU_DEP_2) | instskip(NEXT) | instid1(VALU_DEP_1)
	v_and_b32_e32 v2, v12, v2
	v_mul_lo_u32 v8, 0, v2
	v_mul_hi_u32 v18, 24, v2
	v_mul_lo_u32 v2, 24, v2
	s_wait_loadcnt 0x0
	s_delay_alu instid0(VALU_DEP_1) | instskip(SKIP_2) | instid1(VALU_DEP_1)
	v_add_co_u32 v2, vcc_lo, v14, v2
	v_mov_b32_e32 v14, v16
	v_mul_lo_u32 v3, 24, v3
	v_add_nc_u32_e32 v3, v3, v8
	s_delay_alu instid0(VALU_DEP_1) | instskip(SKIP_1) | instid1(VALU_DEP_1)
	v_add_nc_u32_e32 v3, v3, v18
	s_wait_alu 0xfffd
	v_add_co_ci_u32_e32 v3, vcc_lo, v15, v3, vcc_lo
	v_mov_b32_e32 v15, v17
	global_store_b64 v[2:3], v[16:17], off
	global_wb scope:SCOPE_SYS
	s_wait_storecnt 0x0
	global_atomic_cmpswap_b64 v[14:15], v9, v[12:15], s[22:23] offset:24 th:TH_ATOMIC_RETURN scope:SCOPE_SYS
	s_wait_loadcnt 0x0
	v_cmp_ne_u64_e32 vcc_lo, v[14:15], v[16:17]
	s_and_b32 exec_lo, exec_lo, vcc_lo
	s_cbranch_execz .LBB3_1316
; %bb.1390:                             ;   in Loop: Header=BB3_1317 Depth=1
	s_mov_b32 s0, 0
.LBB3_1391:                             ;   Parent Loop BB3_1317 Depth=1
                                        ; =>  This Inner Loop Header: Depth=2
	s_sleep 1
	global_store_b64 v[2:3], v[14:15], off
	global_wb scope:SCOPE_SYS
	s_wait_storecnt 0x0
	global_atomic_cmpswap_b64 v[16:17], v9, v[12:15], s[22:23] offset:24 th:TH_ATOMIC_RETURN scope:SCOPE_SYS
	s_wait_loadcnt 0x0
	v_cmp_eq_u64_e32 vcc_lo, v[16:17], v[14:15]
	v_dual_mov_b32 v14, v16 :: v_dual_mov_b32 v15, v17
	s_wait_alu 0xfffe
	s_or_b32 s0, vcc_lo, s0
	s_wait_alu 0xfffe
	s_and_not1_b32 exec_lo, exec_lo, s0
	s_cbranch_execnz .LBB3_1391
	s_branch .LBB3_1316
.LBB3_1392:
	s_branch .LBB3_1421
.LBB3_1393:
                                        ; implicit-def: $vgpr0_vgpr1
	s_cbranch_execz .LBB3_1421
; %bb.1394:
	v_readfirstlane_b32 s0, v50
	v_mov_b32_e32 v9, 0
	v_mov_b32_e32 v10, 0
	s_wait_alu 0xf1ff
	s_delay_alu instid0(VALU_DEP_3) | instskip(NEXT) | instid1(VALU_DEP_1)
	v_cmp_eq_u32_e64 s0, s0, v50
	s_and_saveexec_b32 s1, s0
	s_cbranch_execz .LBB3_1400
; %bb.1395:
	s_wait_loadcnt 0x0
	v_mov_b32_e32 v0, 0
	s_mov_b32 s2, exec_lo
	global_load_b64 v[11:12], v0, s[22:23] offset:24 scope:SCOPE_SYS
	s_wait_loadcnt 0x0
	global_inv scope:SCOPE_SYS
	s_clause 0x1
	global_load_b64 v[1:2], v0, s[22:23] offset:40
	global_load_b64 v[8:9], v0, s[22:23]
	s_wait_loadcnt 0x1
	v_and_b32_e32 v1, v1, v11
	v_and_b32_e32 v2, v2, v12
	s_delay_alu instid0(VALU_DEP_2) | instskip(NEXT) | instid1(VALU_DEP_2)
	v_mul_lo_u32 v3, 0, v1
	v_mul_lo_u32 v2, 24, v2
	v_mul_hi_u32 v10, 24, v1
	v_mul_lo_u32 v1, 24, v1
	s_delay_alu instid0(VALU_DEP_3) | instskip(SKIP_1) | instid1(VALU_DEP_2)
	v_add_nc_u32_e32 v2, v2, v3
	s_wait_loadcnt 0x0
	v_add_co_u32 v1, vcc_lo, v8, v1
	s_delay_alu instid0(VALU_DEP_2) | instskip(SKIP_1) | instid1(VALU_DEP_1)
	v_add_nc_u32_e32 v2, v2, v10
	s_wait_alu 0xfffd
	v_add_co_ci_u32_e32 v2, vcc_lo, v9, v2, vcc_lo
	global_load_b64 v[9:10], v[1:2], off scope:SCOPE_SYS
	s_wait_loadcnt 0x0
	global_atomic_cmpswap_b64 v[9:10], v0, v[9:12], s[22:23] offset:24 th:TH_ATOMIC_RETURN scope:SCOPE_SYS
	s_wait_loadcnt 0x0
	global_inv scope:SCOPE_SYS
	v_cmpx_ne_u64_e64 v[9:10], v[11:12]
	s_cbranch_execz .LBB3_1399
; %bb.1396:
	s_mov_b32 s3, 0
.LBB3_1397:                             ; =>This Inner Loop Header: Depth=1
	s_sleep 1
	s_clause 0x1
	global_load_b64 v[1:2], v0, s[22:23] offset:40
	global_load_b64 v[13:14], v0, s[22:23]
	v_dual_mov_b32 v12, v10 :: v_dual_mov_b32 v11, v9
	s_wait_loadcnt 0x1
	s_delay_alu instid0(VALU_DEP_1) | instskip(SKIP_1) | instid1(VALU_DEP_1)
	v_and_b32_e32 v1, v1, v11
	s_wait_loadcnt 0x0
	v_mad_co_u64_u32 v[8:9], null, v1, 24, v[13:14]
	s_delay_alu instid0(VALU_DEP_1) | instskip(NEXT) | instid1(VALU_DEP_1)
	v_dual_mov_b32 v1, v9 :: v_dual_and_b32 v2, v2, v12
	v_mad_co_u64_u32 v[1:2], null, v2, 24, v[1:2]
	s_delay_alu instid0(VALU_DEP_1)
	v_mov_b32_e32 v9, v1
	global_load_b64 v[9:10], v[8:9], off scope:SCOPE_SYS
	s_wait_loadcnt 0x0
	global_atomic_cmpswap_b64 v[9:10], v0, v[9:12], s[22:23] offset:24 th:TH_ATOMIC_RETURN scope:SCOPE_SYS
	s_wait_loadcnt 0x0
	global_inv scope:SCOPE_SYS
	v_cmp_eq_u64_e32 vcc_lo, v[9:10], v[11:12]
	s_wait_alu 0xfffe
	s_or_b32 s3, vcc_lo, s3
	s_wait_alu 0xfffe
	s_and_not1_b32 exec_lo, exec_lo, s3
	s_cbranch_execnz .LBB3_1397
; %bb.1398:
	s_or_b32 exec_lo, exec_lo, s3
.LBB3_1399:
	s_wait_alu 0xfffe
	s_or_b32 exec_lo, exec_lo, s2
.LBB3_1400:
	s_wait_alu 0xfffe
	s_or_b32 exec_lo, exec_lo, s1
	v_readfirstlane_b32 s1, v10
	v_mov_b32_e32 v8, 0
	v_readfirstlane_b32 s2, v9
	s_mov_b32 s3, exec_lo
	s_clause 0x1
	global_load_b64 v[11:12], v8, s[22:23] offset:40
	global_load_b128 v[0:3], v8, s[22:23]
	s_wait_loadcnt 0x1
	s_wait_alu 0xf1ff
	v_and_b32_e32 v13, s1, v12
	v_and_b32_e32 v12, s2, v11
	s_delay_alu instid0(VALU_DEP_2) | instskip(NEXT) | instid1(VALU_DEP_2)
	v_mul_lo_u32 v9, 24, v13
	v_mul_lo_u32 v10, 0, v12
	v_mul_hi_u32 v11, 24, v12
	v_mul_lo_u32 v14, 24, v12
	s_delay_alu instid0(VALU_DEP_3) | instskip(SKIP_1) | instid1(VALU_DEP_2)
	v_add_nc_u32_e32 v9, v9, v10
	s_wait_loadcnt 0x0
	v_add_co_u32 v10, vcc_lo, v0, v14
	s_delay_alu instid0(VALU_DEP_2) | instskip(SKIP_1) | instid1(VALU_DEP_1)
	v_add_nc_u32_e32 v9, v9, v11
	s_wait_alu 0xfffd
	v_add_co_ci_u32_e32 v11, vcc_lo, v1, v9, vcc_lo
	s_and_saveexec_b32 s4, s0
	s_cbranch_execz .LBB3_1402
; %bb.1401:
	s_wait_alu 0xfffe
	v_dual_mov_b32 v14, s3 :: v_dual_mov_b32 v15, v8
	v_dual_mov_b32 v16, 2 :: v_dual_mov_b32 v17, 1
	global_store_b128 v[10:11], v[14:17], off offset:8
.LBB3_1402:
	s_wait_alu 0xfffe
	s_or_b32 exec_lo, exec_lo, s4
	v_lshlrev_b64_e32 v[12:13], 12, v[12:13]
	s_mov_b32 s4, 0
	v_and_or_b32 v6, 0xffffff1f, v6, 32
	s_wait_alu 0xfffe
	s_mov_b32 s7, s4
	s_mov_b32 s5, s4
	;; [unrolled: 1-line block ×3, first 2 shown]
	v_add_co_u32 v2, vcc_lo, v2, v12
	s_wait_alu 0xfffd
	v_add_co_ci_u32_e32 v3, vcc_lo, v3, v13, vcc_lo
	v_mov_b32_e32 v9, v8
	s_delay_alu instid0(VALU_DEP_3) | instskip(SKIP_1) | instid1(VALU_DEP_4)
	v_add_co_u32 v12, vcc_lo, v2, v39
	v_readfirstlane_b32 s10, v2
	v_readfirstlane_b32 s11, v3
	s_wait_alu 0xfffe
	v_dual_mov_b32 v17, s7 :: v_dual_mov_b32 v14, s4
	s_wait_alu 0xfffd
	v_add_co_ci_u32_e32 v13, vcc_lo, 0, v3, vcc_lo
	v_dual_mov_b32 v16, s6 :: v_dual_mov_b32 v15, s5
	s_clause 0x3
	global_store_b128 v39, v[6:9], s[10:11]
	global_store_b128 v39, v[14:17], s[10:11] offset:16
	global_store_b128 v39, v[14:17], s[10:11] offset:32
	;; [unrolled: 1-line block ×3, first 2 shown]
	s_and_saveexec_b32 s3, s0
	s_cbranch_execz .LBB3_1410
; %bb.1403:
	v_mov_b32_e32 v8, 0
	s_mov_b32 s4, exec_lo
	s_clause 0x1
	global_load_b64 v[16:17], v8, s[22:23] offset:32 scope:SCOPE_SYS
	global_load_b64 v[2:3], v8, s[22:23] offset:40
	v_dual_mov_b32 v15, s1 :: v_dual_mov_b32 v14, s2
	s_wait_loadcnt 0x0
	v_and_b32_e32 v3, s1, v3
	v_and_b32_e32 v2, s2, v2
	s_delay_alu instid0(VALU_DEP_2) | instskip(NEXT) | instid1(VALU_DEP_2)
	v_mul_lo_u32 v3, 24, v3
	v_mul_lo_u32 v6, 0, v2
	v_mul_hi_u32 v7, 24, v2
	v_mul_lo_u32 v2, 24, v2
	s_delay_alu instid0(VALU_DEP_3) | instskip(NEXT) | instid1(VALU_DEP_2)
	v_add_nc_u32_e32 v3, v3, v6
	v_add_co_u32 v6, vcc_lo, v0, v2
	s_delay_alu instid0(VALU_DEP_2) | instskip(SKIP_1) | instid1(VALU_DEP_1)
	v_add_nc_u32_e32 v3, v3, v7
	s_wait_alu 0xfffd
	v_add_co_ci_u32_e32 v7, vcc_lo, v1, v3, vcc_lo
	global_store_b64 v[6:7], v[16:17], off
	global_wb scope:SCOPE_SYS
	s_wait_storecnt 0x0
	global_atomic_cmpswap_b64 v[2:3], v8, v[14:17], s[22:23] offset:32 th:TH_ATOMIC_RETURN scope:SCOPE_SYS
	s_wait_loadcnt 0x0
	v_cmpx_ne_u64_e64 v[2:3], v[16:17]
	s_cbranch_execz .LBB3_1406
; %bb.1404:
	s_mov_b32 s5, 0
.LBB3_1405:                             ; =>This Inner Loop Header: Depth=1
	v_dual_mov_b32 v0, s2 :: v_dual_mov_b32 v1, s1
	s_sleep 1
	global_store_b64 v[6:7], v[2:3], off
	global_wb scope:SCOPE_SYS
	s_wait_storecnt 0x0
	global_atomic_cmpswap_b64 v[0:1], v8, v[0:3], s[22:23] offset:32 th:TH_ATOMIC_RETURN scope:SCOPE_SYS
	s_wait_loadcnt 0x0
	v_cmp_eq_u64_e32 vcc_lo, v[0:1], v[2:3]
	v_dual_mov_b32 v3, v1 :: v_dual_mov_b32 v2, v0
	s_wait_alu 0xfffe
	s_or_b32 s5, vcc_lo, s5
	s_wait_alu 0xfffe
	s_and_not1_b32 exec_lo, exec_lo, s5
	s_cbranch_execnz .LBB3_1405
.LBB3_1406:
	s_wait_alu 0xfffe
	s_or_b32 exec_lo, exec_lo, s4
	v_mov_b32_e32 v3, 0
	s_mov_b32 s5, exec_lo
	s_mov_b32 s4, exec_lo
	s_wait_alu 0xfffe
	v_mbcnt_lo_u32_b32 v2, s5, 0
	global_load_b64 v[0:1], v3, s[22:23] offset:16
	v_cmpx_eq_u32_e32 0, v2
	s_cbranch_execz .LBB3_1408
; %bb.1407:
	s_bcnt1_i32_b32 s5, s5
	s_wait_alu 0xfffe
	v_mov_b32_e32 v2, s5
	global_wb scope:SCOPE_SYS
	s_wait_loadcnt 0x0
	global_atomic_add_u64 v[0:1], v[2:3], off offset:8 scope:SCOPE_SYS
.LBB3_1408:
	s_or_b32 exec_lo, exec_lo, s4
	s_wait_loadcnt 0x0
	global_load_b64 v[2:3], v[0:1], off offset:16
	s_wait_loadcnt 0x0
	v_cmp_eq_u64_e32 vcc_lo, 0, v[2:3]
	s_cbranch_vccnz .LBB3_1410
; %bb.1409:
	global_load_b32 v0, v[0:1], off offset:24
	s_wait_loadcnt 0x0
	v_dual_mov_b32 v1, 0 :: v_dual_and_b32 v6, 0xffffff, v0
	global_wb scope:SCOPE_SYS
	s_wait_storecnt 0x0
	global_store_b64 v[2:3], v[0:1], off scope:SCOPE_SYS
	v_readfirstlane_b32 m0, v6
	s_sendmsg sendmsg(MSG_INTERRUPT)
.LBB3_1410:
	s_wait_alu 0xfffe
	s_or_b32 exec_lo, exec_lo, s3
	s_branch .LBB3_1414
.LBB3_1411:                             ;   in Loop: Header=BB3_1414 Depth=1
	s_wait_alu 0xfffe
	s_or_b32 exec_lo, exec_lo, s3
	s_delay_alu instid0(VALU_DEP_1) | instskip(NEXT) | instid1(VALU_DEP_1)
	v_readfirstlane_b32 s3, v0
	s_cmp_eq_u32 s3, 0
	s_cbranch_scc1 .LBB3_1413
; %bb.1412:                             ;   in Loop: Header=BB3_1414 Depth=1
	s_sleep 1
	s_cbranch_execnz .LBB3_1414
	s_branch .LBB3_1416
.LBB3_1413:
	s_branch .LBB3_1416
.LBB3_1414:                             ; =>This Inner Loop Header: Depth=1
	v_mov_b32_e32 v0, 1
	s_and_saveexec_b32 s3, s0
	s_cbranch_execz .LBB3_1411
; %bb.1415:                             ;   in Loop: Header=BB3_1414 Depth=1
	global_load_b32 v0, v[10:11], off offset:20 scope:SCOPE_SYS
	s_wait_loadcnt 0x0
	global_inv scope:SCOPE_SYS
	v_and_b32_e32 v0, 1, v0
	s_branch .LBB3_1411
.LBB3_1416:
	global_load_b64 v[0:1], v[12:13], off
	s_and_saveexec_b32 s3, s0
	s_cbranch_execz .LBB3_1420
; %bb.1417:
	v_mov_b32_e32 v10, 0
	s_clause 0x2
	global_load_b64 v[2:3], v10, s[22:23] offset:40
	global_load_b64 v[11:12], v10, s[22:23] offset:24 scope:SCOPE_SYS
	global_load_b64 v[8:9], v10, s[22:23]
	s_wait_loadcnt 0x2
	v_add_co_u32 v13, vcc_lo, v2, 1
	s_wait_alu 0xfffd
	v_add_co_ci_u32_e32 v14, vcc_lo, 0, v3, vcc_lo
	s_delay_alu instid0(VALU_DEP_2) | instskip(SKIP_1) | instid1(VALU_DEP_2)
	v_add_co_u32 v6, vcc_lo, v13, s2
	s_wait_alu 0xfffd
	v_add_co_ci_u32_e32 v7, vcc_lo, s1, v14, vcc_lo
	s_delay_alu instid0(VALU_DEP_1) | instskip(SKIP_2) | instid1(VALU_DEP_1)
	v_cmp_eq_u64_e32 vcc_lo, 0, v[6:7]
	s_wait_alu 0xfffd
	v_dual_cndmask_b32 v7, v7, v14 :: v_dual_cndmask_b32 v6, v6, v13
	v_and_b32_e32 v3, v7, v3
	s_delay_alu instid0(VALU_DEP_2) | instskip(NEXT) | instid1(VALU_DEP_2)
	v_and_b32_e32 v2, v6, v2
	v_mul_lo_u32 v3, 24, v3
	s_delay_alu instid0(VALU_DEP_2) | instskip(SKIP_2) | instid1(VALU_DEP_3)
	v_mul_lo_u32 v13, 0, v2
	v_mul_hi_u32 v14, 24, v2
	v_mul_lo_u32 v2, 24, v2
	v_add_nc_u32_e32 v3, v3, v13
	s_wait_loadcnt 0x0
	s_delay_alu instid0(VALU_DEP_2) | instskip(SKIP_1) | instid1(VALU_DEP_3)
	v_add_co_u32 v2, vcc_lo, v8, v2
	v_mov_b32_e32 v8, v11
	v_add_nc_u32_e32 v3, v3, v14
	s_wait_alu 0xfffd
	s_delay_alu instid0(VALU_DEP_1)
	v_add_co_ci_u32_e32 v3, vcc_lo, v9, v3, vcc_lo
	v_mov_b32_e32 v9, v12
	global_store_b64 v[2:3], v[11:12], off
	global_wb scope:SCOPE_SYS
	s_wait_storecnt 0x0
	global_atomic_cmpswap_b64 v[8:9], v10, v[6:9], s[22:23] offset:24 th:TH_ATOMIC_RETURN scope:SCOPE_SYS
	s_wait_loadcnt 0x0
	v_cmp_ne_u64_e32 vcc_lo, v[8:9], v[11:12]
	s_and_b32 exec_lo, exec_lo, vcc_lo
	s_cbranch_execz .LBB3_1420
; %bb.1418:
	s_mov_b32 s0, 0
.LBB3_1419:                             ; =>This Inner Loop Header: Depth=1
	s_sleep 1
	global_store_b64 v[2:3], v[8:9], off
	global_wb scope:SCOPE_SYS
	s_wait_storecnt 0x0
	global_atomic_cmpswap_b64 v[11:12], v10, v[6:9], s[22:23] offset:24 th:TH_ATOMIC_RETURN scope:SCOPE_SYS
	s_wait_loadcnt 0x0
	v_cmp_eq_u64_e32 vcc_lo, v[11:12], v[8:9]
	v_dual_mov_b32 v8, v11 :: v_dual_mov_b32 v9, v12
	s_wait_alu 0xfffe
	s_or_b32 s0, vcc_lo, s0
	s_wait_alu 0xfffe
	s_and_not1_b32 exec_lo, exec_lo, s0
	s_cbranch_execnz .LBB3_1419
.LBB3_1420:
	s_wait_alu 0xfffe
	s_or_b32 exec_lo, exec_lo, s3
.LBB3_1421:
	s_getpc_b64 s[2:3]
	s_wait_alu 0xfffe
	s_sext_i32_i16 s3, s3
	s_add_co_u32 s2, s2, .str.4@rel32@lo+12
	s_wait_alu 0xfffe
	s_add_co_ci_u32 s3, s3, .str.4@rel32@hi+24
	s_wait_alu 0xfffe
	s_cmp_lg_u64 s[2:3], 0
	s_cbranch_scc0 .LBB3_1500
; %bb.1422:
	s_wait_loadcnt 0x0
	v_dual_mov_b32 v11, v1 :: v_dual_and_b32 v10, -3, v0
	v_dual_mov_b32 v7, 0 :: v_dual_mov_b32 v8, 2
	v_mov_b32_e32 v9, 1
	s_mov_b64 s[4:5], 13
	s_branch .LBB3_1424
.LBB3_1423:                             ;   in Loop: Header=BB3_1424 Depth=1
	s_wait_alu 0xfffe
	s_or_b32 exec_lo, exec_lo, s11
	s_sub_nc_u64 s[4:5], s[4:5], s[6:7]
	s_add_nc_u64 s[2:3], s[2:3], s[6:7]
	s_wait_alu 0xfffe
	s_cmp_lg_u64 s[4:5], 0
	s_cbranch_scc0 .LBB3_1499
.LBB3_1424:                             ; =>This Loop Header: Depth=1
                                        ;     Child Loop BB3_1433 Depth 2
                                        ;     Child Loop BB3_1429 Depth 2
	;; [unrolled: 1-line block ×11, first 2 shown]
	s_wait_alu 0xfffe
	v_cmp_lt_u64_e64 s0, s[4:5], 56
	v_cmp_gt_u64_e64 s1, s[4:5], 7
                                        ; implicit-def: $sgpr15
	s_delay_alu instid0(VALU_DEP_2) | instskip(SKIP_2) | instid1(VALU_DEP_1)
	s_and_b32 s0, s0, exec_lo
	s_cselect_b32 s7, s5, 0
	s_cselect_b32 s6, s4, 56
	s_and_b32 vcc_lo, exec_lo, s1
	s_mov_b32 s0, -1
	s_wait_alu 0xfffe
	s_cbranch_vccz .LBB3_1431
; %bb.1425:                             ;   in Loop: Header=BB3_1424 Depth=1
	s_and_not1_b32 vcc_lo, exec_lo, s0
	s_mov_b64 s[0:1], s[2:3]
	s_wait_alu 0xfffe
	s_cbranch_vccz .LBB3_1435
.LBB3_1426:                             ;   in Loop: Header=BB3_1424 Depth=1
	s_wait_alu 0xfffe
	s_cmp_gt_u32 s15, 7
	s_cbranch_scc1 .LBB3_1436
.LBB3_1427:                             ;   in Loop: Header=BB3_1424 Depth=1
	v_mov_b32_e32 v14, 0
	v_mov_b32_e32 v15, 0
	s_cmp_eq_u32 s15, 0
	s_cbranch_scc1 .LBB3_1430
; %bb.1428:                             ;   in Loop: Header=BB3_1424 Depth=1
	s_mov_b64 s[10:11], 0
	s_mov_b64 s[16:17], 0
.LBB3_1429:                             ;   Parent Loop BB3_1424 Depth=1
                                        ; =>  This Inner Loop Header: Depth=2
	s_wait_alu 0xfffe
	s_add_nc_u64 s[18:19], s[0:1], s[16:17]
	s_add_nc_u64 s[16:17], s[16:17], 1
	global_load_u8 v2, v7, s[18:19]
	s_wait_alu 0xfffe
	s_cmp_lg_u32 s15, s16
	s_wait_loadcnt 0x0
	v_and_b32_e32 v6, 0xffff, v2
	s_delay_alu instid0(VALU_DEP_1) | instskip(SKIP_1) | instid1(VALU_DEP_1)
	v_lshlrev_b64_e32 v[2:3], s10, v[6:7]
	s_add_nc_u64 s[10:11], s[10:11], 8
	v_or_b32_e32 v14, v2, v14
	s_delay_alu instid0(VALU_DEP_2)
	v_or_b32_e32 v15, v3, v15
	s_cbranch_scc1 .LBB3_1429
.LBB3_1430:                             ;   in Loop: Header=BB3_1424 Depth=1
	s_mov_b32 s18, 0
	s_cbranch_execz .LBB3_1437
	s_branch .LBB3_1438
.LBB3_1431:                             ;   in Loop: Header=BB3_1424 Depth=1
	s_wait_loadcnt 0x0
	v_mov_b32_e32 v12, 0
	v_mov_b32_e32 v13, 0
	s_cmp_eq_u64 s[4:5], 0
	s_mov_b64 s[0:1], 0
	s_cbranch_scc1 .LBB3_1434
; %bb.1432:                             ;   in Loop: Header=BB3_1424 Depth=1
	v_mov_b32_e32 v12, 0
	v_mov_b32_e32 v13, 0
	s_mov_b64 s[10:11], 0
.LBB3_1433:                             ;   Parent Loop BB3_1424 Depth=1
                                        ; =>  This Inner Loop Header: Depth=2
	s_wait_alu 0xfffe
	s_add_nc_u64 s[16:17], s[2:3], s[10:11]
	s_add_nc_u64 s[10:11], s[10:11], 1
	global_load_u8 v2, v7, s[16:17]
	s_wait_alu 0xfffe
	s_cmp_lg_u32 s6, s10
	s_wait_loadcnt 0x0
	v_and_b32_e32 v6, 0xffff, v2
	s_delay_alu instid0(VALU_DEP_1) | instskip(SKIP_1) | instid1(VALU_DEP_1)
	v_lshlrev_b64_e32 v[2:3], s0, v[6:7]
	s_add_nc_u64 s[0:1], s[0:1], 8
	v_or_b32_e32 v12, v2, v12
	s_delay_alu instid0(VALU_DEP_2)
	v_or_b32_e32 v13, v3, v13
	s_cbranch_scc1 .LBB3_1433
.LBB3_1434:                             ;   in Loop: Header=BB3_1424 Depth=1
	s_mov_b32 s15, 0
	s_mov_b64 s[0:1], s[2:3]
	s_cbranch_execnz .LBB3_1426
.LBB3_1435:                             ;   in Loop: Header=BB3_1424 Depth=1
	global_load_b64 v[12:13], v7, s[2:3]
	s_add_co_i32 s15, s6, -8
	s_add_nc_u64 s[0:1], s[2:3], 8
	s_wait_alu 0xfffe
	s_cmp_gt_u32 s15, 7
	s_cbranch_scc0 .LBB3_1427
.LBB3_1436:                             ;   in Loop: Header=BB3_1424 Depth=1
                                        ; implicit-def: $vgpr14_vgpr15
                                        ; implicit-def: $sgpr18
.LBB3_1437:                             ;   in Loop: Header=BB3_1424 Depth=1
	global_load_b64 v[14:15], v7, s[0:1]
	s_add_co_i32 s18, s15, -8
	s_add_nc_u64 s[0:1], s[0:1], 8
.LBB3_1438:                             ;   in Loop: Header=BB3_1424 Depth=1
	s_wait_alu 0xfffe
	s_cmp_gt_u32 s18, 7
	s_cbranch_scc1 .LBB3_1443
; %bb.1439:                             ;   in Loop: Header=BB3_1424 Depth=1
	v_mov_b32_e32 v16, 0
	v_mov_b32_e32 v17, 0
	s_cmp_eq_u32 s18, 0
	s_cbranch_scc1 .LBB3_1442
; %bb.1440:                             ;   in Loop: Header=BB3_1424 Depth=1
	s_mov_b64 s[10:11], 0
	s_mov_b64 s[16:17], 0
.LBB3_1441:                             ;   Parent Loop BB3_1424 Depth=1
                                        ; =>  This Inner Loop Header: Depth=2
	s_wait_alu 0xfffe
	s_add_nc_u64 s[20:21], s[0:1], s[16:17]
	s_add_nc_u64 s[16:17], s[16:17], 1
	global_load_u8 v2, v7, s[20:21]
	s_wait_alu 0xfffe
	s_cmp_lg_u32 s18, s16
	s_wait_loadcnt 0x0
	v_and_b32_e32 v6, 0xffff, v2
	s_delay_alu instid0(VALU_DEP_1) | instskip(SKIP_1) | instid1(VALU_DEP_1)
	v_lshlrev_b64_e32 v[2:3], s10, v[6:7]
	s_add_nc_u64 s[10:11], s[10:11], 8
	v_or_b32_e32 v16, v2, v16
	s_delay_alu instid0(VALU_DEP_2)
	v_or_b32_e32 v17, v3, v17
	s_cbranch_scc1 .LBB3_1441
.LBB3_1442:                             ;   in Loop: Header=BB3_1424 Depth=1
	s_mov_b32 s15, 0
	s_cbranch_execz .LBB3_1444
	s_branch .LBB3_1445
.LBB3_1443:                             ;   in Loop: Header=BB3_1424 Depth=1
                                        ; implicit-def: $sgpr15
.LBB3_1444:                             ;   in Loop: Header=BB3_1424 Depth=1
	global_load_b64 v[16:17], v7, s[0:1]
	s_add_co_i32 s15, s18, -8
	s_add_nc_u64 s[0:1], s[0:1], 8
.LBB3_1445:                             ;   in Loop: Header=BB3_1424 Depth=1
	s_wait_alu 0xfffe
	s_cmp_gt_u32 s15, 7
	s_cbranch_scc1 .LBB3_1450
; %bb.1446:                             ;   in Loop: Header=BB3_1424 Depth=1
	v_mov_b32_e32 v18, 0
	v_mov_b32_e32 v19, 0
	s_cmp_eq_u32 s15, 0
	s_cbranch_scc1 .LBB3_1449
; %bb.1447:                             ;   in Loop: Header=BB3_1424 Depth=1
	s_mov_b64 s[10:11], 0
	s_mov_b64 s[16:17], 0
.LBB3_1448:                             ;   Parent Loop BB3_1424 Depth=1
                                        ; =>  This Inner Loop Header: Depth=2
	s_wait_alu 0xfffe
	s_add_nc_u64 s[18:19], s[0:1], s[16:17]
	s_add_nc_u64 s[16:17], s[16:17], 1
	global_load_u8 v2, v7, s[18:19]
	s_wait_alu 0xfffe
	s_cmp_lg_u32 s15, s16
	s_wait_loadcnt 0x0
	v_and_b32_e32 v6, 0xffff, v2
	s_delay_alu instid0(VALU_DEP_1) | instskip(SKIP_1) | instid1(VALU_DEP_1)
	v_lshlrev_b64_e32 v[2:3], s10, v[6:7]
	s_add_nc_u64 s[10:11], s[10:11], 8
	v_or_b32_e32 v18, v2, v18
	s_delay_alu instid0(VALU_DEP_2)
	v_or_b32_e32 v19, v3, v19
	s_cbranch_scc1 .LBB3_1448
.LBB3_1449:                             ;   in Loop: Header=BB3_1424 Depth=1
	s_mov_b32 s18, 0
	s_cbranch_execz .LBB3_1451
	s_branch .LBB3_1452
.LBB3_1450:                             ;   in Loop: Header=BB3_1424 Depth=1
                                        ; implicit-def: $vgpr18_vgpr19
                                        ; implicit-def: $sgpr18
.LBB3_1451:                             ;   in Loop: Header=BB3_1424 Depth=1
	global_load_b64 v[18:19], v7, s[0:1]
	s_add_co_i32 s18, s15, -8
	s_add_nc_u64 s[0:1], s[0:1], 8
.LBB3_1452:                             ;   in Loop: Header=BB3_1424 Depth=1
	s_wait_alu 0xfffe
	s_cmp_gt_u32 s18, 7
	s_cbranch_scc1 .LBB3_1457
; %bb.1453:                             ;   in Loop: Header=BB3_1424 Depth=1
	v_mov_b32_e32 v20, 0
	v_mov_b32_e32 v21, 0
	s_cmp_eq_u32 s18, 0
	s_cbranch_scc1 .LBB3_1456
; %bb.1454:                             ;   in Loop: Header=BB3_1424 Depth=1
	s_mov_b64 s[10:11], 0
	s_mov_b64 s[16:17], 0
.LBB3_1455:                             ;   Parent Loop BB3_1424 Depth=1
                                        ; =>  This Inner Loop Header: Depth=2
	s_wait_alu 0xfffe
	s_add_nc_u64 s[20:21], s[0:1], s[16:17]
	s_add_nc_u64 s[16:17], s[16:17], 1
	global_load_u8 v2, v7, s[20:21]
	s_wait_alu 0xfffe
	s_cmp_lg_u32 s18, s16
	s_wait_loadcnt 0x0
	v_and_b32_e32 v6, 0xffff, v2
	s_delay_alu instid0(VALU_DEP_1) | instskip(SKIP_1) | instid1(VALU_DEP_1)
	v_lshlrev_b64_e32 v[2:3], s10, v[6:7]
	s_add_nc_u64 s[10:11], s[10:11], 8
	v_or_b32_e32 v20, v2, v20
	s_delay_alu instid0(VALU_DEP_2)
	v_or_b32_e32 v21, v3, v21
	s_cbranch_scc1 .LBB3_1455
.LBB3_1456:                             ;   in Loop: Header=BB3_1424 Depth=1
	s_mov_b32 s15, 0
	s_cbranch_execz .LBB3_1458
	s_branch .LBB3_1459
.LBB3_1457:                             ;   in Loop: Header=BB3_1424 Depth=1
                                        ; implicit-def: $sgpr15
.LBB3_1458:                             ;   in Loop: Header=BB3_1424 Depth=1
	global_load_b64 v[20:21], v7, s[0:1]
	s_add_co_i32 s15, s18, -8
	s_add_nc_u64 s[0:1], s[0:1], 8
.LBB3_1459:                             ;   in Loop: Header=BB3_1424 Depth=1
	s_wait_alu 0xfffe
	s_cmp_gt_u32 s15, 7
	s_cbranch_scc1 .LBB3_1464
; %bb.1460:                             ;   in Loop: Header=BB3_1424 Depth=1
	v_mov_b32_e32 v22, 0
	v_mov_b32_e32 v23, 0
	s_cmp_eq_u32 s15, 0
	s_cbranch_scc1 .LBB3_1463
; %bb.1461:                             ;   in Loop: Header=BB3_1424 Depth=1
	s_mov_b64 s[10:11], 0
	s_mov_b64 s[16:17], 0
.LBB3_1462:                             ;   Parent Loop BB3_1424 Depth=1
                                        ; =>  This Inner Loop Header: Depth=2
	s_wait_alu 0xfffe
	s_add_nc_u64 s[18:19], s[0:1], s[16:17]
	s_add_nc_u64 s[16:17], s[16:17], 1
	global_load_u8 v2, v7, s[18:19]
	s_wait_alu 0xfffe
	s_cmp_lg_u32 s15, s16
	s_wait_loadcnt 0x0
	v_and_b32_e32 v6, 0xffff, v2
	s_delay_alu instid0(VALU_DEP_1) | instskip(SKIP_1) | instid1(VALU_DEP_1)
	v_lshlrev_b64_e32 v[2:3], s10, v[6:7]
	s_add_nc_u64 s[10:11], s[10:11], 8
	v_or_b32_e32 v22, v2, v22
	s_delay_alu instid0(VALU_DEP_2)
	v_or_b32_e32 v23, v3, v23
	s_cbranch_scc1 .LBB3_1462
.LBB3_1463:                             ;   in Loop: Header=BB3_1424 Depth=1
	s_mov_b32 s18, 0
	s_cbranch_execz .LBB3_1465
	s_branch .LBB3_1466
.LBB3_1464:                             ;   in Loop: Header=BB3_1424 Depth=1
                                        ; implicit-def: $vgpr22_vgpr23
                                        ; implicit-def: $sgpr18
.LBB3_1465:                             ;   in Loop: Header=BB3_1424 Depth=1
	global_load_b64 v[22:23], v7, s[0:1]
	s_add_co_i32 s18, s15, -8
	s_add_nc_u64 s[0:1], s[0:1], 8
.LBB3_1466:                             ;   in Loop: Header=BB3_1424 Depth=1
	s_wait_alu 0xfffe
	s_cmp_gt_u32 s18, 7
	s_cbranch_scc1 .LBB3_1471
; %bb.1467:                             ;   in Loop: Header=BB3_1424 Depth=1
	v_mov_b32_e32 v24, 0
	v_mov_b32_e32 v25, 0
	s_cmp_eq_u32 s18, 0
	s_cbranch_scc1 .LBB3_1470
; %bb.1468:                             ;   in Loop: Header=BB3_1424 Depth=1
	s_mov_b64 s[10:11], 0
	s_mov_b64 s[16:17], s[0:1]
.LBB3_1469:                             ;   Parent Loop BB3_1424 Depth=1
                                        ; =>  This Inner Loop Header: Depth=2
	global_load_u8 v2, v7, s[16:17]
	s_add_co_i32 s18, s18, -1
	s_wait_alu 0xfffe
	s_add_nc_u64 s[16:17], s[16:17], 1
	s_cmp_lg_u32 s18, 0
	s_wait_loadcnt 0x0
	v_and_b32_e32 v6, 0xffff, v2
	s_delay_alu instid0(VALU_DEP_1) | instskip(SKIP_1) | instid1(VALU_DEP_1)
	v_lshlrev_b64_e32 v[2:3], s10, v[6:7]
	s_add_nc_u64 s[10:11], s[10:11], 8
	v_or_b32_e32 v24, v2, v24
	s_delay_alu instid0(VALU_DEP_2)
	v_or_b32_e32 v25, v3, v25
	s_cbranch_scc1 .LBB3_1469
.LBB3_1470:                             ;   in Loop: Header=BB3_1424 Depth=1
	s_cbranch_execz .LBB3_1472
	s_branch .LBB3_1473
.LBB3_1471:                             ;   in Loop: Header=BB3_1424 Depth=1
.LBB3_1472:                             ;   in Loop: Header=BB3_1424 Depth=1
	global_load_b64 v[24:25], v7, s[0:1]
.LBB3_1473:                             ;   in Loop: Header=BB3_1424 Depth=1
	v_readfirstlane_b32 s0, v50
	v_mov_b32_e32 v2, 0
	v_mov_b32_e32 v3, 0
	s_wait_alu 0xf1ff
	s_delay_alu instid0(VALU_DEP_3) | instskip(NEXT) | instid1(VALU_DEP_1)
	v_cmp_eq_u32_e64 s0, s0, v50
	s_and_saveexec_b32 s1, s0
	s_cbranch_execz .LBB3_1479
; %bb.1474:                             ;   in Loop: Header=BB3_1424 Depth=1
	global_load_b64 v[28:29], v7, s[22:23] offset:24 scope:SCOPE_SYS
	s_wait_loadcnt 0x0
	global_inv scope:SCOPE_SYS
	s_clause 0x1
	global_load_b64 v[2:3], v7, s[22:23] offset:40
	global_load_b64 v[26:27], v7, s[22:23]
	s_mov_b32 s10, exec_lo
	s_wait_loadcnt 0x1
	v_and_b32_e32 v3, v3, v29
	v_and_b32_e32 v2, v2, v28
	s_delay_alu instid0(VALU_DEP_2) | instskip(NEXT) | instid1(VALU_DEP_2)
	v_mul_lo_u32 v3, 24, v3
	v_mul_lo_u32 v6, 0, v2
	v_mul_hi_u32 v30, 24, v2
	v_mul_lo_u32 v2, 24, v2
	s_delay_alu instid0(VALU_DEP_3) | instskip(SKIP_1) | instid1(VALU_DEP_2)
	v_add_nc_u32_e32 v3, v3, v6
	s_wait_loadcnt 0x0
	v_add_co_u32 v2, vcc_lo, v26, v2
	s_delay_alu instid0(VALU_DEP_2) | instskip(SKIP_1) | instid1(VALU_DEP_1)
	v_add_nc_u32_e32 v3, v3, v30
	s_wait_alu 0xfffd
	v_add_co_ci_u32_e32 v3, vcc_lo, v27, v3, vcc_lo
	global_load_b64 v[26:27], v[2:3], off scope:SCOPE_SYS
	s_wait_loadcnt 0x0
	global_atomic_cmpswap_b64 v[2:3], v7, v[26:29], s[22:23] offset:24 th:TH_ATOMIC_RETURN scope:SCOPE_SYS
	s_wait_loadcnt 0x0
	global_inv scope:SCOPE_SYS
	v_cmpx_ne_u64_e64 v[2:3], v[28:29]
	s_cbranch_execz .LBB3_1478
; %bb.1475:                             ;   in Loop: Header=BB3_1424 Depth=1
	s_mov_b32 s11, 0
.LBB3_1476:                             ;   Parent Loop BB3_1424 Depth=1
                                        ; =>  This Inner Loop Header: Depth=2
	s_sleep 1
	s_clause 0x1
	global_load_b64 v[26:27], v7, s[22:23] offset:40
	global_load_b64 v[30:31], v7, s[22:23]
	v_dual_mov_b32 v29, v3 :: v_dual_mov_b32 v28, v2
	s_wait_loadcnt 0x1
	s_delay_alu instid0(VALU_DEP_1) | instskip(NEXT) | instid1(VALU_DEP_2)
	v_and_b32_e32 v2, v26, v28
	v_and_b32_e32 v6, v27, v29
	s_wait_loadcnt 0x0
	s_delay_alu instid0(VALU_DEP_2) | instskip(NEXT) | instid1(VALU_DEP_1)
	v_mad_co_u64_u32 v[2:3], null, v2, 24, v[30:31]
	v_mad_co_u64_u32 v[26:27], null, v6, 24, v[3:4]
	s_delay_alu instid0(VALU_DEP_1)
	v_mov_b32_e32 v3, v26
	global_load_b64 v[26:27], v[2:3], off scope:SCOPE_SYS
	s_wait_loadcnt 0x0
	global_atomic_cmpswap_b64 v[2:3], v7, v[26:29], s[22:23] offset:24 th:TH_ATOMIC_RETURN scope:SCOPE_SYS
	s_wait_loadcnt 0x0
	global_inv scope:SCOPE_SYS
	v_cmp_eq_u64_e32 vcc_lo, v[2:3], v[28:29]
	s_wait_alu 0xfffe
	s_or_b32 s11, vcc_lo, s11
	s_wait_alu 0xfffe
	s_and_not1_b32 exec_lo, exec_lo, s11
	s_cbranch_execnz .LBB3_1476
; %bb.1477:                             ;   in Loop: Header=BB3_1424 Depth=1
	s_or_b32 exec_lo, exec_lo, s11
.LBB3_1478:                             ;   in Loop: Header=BB3_1424 Depth=1
	s_wait_alu 0xfffe
	s_or_b32 exec_lo, exec_lo, s10
.LBB3_1479:                             ;   in Loop: Header=BB3_1424 Depth=1
	s_wait_alu 0xfffe
	s_or_b32 exec_lo, exec_lo, s1
	s_clause 0x1
	global_load_b64 v[30:31], v7, s[22:23] offset:40
	global_load_b128 v[26:29], v7, s[22:23]
	v_readfirstlane_b32 s1, v3
	v_readfirstlane_b32 s10, v2
	s_mov_b32 s11, exec_lo
	s_wait_loadcnt 0x1
	s_wait_alu 0xf1ff
	v_and_b32_e32 v31, s1, v31
	v_and_b32_e32 v30, s10, v30
	s_delay_alu instid0(VALU_DEP_2) | instskip(NEXT) | instid1(VALU_DEP_2)
	v_mul_lo_u32 v2, 24, v31
	v_mul_lo_u32 v3, 0, v30
	v_mul_hi_u32 v6, 24, v30
	v_mul_lo_u32 v32, 24, v30
	s_delay_alu instid0(VALU_DEP_3) | instskip(NEXT) | instid1(VALU_DEP_1)
	v_add_nc_u32_e32 v2, v2, v3
	v_add_nc_u32_e32 v3, v2, v6
	s_wait_loadcnt 0x0
	s_delay_alu instid0(VALU_DEP_3) | instskip(SKIP_1) | instid1(VALU_DEP_2)
	v_add_co_u32 v2, vcc_lo, v26, v32
	s_wait_alu 0xfffd
	v_add_co_ci_u32_e32 v3, vcc_lo, v27, v3, vcc_lo
	s_and_saveexec_b32 s15, s0
	s_cbranch_execz .LBB3_1481
; %bb.1480:                             ;   in Loop: Header=BB3_1424 Depth=1
	s_wait_alu 0xfffe
	v_mov_b32_e32 v6, s11
	global_store_b128 v[2:3], v[6:9], off offset:8
.LBB3_1481:                             ;   in Loop: Header=BB3_1424 Depth=1
	s_wait_alu 0xfffe
	s_or_b32 exec_lo, exec_lo, s15
	v_lshlrev_b64_e32 v[30:31], 12, v[30:31]
	v_cmp_gt_u64_e64 vcc_lo, s[4:5], 56
	v_or_b32_e32 v6, 2, v10
	s_lshl_b32 s11, s6, 2
	s_wait_alu 0xfffe
	s_add_co_i32 s11, s11, 28
	s_wait_alu 0xfffd
	v_cndmask_b32_e32 v6, v6, v10, vcc_lo
	v_add_co_u32 v28, vcc_lo, v28, v30
	s_wait_alu 0xfffd
	v_add_co_ci_u32_e32 v29, vcc_lo, v29, v31, vcc_lo
	s_wait_alu 0xfffe
	s_and_b32 s11, s11, 0x1e0
	v_readfirstlane_b32 s16, v28
	s_wait_alu 0xfffe
	v_and_or_b32 v10, 0xffffff1f, v6, s11
	v_readfirstlane_b32 s17, v29
	s_clause 0x3
	global_store_b128 v39, v[10:13], s[16:17]
	global_store_b128 v39, v[14:17], s[16:17] offset:16
	global_store_b128 v39, v[18:21], s[16:17] offset:32
	;; [unrolled: 1-line block ×3, first 2 shown]
	s_and_saveexec_b32 s11, s0
	s_cbranch_execz .LBB3_1489
; %bb.1482:                             ;   in Loop: Header=BB3_1424 Depth=1
	s_clause 0x1
	global_load_b64 v[18:19], v7, s[22:23] offset:32 scope:SCOPE_SYS
	global_load_b64 v[10:11], v7, s[22:23] offset:40
	v_mov_b32_e32 v16, s10
	s_mov_b32 s15, exec_lo
	s_wait_loadcnt 0x0
	v_dual_mov_b32 v17, s1 :: v_dual_and_b32 v6, s1, v11
	v_and_b32_e32 v10, s10, v10
	s_delay_alu instid0(VALU_DEP_2) | instskip(NEXT) | instid1(VALU_DEP_2)
	v_mul_lo_u32 v6, 24, v6
	v_mul_lo_u32 v11, 0, v10
	v_mul_hi_u32 v12, 24, v10
	v_mul_lo_u32 v10, 24, v10
	s_delay_alu instid0(VALU_DEP_3) | instskip(NEXT) | instid1(VALU_DEP_2)
	v_add_nc_u32_e32 v6, v6, v11
	v_add_co_u32 v14, vcc_lo, v26, v10
	s_delay_alu instid0(VALU_DEP_2) | instskip(SKIP_1) | instid1(VALU_DEP_1)
	v_add_nc_u32_e32 v6, v6, v12
	s_wait_alu 0xfffd
	v_add_co_ci_u32_e32 v15, vcc_lo, v27, v6, vcc_lo
	global_store_b64 v[14:15], v[18:19], off
	global_wb scope:SCOPE_SYS
	s_wait_storecnt 0x0
	global_atomic_cmpswap_b64 v[12:13], v7, v[16:19], s[22:23] offset:32 th:TH_ATOMIC_RETURN scope:SCOPE_SYS
	s_wait_loadcnt 0x0
	v_cmpx_ne_u64_e64 v[12:13], v[18:19]
	s_cbranch_execz .LBB3_1485
; %bb.1483:                             ;   in Loop: Header=BB3_1424 Depth=1
	s_mov_b32 s16, 0
.LBB3_1484:                             ;   Parent Loop BB3_1424 Depth=1
                                        ; =>  This Inner Loop Header: Depth=2
	v_dual_mov_b32 v10, s10 :: v_dual_mov_b32 v11, s1
	s_sleep 1
	global_store_b64 v[14:15], v[12:13], off
	global_wb scope:SCOPE_SYS
	s_wait_storecnt 0x0
	global_atomic_cmpswap_b64 v[10:11], v7, v[10:13], s[22:23] offset:32 th:TH_ATOMIC_RETURN scope:SCOPE_SYS
	s_wait_loadcnt 0x0
	v_cmp_eq_u64_e32 vcc_lo, v[10:11], v[12:13]
	v_dual_mov_b32 v13, v11 :: v_dual_mov_b32 v12, v10
	s_wait_alu 0xfffe
	s_or_b32 s16, vcc_lo, s16
	s_wait_alu 0xfffe
	s_and_not1_b32 exec_lo, exec_lo, s16
	s_cbranch_execnz .LBB3_1484
.LBB3_1485:                             ;   in Loop: Header=BB3_1424 Depth=1
	s_wait_alu 0xfffe
	s_or_b32 exec_lo, exec_lo, s15
	global_load_b64 v[10:11], v7, s[22:23] offset:16
	s_mov_b32 s16, exec_lo
	s_mov_b32 s15, exec_lo
	s_wait_alu 0xfffe
	v_mbcnt_lo_u32_b32 v6, s16, 0
	s_delay_alu instid0(VALU_DEP_1)
	v_cmpx_eq_u32_e32 0, v6
	s_cbranch_execz .LBB3_1487
; %bb.1486:                             ;   in Loop: Header=BB3_1424 Depth=1
	s_bcnt1_i32_b32 s16, s16
	s_wait_alu 0xfffe
	v_mov_b32_e32 v6, s16
	global_wb scope:SCOPE_SYS
	s_wait_loadcnt 0x0
	global_atomic_add_u64 v[10:11], v[6:7], off offset:8 scope:SCOPE_SYS
.LBB3_1487:                             ;   in Loop: Header=BB3_1424 Depth=1
	s_or_b32 exec_lo, exec_lo, s15
	s_wait_loadcnt 0x0
	global_load_b64 v[12:13], v[10:11], off offset:16
	s_wait_loadcnt 0x0
	v_cmp_eq_u64_e32 vcc_lo, 0, v[12:13]
	s_cbranch_vccnz .LBB3_1489
; %bb.1488:                             ;   in Loop: Header=BB3_1424 Depth=1
	global_load_b32 v6, v[10:11], off offset:24
	s_wait_loadcnt 0x0
	v_and_b32_e32 v10, 0xffffff, v6
	global_wb scope:SCOPE_SYS
	s_wait_storecnt 0x0
	global_store_b64 v[12:13], v[6:7], off scope:SCOPE_SYS
	v_readfirstlane_b32 m0, v10
	s_sendmsg sendmsg(MSG_INTERRUPT)
.LBB3_1489:                             ;   in Loop: Header=BB3_1424 Depth=1
	s_wait_alu 0xfffe
	s_or_b32 exec_lo, exec_lo, s11
	v_add_co_u32 v10, vcc_lo, v28, v39
	s_wait_alu 0xfffd
	v_add_co_ci_u32_e32 v11, vcc_lo, 0, v29, vcc_lo
	s_branch .LBB3_1493
.LBB3_1490:                             ;   in Loop: Header=BB3_1493 Depth=2
	s_wait_alu 0xfffe
	s_or_b32 exec_lo, exec_lo, s11
	s_delay_alu instid0(VALU_DEP_1) | instskip(NEXT) | instid1(VALU_DEP_1)
	v_readfirstlane_b32 s11, v6
	s_cmp_eq_u32 s11, 0
	s_cbranch_scc1 .LBB3_1492
; %bb.1491:                             ;   in Loop: Header=BB3_1493 Depth=2
	s_sleep 1
	s_cbranch_execnz .LBB3_1493
	s_branch .LBB3_1495
.LBB3_1492:                             ;   in Loop: Header=BB3_1424 Depth=1
	s_branch .LBB3_1495
.LBB3_1493:                             ;   Parent Loop BB3_1424 Depth=1
                                        ; =>  This Inner Loop Header: Depth=2
	v_mov_b32_e32 v6, 1
	s_and_saveexec_b32 s11, s0
	s_cbranch_execz .LBB3_1490
; %bb.1494:                             ;   in Loop: Header=BB3_1493 Depth=2
	global_load_b32 v6, v[2:3], off offset:20 scope:SCOPE_SYS
	s_wait_loadcnt 0x0
	global_inv scope:SCOPE_SYS
	v_and_b32_e32 v6, 1, v6
	s_branch .LBB3_1490
.LBB3_1495:                             ;   in Loop: Header=BB3_1424 Depth=1
	global_load_b128 v[10:13], v[10:11], off
	s_and_saveexec_b32 s11, s0
	s_cbranch_execz .LBB3_1423
; %bb.1496:                             ;   in Loop: Header=BB3_1424 Depth=1
	s_clause 0x2
	global_load_b64 v[2:3], v7, s[22:23] offset:40
	global_load_b64 v[16:17], v7, s[22:23] offset:24 scope:SCOPE_SYS
	global_load_b64 v[14:15], v7, s[22:23]
	s_wait_loadcnt 0x2
	v_add_co_u32 v6, vcc_lo, v2, 1
	s_wait_alu 0xfffd
	v_add_co_ci_u32_e32 v18, vcc_lo, 0, v3, vcc_lo
	s_delay_alu instid0(VALU_DEP_2) | instskip(SKIP_1) | instid1(VALU_DEP_2)
	v_add_co_u32 v12, vcc_lo, v6, s10
	s_wait_alu 0xfffd
	v_add_co_ci_u32_e32 v13, vcc_lo, s1, v18, vcc_lo
	s_delay_alu instid0(VALU_DEP_1) | instskip(SKIP_3) | instid1(VALU_DEP_1)
	v_cmp_eq_u64_e32 vcc_lo, 0, v[12:13]
	s_wait_alu 0xfffd
	v_cndmask_b32_e32 v13, v13, v18, vcc_lo
	v_cndmask_b32_e32 v12, v12, v6, vcc_lo
	v_and_b32_e32 v2, v12, v2
	s_delay_alu instid0(VALU_DEP_1) | instskip(SKIP_3) | instid1(VALU_DEP_1)
	v_mul_lo_u32 v6, 0, v2
	v_mul_hi_u32 v18, 24, v2
	v_mul_lo_u32 v2, 24, v2
	s_wait_loadcnt 0x0
	v_add_co_u32 v2, vcc_lo, v14, v2
	v_dual_mov_b32 v14, v16 :: v_dual_and_b32 v3, v13, v3
	s_delay_alu instid0(VALU_DEP_1) | instskip(NEXT) | instid1(VALU_DEP_1)
	v_mul_lo_u32 v3, 24, v3
	v_add_nc_u32_e32 v3, v3, v6
	s_delay_alu instid0(VALU_DEP_1) | instskip(SKIP_1) | instid1(VALU_DEP_1)
	v_add_nc_u32_e32 v3, v3, v18
	s_wait_alu 0xfffd
	v_add_co_ci_u32_e32 v3, vcc_lo, v15, v3, vcc_lo
	v_mov_b32_e32 v15, v17
	global_store_b64 v[2:3], v[16:17], off
	global_wb scope:SCOPE_SYS
	s_wait_storecnt 0x0
	global_atomic_cmpswap_b64 v[14:15], v7, v[12:15], s[22:23] offset:24 th:TH_ATOMIC_RETURN scope:SCOPE_SYS
	s_wait_loadcnt 0x0
	v_cmp_ne_u64_e32 vcc_lo, v[14:15], v[16:17]
	s_and_b32 exec_lo, exec_lo, vcc_lo
	s_cbranch_execz .LBB3_1423
; %bb.1497:                             ;   in Loop: Header=BB3_1424 Depth=1
	s_mov_b32 s0, 0
.LBB3_1498:                             ;   Parent Loop BB3_1424 Depth=1
                                        ; =>  This Inner Loop Header: Depth=2
	s_sleep 1
	global_store_b64 v[2:3], v[14:15], off
	global_wb scope:SCOPE_SYS
	s_wait_storecnt 0x0
	global_atomic_cmpswap_b64 v[16:17], v7, v[12:15], s[22:23] offset:24 th:TH_ATOMIC_RETURN scope:SCOPE_SYS
	s_wait_loadcnt 0x0
	v_cmp_eq_u64_e32 vcc_lo, v[16:17], v[14:15]
	v_dual_mov_b32 v14, v16 :: v_dual_mov_b32 v15, v17
	s_wait_alu 0xfffe
	s_or_b32 s0, vcc_lo, s0
	s_wait_alu 0xfffe
	s_and_not1_b32 exec_lo, exec_lo, s0
	s_cbranch_execnz .LBB3_1498
	s_branch .LBB3_1423
.LBB3_1499:
	s_mov_b32 s0, 0
	s_branch .LBB3_1501
.LBB3_1500:
	s_mov_b32 s0, -1
.LBB3_1501:
	s_mov_b32 s27, s12
	s_mov_b32 s28, s13
	;; [unrolled: 1-line block ×3, first 2 shown]
	s_wait_alu 0xfffe
	s_and_b32 vcc_lo, exec_lo, s0
	s_wait_alu 0xfffe
	s_cbranch_vccz .LBB3_1529
; %bb.1502:
	v_readfirstlane_b32 s0, v50
	s_wait_loadcnt 0x0
	v_mov_b32_e32 v10, 0
	v_mov_b32_e32 v11, 0
	s_wait_alu 0xf1ff
	v_cmp_eq_u32_e64 s0, s0, v50
	s_delay_alu instid0(VALU_DEP_1)
	s_and_saveexec_b32 s1, s0
	s_cbranch_execz .LBB3_1508
; %bb.1503:
	v_mov_b32_e32 v2, 0
	s_mov_b32 s2, exec_lo
	global_load_b64 v[8:9], v2, s[22:23] offset:24 scope:SCOPE_SYS
	s_wait_loadcnt 0x0
	global_inv scope:SCOPE_SYS
	s_clause 0x1
	global_load_b64 v[6:7], v2, s[22:23] offset:40
	global_load_b64 v[10:11], v2, s[22:23]
	s_wait_loadcnt 0x1
	v_and_b32_e32 v3, v7, v9
	v_and_b32_e32 v6, v6, v8
	s_delay_alu instid0(VALU_DEP_2) | instskip(NEXT) | instid1(VALU_DEP_2)
	v_mul_lo_u32 v3, 24, v3
	v_mul_lo_u32 v7, 0, v6
	v_mul_hi_u32 v12, 24, v6
	v_mul_lo_u32 v6, 24, v6
	s_delay_alu instid0(VALU_DEP_3) | instskip(SKIP_1) | instid1(VALU_DEP_2)
	v_add_nc_u32_e32 v3, v3, v7
	s_wait_loadcnt 0x0
	v_add_co_u32 v6, vcc_lo, v10, v6
	s_delay_alu instid0(VALU_DEP_2) | instskip(SKIP_1) | instid1(VALU_DEP_1)
	v_add_nc_u32_e32 v3, v3, v12
	s_wait_alu 0xfffd
	v_add_co_ci_u32_e32 v7, vcc_lo, v11, v3, vcc_lo
	global_load_b64 v[6:7], v[6:7], off scope:SCOPE_SYS
	s_wait_loadcnt 0x0
	global_atomic_cmpswap_b64 v[10:11], v2, v[6:9], s[22:23] offset:24 th:TH_ATOMIC_RETURN scope:SCOPE_SYS
	s_wait_loadcnt 0x0
	global_inv scope:SCOPE_SYS
	v_cmpx_ne_u64_e64 v[10:11], v[8:9]
	s_cbranch_execz .LBB3_1507
; %bb.1504:
	s_mov_b32 s3, 0
.LBB3_1505:                             ; =>This Inner Loop Header: Depth=1
	s_sleep 1
	s_clause 0x1
	global_load_b64 v[6:7], v2, s[22:23] offset:40
	global_load_b64 v[12:13], v2, s[22:23]
	v_dual_mov_b32 v8, v10 :: v_dual_mov_b32 v9, v11
	s_wait_loadcnt 0x1
	s_delay_alu instid0(VALU_DEP_1) | instskip(NEXT) | instid1(VALU_DEP_2)
	v_and_b32_e32 v3, v6, v8
	v_and_b32_e32 v6, v7, v9
	s_wait_loadcnt 0x0
	s_delay_alu instid0(VALU_DEP_2) | instskip(NEXT) | instid1(VALU_DEP_1)
	v_mad_co_u64_u32 v[10:11], null, v3, 24, v[12:13]
	v_mov_b32_e32 v3, v11
	s_delay_alu instid0(VALU_DEP_1) | instskip(NEXT) | instid1(VALU_DEP_1)
	v_mad_co_u64_u32 v[6:7], null, v6, 24, v[3:4]
	v_mov_b32_e32 v11, v6
	global_load_b64 v[6:7], v[10:11], off scope:SCOPE_SYS
	s_wait_loadcnt 0x0
	global_atomic_cmpswap_b64 v[10:11], v2, v[6:9], s[22:23] offset:24 th:TH_ATOMIC_RETURN scope:SCOPE_SYS
	s_wait_loadcnt 0x0
	global_inv scope:SCOPE_SYS
	v_cmp_eq_u64_e32 vcc_lo, v[10:11], v[8:9]
	s_wait_alu 0xfffe
	s_or_b32 s3, vcc_lo, s3
	s_wait_alu 0xfffe
	s_and_not1_b32 exec_lo, exec_lo, s3
	s_cbranch_execnz .LBB3_1505
; %bb.1506:
	s_or_b32 exec_lo, exec_lo, s3
.LBB3_1507:
	s_wait_alu 0xfffe
	s_or_b32 exec_lo, exec_lo, s2
.LBB3_1508:
	s_wait_alu 0xfffe
	s_or_b32 exec_lo, exec_lo, s1
	v_readfirstlane_b32 s1, v11
	v_mov_b32_e32 v2, 0
	v_readfirstlane_b32 s2, v10
	s_mov_b32 s3, exec_lo
	s_clause 0x1
	global_load_b64 v[12:13], v2, s[22:23] offset:40
	global_load_b128 v[6:9], v2, s[22:23]
	s_wait_loadcnt 0x1
	s_wait_alu 0xf1ff
	v_and_b32_e32 v13, s1, v13
	v_and_b32_e32 v12, s2, v12
	s_delay_alu instid0(VALU_DEP_2) | instskip(NEXT) | instid1(VALU_DEP_2)
	v_mul_lo_u32 v3, 24, v13
	v_mul_lo_u32 v10, 0, v12
	v_mul_hi_u32 v11, 24, v12
	v_mul_lo_u32 v14, 24, v12
	s_delay_alu instid0(VALU_DEP_3) | instskip(SKIP_1) | instid1(VALU_DEP_2)
	v_add_nc_u32_e32 v3, v3, v10
	s_wait_loadcnt 0x0
	v_add_co_u32 v10, vcc_lo, v6, v14
	s_delay_alu instid0(VALU_DEP_2) | instskip(SKIP_1) | instid1(VALU_DEP_1)
	v_add_nc_u32_e32 v3, v3, v11
	s_wait_alu 0xfffd
	v_add_co_ci_u32_e32 v11, vcc_lo, v7, v3, vcc_lo
	s_and_saveexec_b32 s4, s0
	s_cbranch_execz .LBB3_1510
; %bb.1509:
	s_wait_alu 0xfffe
	v_dual_mov_b32 v14, s3 :: v_dual_mov_b32 v15, v2
	v_dual_mov_b32 v16, 2 :: v_dual_mov_b32 v17, 1
	global_store_b128 v[10:11], v[14:17], off offset:8
.LBB3_1510:
	s_wait_alu 0xfffe
	s_or_b32 exec_lo, exec_lo, s4
	v_lshlrev_b64_e32 v[12:13], 12, v[12:13]
	s_mov_b32 s4, 0
	v_and_or_b32 v0, 0xffffff1d, v0, 34
	s_wait_alu 0xfffe
	s_mov_b32 s7, s4
	s_mov_b32 s5, s4
	;; [unrolled: 1-line block ×3, first 2 shown]
	v_add_co_u32 v8, vcc_lo, v8, v12
	s_wait_alu 0xfffd
	v_add_co_ci_u32_e32 v9, vcc_lo, v9, v13, vcc_lo
	v_mov_b32_e32 v3, v2
	s_delay_alu instid0(VALU_DEP_3)
	v_readfirstlane_b32 s10, v8
	s_wait_alu 0xfffe
	v_dual_mov_b32 v15, s7 :: v_dual_mov_b32 v12, s4
	v_readfirstlane_b32 s11, v9
	v_dual_mov_b32 v14, s6 :: v_dual_mov_b32 v13, s5
	s_clause 0x3
	global_store_b128 v39, v[0:3], s[10:11]
	global_store_b128 v39, v[12:15], s[10:11] offset:16
	global_store_b128 v39, v[12:15], s[10:11] offset:32
	;; [unrolled: 1-line block ×3, first 2 shown]
	s_and_saveexec_b32 s3, s0
	s_cbranch_execz .LBB3_1518
; %bb.1511:
	v_mov_b32_e32 v8, 0
	s_mov_b32 s4, exec_lo
	s_clause 0x1
	global_load_b64 v[14:15], v8, s[22:23] offset:32 scope:SCOPE_SYS
	global_load_b64 v[0:1], v8, s[22:23] offset:40
	v_dual_mov_b32 v13, s1 :: v_dual_mov_b32 v12, s2
	s_wait_loadcnt 0x0
	v_and_b32_e32 v1, s1, v1
	v_and_b32_e32 v0, s2, v0
	s_delay_alu instid0(VALU_DEP_2) | instskip(NEXT) | instid1(VALU_DEP_2)
	v_mul_lo_u32 v1, 24, v1
	v_mul_lo_u32 v2, 0, v0
	v_mul_hi_u32 v3, 24, v0
	v_mul_lo_u32 v0, 24, v0
	s_delay_alu instid0(VALU_DEP_3) | instskip(NEXT) | instid1(VALU_DEP_2)
	v_add_nc_u32_e32 v1, v1, v2
	v_add_co_u32 v6, vcc_lo, v6, v0
	s_delay_alu instid0(VALU_DEP_2) | instskip(SKIP_1) | instid1(VALU_DEP_1)
	v_add_nc_u32_e32 v1, v1, v3
	s_wait_alu 0xfffd
	v_add_co_ci_u32_e32 v7, vcc_lo, v7, v1, vcc_lo
	global_store_b64 v[6:7], v[14:15], off
	global_wb scope:SCOPE_SYS
	s_wait_storecnt 0x0
	global_atomic_cmpswap_b64 v[2:3], v8, v[12:15], s[22:23] offset:32 th:TH_ATOMIC_RETURN scope:SCOPE_SYS
	s_wait_loadcnt 0x0
	v_cmpx_ne_u64_e64 v[2:3], v[14:15]
	s_cbranch_execz .LBB3_1514
; %bb.1512:
	s_mov_b32 s5, 0
.LBB3_1513:                             ; =>This Inner Loop Header: Depth=1
	v_dual_mov_b32 v0, s2 :: v_dual_mov_b32 v1, s1
	s_sleep 1
	global_store_b64 v[6:7], v[2:3], off
	global_wb scope:SCOPE_SYS
	s_wait_storecnt 0x0
	global_atomic_cmpswap_b64 v[0:1], v8, v[0:3], s[22:23] offset:32 th:TH_ATOMIC_RETURN scope:SCOPE_SYS
	s_wait_loadcnt 0x0
	v_cmp_eq_u64_e32 vcc_lo, v[0:1], v[2:3]
	v_dual_mov_b32 v3, v1 :: v_dual_mov_b32 v2, v0
	s_wait_alu 0xfffe
	s_or_b32 s5, vcc_lo, s5
	s_wait_alu 0xfffe
	s_and_not1_b32 exec_lo, exec_lo, s5
	s_cbranch_execnz .LBB3_1513
.LBB3_1514:
	s_wait_alu 0xfffe
	s_or_b32 exec_lo, exec_lo, s4
	v_mov_b32_e32 v3, 0
	s_mov_b32 s5, exec_lo
	s_mov_b32 s4, exec_lo
	s_wait_alu 0xfffe
	v_mbcnt_lo_u32_b32 v2, s5, 0
	global_load_b64 v[0:1], v3, s[22:23] offset:16
	v_cmpx_eq_u32_e32 0, v2
	s_cbranch_execz .LBB3_1516
; %bb.1515:
	s_bcnt1_i32_b32 s5, s5
	s_wait_alu 0xfffe
	v_mov_b32_e32 v2, s5
	global_wb scope:SCOPE_SYS
	s_wait_loadcnt 0x0
	global_atomic_add_u64 v[0:1], v[2:3], off offset:8 scope:SCOPE_SYS
.LBB3_1516:
	s_or_b32 exec_lo, exec_lo, s4
	s_wait_loadcnt 0x0
	global_load_b64 v[2:3], v[0:1], off offset:16
	s_wait_loadcnt 0x0
	v_cmp_eq_u64_e32 vcc_lo, 0, v[2:3]
	s_cbranch_vccnz .LBB3_1518
; %bb.1517:
	global_load_b32 v0, v[0:1], off offset:24
	s_wait_loadcnt 0x0
	v_dual_mov_b32 v1, 0 :: v_dual_and_b32 v6, 0xffffff, v0
	global_wb scope:SCOPE_SYS
	s_wait_storecnt 0x0
	global_store_b64 v[2:3], v[0:1], off scope:SCOPE_SYS
	v_readfirstlane_b32 m0, v6
	s_sendmsg sendmsg(MSG_INTERRUPT)
.LBB3_1518:
	s_wait_alu 0xfffe
	s_or_b32 exec_lo, exec_lo, s3
	s_branch .LBB3_1522
.LBB3_1519:                             ;   in Loop: Header=BB3_1522 Depth=1
	s_wait_alu 0xfffe
	s_or_b32 exec_lo, exec_lo, s3
	s_delay_alu instid0(VALU_DEP_1) | instskip(NEXT) | instid1(VALU_DEP_1)
	v_readfirstlane_b32 s3, v0
	s_cmp_eq_u32 s3, 0
	s_cbranch_scc1 .LBB3_1521
; %bb.1520:                             ;   in Loop: Header=BB3_1522 Depth=1
	s_sleep 1
	s_cbranch_execnz .LBB3_1522
	s_branch .LBB3_1524
.LBB3_1521:
	s_branch .LBB3_1524
.LBB3_1522:                             ; =>This Inner Loop Header: Depth=1
	v_mov_b32_e32 v0, 1
	s_and_saveexec_b32 s3, s0
	s_cbranch_execz .LBB3_1519
; %bb.1523:                             ;   in Loop: Header=BB3_1522 Depth=1
	global_load_b32 v0, v[10:11], off offset:20 scope:SCOPE_SYS
	s_wait_loadcnt 0x0
	global_inv scope:SCOPE_SYS
	v_and_b32_e32 v0, 1, v0
	s_branch .LBB3_1519
.LBB3_1524:
	s_and_saveexec_b32 s3, s0
	s_cbranch_execz .LBB3_1528
; %bb.1525:
	v_mov_b32_e32 v8, 0
	s_clause 0x2
	global_load_b64 v[2:3], v8, s[22:23] offset:40
	global_load_b64 v[9:10], v8, s[22:23] offset:24 scope:SCOPE_SYS
	global_load_b64 v[6:7], v8, s[22:23]
	s_wait_loadcnt 0x2
	v_add_co_u32 v11, vcc_lo, v2, 1
	s_wait_alu 0xfffd
	v_add_co_ci_u32_e32 v12, vcc_lo, 0, v3, vcc_lo
	s_delay_alu instid0(VALU_DEP_2) | instskip(SKIP_1) | instid1(VALU_DEP_2)
	v_add_co_u32 v0, vcc_lo, v11, s2
	s_wait_alu 0xfffd
	v_add_co_ci_u32_e32 v1, vcc_lo, s1, v12, vcc_lo
	s_delay_alu instid0(VALU_DEP_1) | instskip(SKIP_2) | instid1(VALU_DEP_1)
	v_cmp_eq_u64_e32 vcc_lo, 0, v[0:1]
	s_wait_alu 0xfffd
	v_dual_cndmask_b32 v1, v1, v12 :: v_dual_cndmask_b32 v0, v0, v11
	v_and_b32_e32 v3, v1, v3
	s_delay_alu instid0(VALU_DEP_2) | instskip(NEXT) | instid1(VALU_DEP_2)
	v_and_b32_e32 v2, v0, v2
	v_mul_lo_u32 v3, 24, v3
	s_delay_alu instid0(VALU_DEP_2) | instskip(SKIP_2) | instid1(VALU_DEP_3)
	v_mul_lo_u32 v11, 0, v2
	v_mul_hi_u32 v12, 24, v2
	v_mul_lo_u32 v2, 24, v2
	v_add_nc_u32_e32 v3, v3, v11
	s_wait_loadcnt 0x0
	s_delay_alu instid0(VALU_DEP_2) | instskip(NEXT) | instid1(VALU_DEP_2)
	v_add_co_u32 v6, vcc_lo, v6, v2
	v_dual_mov_b32 v2, v9 :: v_dual_add_nc_u32 v3, v3, v12
	s_wait_alu 0xfffd
	s_delay_alu instid0(VALU_DEP_1)
	v_add_co_ci_u32_e32 v7, vcc_lo, v7, v3, vcc_lo
	v_mov_b32_e32 v3, v10
	global_store_b64 v[6:7], v[9:10], off
	global_wb scope:SCOPE_SYS
	s_wait_storecnt 0x0
	global_atomic_cmpswap_b64 v[2:3], v8, v[0:3], s[22:23] offset:24 th:TH_ATOMIC_RETURN scope:SCOPE_SYS
	s_wait_loadcnt 0x0
	v_cmp_ne_u64_e32 vcc_lo, v[2:3], v[9:10]
	s_and_b32 exec_lo, exec_lo, vcc_lo
	s_cbranch_execz .LBB3_1528
; %bb.1526:
	s_mov_b32 s0, 0
.LBB3_1527:                             ; =>This Inner Loop Header: Depth=1
	s_sleep 1
	global_store_b64 v[6:7], v[2:3], off
	global_wb scope:SCOPE_SYS
	s_wait_storecnt 0x0
	global_atomic_cmpswap_b64 v[9:10], v8, v[0:3], s[22:23] offset:24 th:TH_ATOMIC_RETURN scope:SCOPE_SYS
	s_wait_loadcnt 0x0
	v_cmp_eq_u64_e32 vcc_lo, v[9:10], v[2:3]
	v_dual_mov_b32 v2, v9 :: v_dual_mov_b32 v3, v10
	s_wait_alu 0xfffe
	s_or_b32 s0, vcc_lo, s0
	s_wait_alu 0xfffe
	s_and_not1_b32 exec_lo, exec_lo, s0
	s_cbranch_execnz .LBB3_1527
.LBB3_1528:
	s_wait_alu 0xfffe
	s_or_b32 exec_lo, exec_lo, s3
.LBB3_1529:
	s_wait_loadcnt 0x0
	v_dual_mov_b32 v0, v4 :: v_dual_mov_b32 v1, v5
	s_getpc_b64 s[34:35]
	s_wait_alu 0xfffe
	s_sext_i32_i16 s35, s35
	s_add_co_u32 s34, s34, _ZNK8migraphx13basic_printerIZNS_4coutEvEUlT_E_ElsEPKc@rel32@lo+12
	s_wait_alu 0xfffe
	s_add_co_ci_u32 s35, s35, _ZNK8migraphx13basic_printerIZNS_4coutEvEUlT_E_ElsEPKc@rel32@hi+24
	s_mov_b64 s[20:21], s[8:9]
	s_wait_alu 0xfffc
	s_swappc_b64 s[30:31], s[34:35]
	s_getpc_b64 s[0:1]
	s_wait_alu 0xfffe
	s_sext_i32_i16 s1, s1
	s_add_co_u32 s0, s0, .str.5@rel32@lo+12
	s_wait_alu 0xfffe
	s_add_co_ci_u32 s1, s1, .str.5@rel32@hi+24
	s_wait_alu 0xfffe
	v_dual_mov_b32 v0, s0 :: v_dual_mov_b32 v1, s1
	s_mov_b64 s[8:9], s[20:21]
	s_wait_alu 0xfffe
	s_swappc_b64 s[30:31], s[34:35]
	flat_load_u8 v0, v[48:49]
	s_mov_b64 s[8:9], s[20:21]
	s_getpc_b64 s[0:1]
	s_wait_alu 0xfffe
	s_sext_i32_i16 s1, s1
	s_add_co_u32 s0, s0, _ZN8migraphx4testlsIKNS_13basic_printerIZNS_4coutEvEUlT_E_EEEERS3_S7_RKNS0_14lhs_expressionIbNS0_3nopEEE@rel32@lo+12
	s_wait_alu 0xfffe
	s_add_co_ci_u32 s1, s1, _ZN8migraphx4testlsIKNS_13basic_printerIZNS_4coutEvEUlT_E_EEEERS3_S7_RKNS0_14lhs_expressionIbNS0_3nopEEE@rel32@hi+24
	s_wait_alu 0xfffe
	s_swappc_b64 s[30:31], s[0:1]
	s_getpc_b64 s[0:1]
	s_wait_alu 0xfffe
	s_sext_i32_i16 s1, s1
	s_add_co_u32 s0, s0, .str.6@rel32@lo+12
	s_wait_alu 0xfffe
	s_add_co_ci_u32 s1, s1, .str.6@rel32@hi+24
	s_wait_alu 0xfffe
	v_dual_mov_b32 v0, s0 :: v_dual_mov_b32 v1, s1
	s_mov_b64 s[8:9], s[20:21]
	s_mov_b64 s[18:19], s[20:21]
	s_wait_alu 0xfffe
	s_swappc_b64 s[30:31], s[34:35]
	v_readfirstlane_b32 s0, v50
	v_mov_b32_e32 v6, 0
	v_mov_b32_e32 v7, 0
	s_wait_alu 0xf1ff
	s_delay_alu instid0(VALU_DEP_3) | instskip(NEXT) | instid1(VALU_DEP_1)
	v_cmp_eq_u32_e64 s0, s0, v50
	s_and_saveexec_b32 s1, s0
	s_mov_b32 s14, s29
	s_mov_b32 s13, s28
	;; [unrolled: 1-line block ×3, first 2 shown]
	s_cbranch_execz .LBB3_1535
; %bb.1530:
	v_mov_b32_e32 v0, 0
	s_mov_b32 s2, exec_lo
	global_load_b64 v[3:4], v0, s[22:23] offset:24 scope:SCOPE_SYS
	s_wait_loadcnt 0x0
	global_inv scope:SCOPE_SYS
	s_clause 0x1
	global_load_b64 v[1:2], v0, s[22:23] offset:40
	global_load_b64 v[5:6], v0, s[22:23]
	s_wait_loadcnt 0x1
	v_and_b32_e32 v1, v1, v3
	v_and_b32_e32 v2, v2, v4
	s_delay_alu instid0(VALU_DEP_2) | instskip(NEXT) | instid1(VALU_DEP_2)
	v_mul_lo_u32 v7, 0, v1
	v_mul_lo_u32 v2, 24, v2
	v_mul_hi_u32 v8, 24, v1
	v_mul_lo_u32 v1, 24, v1
	s_delay_alu instid0(VALU_DEP_3) | instskip(SKIP_1) | instid1(VALU_DEP_2)
	v_add_nc_u32_e32 v2, v2, v7
	s_wait_loadcnt 0x0
	v_add_co_u32 v1, vcc_lo, v5, v1
	s_delay_alu instid0(VALU_DEP_2) | instskip(SKIP_1) | instid1(VALU_DEP_1)
	v_add_nc_u32_e32 v2, v2, v8
	s_wait_alu 0xfffd
	v_add_co_ci_u32_e32 v2, vcc_lo, v6, v2, vcc_lo
	global_load_b64 v[1:2], v[1:2], off scope:SCOPE_SYS
	s_wait_loadcnt 0x0
	global_atomic_cmpswap_b64 v[6:7], v0, v[1:4], s[22:23] offset:24 th:TH_ATOMIC_RETURN scope:SCOPE_SYS
	s_wait_loadcnt 0x0
	global_inv scope:SCOPE_SYS
	v_cmpx_ne_u64_e64 v[6:7], v[3:4]
	s_cbranch_execz .LBB3_1534
; %bb.1531:
	s_mov_b32 s3, 0
.LBB3_1532:                             ; =>This Inner Loop Header: Depth=1
	s_sleep 1
	s_clause 0x1
	global_load_b64 v[1:2], v0, s[22:23] offset:40
	global_load_b64 v[8:9], v0, s[22:23]
	v_dual_mov_b32 v3, v6 :: v_dual_mov_b32 v4, v7
	s_wait_loadcnt 0x1
	s_delay_alu instid0(VALU_DEP_1) | instskip(NEXT) | instid1(VALU_DEP_2)
	v_and_b32_e32 v1, v1, v3
	v_and_b32_e32 v2, v2, v4
	s_wait_loadcnt 0x0
	s_delay_alu instid0(VALU_DEP_2) | instskip(NEXT) | instid1(VALU_DEP_1)
	v_mad_co_u64_u32 v[5:6], null, v1, 24, v[8:9]
	v_mov_b32_e32 v1, v6
	s_delay_alu instid0(VALU_DEP_1) | instskip(NEXT) | instid1(VALU_DEP_1)
	v_mad_co_u64_u32 v[1:2], null, v2, 24, v[1:2]
	v_mov_b32_e32 v6, v1
	global_load_b64 v[1:2], v[5:6], off scope:SCOPE_SYS
	s_wait_loadcnt 0x0
	global_atomic_cmpswap_b64 v[6:7], v0, v[1:4], s[22:23] offset:24 th:TH_ATOMIC_RETURN scope:SCOPE_SYS
	s_wait_loadcnt 0x0
	global_inv scope:SCOPE_SYS
	v_cmp_eq_u64_e32 vcc_lo, v[6:7], v[3:4]
	s_wait_alu 0xfffe
	s_or_b32 s3, vcc_lo, s3
	s_wait_alu 0xfffe
	s_and_not1_b32 exec_lo, exec_lo, s3
	s_cbranch_execnz .LBB3_1532
; %bb.1533:
	s_or_b32 exec_lo, exec_lo, s3
.LBB3_1534:
	s_wait_alu 0xfffe
	s_or_b32 exec_lo, exec_lo, s2
.LBB3_1535:
	s_wait_alu 0xfffe
	s_or_b32 exec_lo, exec_lo, s1
	v_readfirstlane_b32 s2, v6
	v_mov_b32_e32 v5, 0
	v_readfirstlane_b32 s1, v7
	s_mov_b32 s3, exec_lo
	s_clause 0x1
	global_load_b64 v[8:9], v5, s[22:23] offset:40
	global_load_b128 v[0:3], v5, s[22:23]
	s_wait_loadcnt 0x1
	s_wait_alu 0xf1ff
	v_and_b32_e32 v10, s2, v8
	v_and_b32_e32 v11, s1, v9
	s_delay_alu instid0(VALU_DEP_2) | instskip(NEXT) | instid1(VALU_DEP_2)
	v_mul_lo_u32 v6, 0, v10
	v_mul_lo_u32 v4, 24, v11
	v_mul_hi_u32 v7, 24, v10
	v_mul_lo_u32 v8, 24, v10
	s_delay_alu instid0(VALU_DEP_3) | instskip(SKIP_1) | instid1(VALU_DEP_2)
	v_add_nc_u32_e32 v4, v4, v6
	s_wait_loadcnt 0x0
	v_add_co_u32 v8, vcc_lo, v0, v8
	s_delay_alu instid0(VALU_DEP_2) | instskip(SKIP_1) | instid1(VALU_DEP_1)
	v_add_nc_u32_e32 v4, v4, v7
	s_wait_alu 0xfffd
	v_add_co_ci_u32_e32 v9, vcc_lo, v1, v4, vcc_lo
	s_and_saveexec_b32 s4, s0
	s_cbranch_execz .LBB3_1537
; %bb.1536:
	s_wait_alu 0xfffe
	v_dual_mov_b32 v4, s3 :: v_dual_mov_b32 v7, 1
	v_mov_b32_e32 v6, 2
	global_store_b128 v[8:9], v[4:7], off offset:8
.LBB3_1537:
	s_wait_alu 0xfffe
	s_or_b32 exec_lo, exec_lo, s4
	v_lshlrev_b64_e32 v[10:11], 12, v[10:11]
	s_mov_b32 s4, 0
	v_dual_mov_b32 v4, 33 :: v_dual_mov_b32 v7, v5
	s_wait_alu 0xfffe
	s_mov_b32 s7, s4
	s_mov_b32 s5, s4
	v_add_co_u32 v2, vcc_lo, v2, v10
	s_wait_alu 0xfffd
	v_add_co_ci_u32_e32 v3, vcc_lo, v3, v11, vcc_lo
	s_mov_b32 s6, s4
	s_delay_alu instid0(VALU_DEP_2)
	v_add_co_u32 v10, vcc_lo, v2, v39
	s_wait_alu 0xfffe
	v_dual_mov_b32 v6, v5 :: v_dual_mov_b32 v15, s7
	v_readfirstlane_b32 s8, v2
	v_readfirstlane_b32 s9, v3
	s_wait_alu 0xfffd
	v_add_co_ci_u32_e32 v11, vcc_lo, 0, v3, vcc_lo
	v_dual_mov_b32 v14, s6 :: v_dual_mov_b32 v13, s5
	v_mov_b32_e32 v12, s4
	s_clause 0x3
	global_store_b128 v39, v[4:7], s[8:9]
	global_store_b128 v39, v[12:15], s[8:9] offset:16
	global_store_b128 v39, v[12:15], s[8:9] offset:32
	;; [unrolled: 1-line block ×3, first 2 shown]
	s_and_saveexec_b32 s3, s0
	s_mov_b64 s[8:9], s[18:19]
	s_cbranch_execz .LBB3_1545
; %bb.1538:
	v_mov_b32_e32 v6, 0
	s_mov_b32 s4, exec_lo
	s_clause 0x1
	global_load_b64 v[14:15], v6, s[22:23] offset:32 scope:SCOPE_SYS
	global_load_b64 v[2:3], v6, s[22:23] offset:40
	v_dual_mov_b32 v13, s1 :: v_dual_mov_b32 v12, s2
	s_wait_loadcnt 0x0
	v_and_b32_e32 v3, s1, v3
	v_and_b32_e32 v2, s2, v2
	s_delay_alu instid0(VALU_DEP_2) | instskip(NEXT) | instid1(VALU_DEP_2)
	v_mul_lo_u32 v3, 24, v3
	v_mul_lo_u32 v4, 0, v2
	v_mul_hi_u32 v5, 24, v2
	v_mul_lo_u32 v2, 24, v2
	s_delay_alu instid0(VALU_DEP_3) | instskip(NEXT) | instid1(VALU_DEP_2)
	v_add_nc_u32_e32 v3, v3, v4
	v_add_co_u32 v4, vcc_lo, v0, v2
	s_delay_alu instid0(VALU_DEP_2) | instskip(SKIP_1) | instid1(VALU_DEP_1)
	v_add_nc_u32_e32 v3, v3, v5
	s_wait_alu 0xfffd
	v_add_co_ci_u32_e32 v5, vcc_lo, v1, v3, vcc_lo
	global_store_b64 v[4:5], v[14:15], off
	global_wb scope:SCOPE_SYS
	s_wait_storecnt 0x0
	global_atomic_cmpswap_b64 v[2:3], v6, v[12:15], s[22:23] offset:32 th:TH_ATOMIC_RETURN scope:SCOPE_SYS
	s_wait_loadcnt 0x0
	v_cmpx_ne_u64_e64 v[2:3], v[14:15]
	s_cbranch_execz .LBB3_1541
; %bb.1539:
	s_mov_b32 s5, 0
.LBB3_1540:                             ; =>This Inner Loop Header: Depth=1
	v_dual_mov_b32 v0, s2 :: v_dual_mov_b32 v1, s1
	s_sleep 1
	global_store_b64 v[4:5], v[2:3], off
	global_wb scope:SCOPE_SYS
	s_wait_storecnt 0x0
	global_atomic_cmpswap_b64 v[0:1], v6, v[0:3], s[22:23] offset:32 th:TH_ATOMIC_RETURN scope:SCOPE_SYS
	s_wait_loadcnt 0x0
	v_cmp_eq_u64_e32 vcc_lo, v[0:1], v[2:3]
	v_dual_mov_b32 v3, v1 :: v_dual_mov_b32 v2, v0
	s_wait_alu 0xfffe
	s_or_b32 s5, vcc_lo, s5
	s_wait_alu 0xfffe
	s_and_not1_b32 exec_lo, exec_lo, s5
	s_cbranch_execnz .LBB3_1540
.LBB3_1541:
	s_wait_alu 0xfffe
	s_or_b32 exec_lo, exec_lo, s4
	v_mov_b32_e32 v3, 0
	s_mov_b32 s5, exec_lo
	s_mov_b32 s4, exec_lo
	s_wait_alu 0xfffe
	v_mbcnt_lo_u32_b32 v2, s5, 0
	global_load_b64 v[0:1], v3, s[22:23] offset:16
	v_cmpx_eq_u32_e32 0, v2
	s_cbranch_execz .LBB3_1543
; %bb.1542:
	s_bcnt1_i32_b32 s5, s5
	s_wait_alu 0xfffe
	v_mov_b32_e32 v2, s5
	global_wb scope:SCOPE_SYS
	s_wait_loadcnt 0x0
	global_atomic_add_u64 v[0:1], v[2:3], off offset:8 scope:SCOPE_SYS
.LBB3_1543:
	s_or_b32 exec_lo, exec_lo, s4
	s_wait_loadcnt 0x0
	global_load_b64 v[2:3], v[0:1], off offset:16
	s_wait_loadcnt 0x0
	v_cmp_eq_u64_e32 vcc_lo, 0, v[2:3]
	s_cbranch_vccnz .LBB3_1545
; %bb.1544:
	global_load_b32 v0, v[0:1], off offset:24
	s_wait_loadcnt 0x0
	v_dual_mov_b32 v1, 0 :: v_dual_and_b32 v4, 0xffffff, v0
	global_wb scope:SCOPE_SYS
	s_wait_storecnt 0x0
	global_store_b64 v[2:3], v[0:1], off scope:SCOPE_SYS
	v_readfirstlane_b32 m0, v4
	s_sendmsg sendmsg(MSG_INTERRUPT)
.LBB3_1545:
	s_wait_alu 0xfffe
	s_or_b32 exec_lo, exec_lo, s3
	s_branch .LBB3_1549
.LBB3_1546:                             ;   in Loop: Header=BB3_1549 Depth=1
	s_wait_alu 0xfffe
	s_or_b32 exec_lo, exec_lo, s3
	s_delay_alu instid0(VALU_DEP_1) | instskip(NEXT) | instid1(VALU_DEP_1)
	v_readfirstlane_b32 s3, v0
	s_cmp_eq_u32 s3, 0
	s_cbranch_scc1 .LBB3_1548
; %bb.1547:                             ;   in Loop: Header=BB3_1549 Depth=1
	s_sleep 1
	s_cbranch_execnz .LBB3_1549
	s_branch .LBB3_1551
.LBB3_1548:
	s_branch .LBB3_1551
.LBB3_1549:                             ; =>This Inner Loop Header: Depth=1
	v_mov_b32_e32 v0, 1
	s_and_saveexec_b32 s3, s0
	s_cbranch_execz .LBB3_1546
; %bb.1550:                             ;   in Loop: Header=BB3_1549 Depth=1
	global_load_b32 v0, v[8:9], off offset:20 scope:SCOPE_SYS
	s_wait_loadcnt 0x0
	global_inv scope:SCOPE_SYS
	v_and_b32_e32 v0, 1, v0
	s_branch .LBB3_1546
.LBB3_1551:
	global_load_b64 v[0:1], v[10:11], off
	s_and_saveexec_b32 s3, s0
	s_cbranch_execz .LBB3_1555
; %bb.1552:
	v_mov_b32_e32 v8, 0
	s_clause 0x2
	global_load_b64 v[4:5], v8, s[22:23] offset:40
	global_load_b64 v[9:10], v8, s[22:23] offset:24 scope:SCOPE_SYS
	global_load_b64 v[6:7], v8, s[22:23]
	s_wait_loadcnt 0x2
	v_add_co_u32 v11, vcc_lo, v4, 1
	s_wait_alu 0xfffd
	v_add_co_ci_u32_e32 v12, vcc_lo, 0, v5, vcc_lo
	s_delay_alu instid0(VALU_DEP_2) | instskip(SKIP_1) | instid1(VALU_DEP_2)
	v_add_co_u32 v2, vcc_lo, v11, s2
	s_wait_alu 0xfffd
	v_add_co_ci_u32_e32 v3, vcc_lo, s1, v12, vcc_lo
	s_delay_alu instid0(VALU_DEP_1) | instskip(SKIP_2) | instid1(VALU_DEP_1)
	v_cmp_eq_u64_e32 vcc_lo, 0, v[2:3]
	s_wait_alu 0xfffd
	v_dual_cndmask_b32 v3, v3, v12 :: v_dual_cndmask_b32 v2, v2, v11
	v_and_b32_e32 v5, v3, v5
	s_delay_alu instid0(VALU_DEP_2) | instskip(NEXT) | instid1(VALU_DEP_2)
	v_and_b32_e32 v4, v2, v4
	v_mul_lo_u32 v5, 24, v5
	s_delay_alu instid0(VALU_DEP_2) | instskip(SKIP_2) | instid1(VALU_DEP_3)
	v_mul_lo_u32 v11, 0, v4
	v_mul_hi_u32 v12, 24, v4
	v_mul_lo_u32 v4, 24, v4
	v_add_nc_u32_e32 v5, v5, v11
	s_wait_loadcnt 0x0
	s_delay_alu instid0(VALU_DEP_2) | instskip(SKIP_1) | instid1(VALU_DEP_3)
	v_add_co_u32 v6, vcc_lo, v6, v4
	v_mov_b32_e32 v4, v9
	v_add_nc_u32_e32 v5, v5, v12
	s_wait_alu 0xfffd
	s_delay_alu instid0(VALU_DEP_1)
	v_add_co_ci_u32_e32 v7, vcc_lo, v7, v5, vcc_lo
	v_mov_b32_e32 v5, v10
	global_store_b64 v[6:7], v[9:10], off
	global_wb scope:SCOPE_SYS
	s_wait_storecnt 0x0
	global_atomic_cmpswap_b64 v[4:5], v8, v[2:5], s[22:23] offset:24 th:TH_ATOMIC_RETURN scope:SCOPE_SYS
	s_wait_loadcnt 0x0
	v_cmp_ne_u64_e32 vcc_lo, v[4:5], v[9:10]
	s_and_b32 exec_lo, exec_lo, vcc_lo
	s_cbranch_execz .LBB3_1555
; %bb.1553:
	s_mov_b32 s0, 0
.LBB3_1554:                             ; =>This Inner Loop Header: Depth=1
	s_sleep 1
	global_store_b64 v[6:7], v[4:5], off
	global_wb scope:SCOPE_SYS
	s_wait_storecnt 0x0
	global_atomic_cmpswap_b64 v[9:10], v8, v[2:5], s[22:23] offset:24 th:TH_ATOMIC_RETURN scope:SCOPE_SYS
	s_wait_loadcnt 0x0
	v_cmp_eq_u64_e32 vcc_lo, v[9:10], v[4:5]
	v_dual_mov_b32 v4, v9 :: v_dual_mov_b32 v5, v10
	s_wait_alu 0xfffe
	s_or_b32 s0, vcc_lo, s0
	s_wait_alu 0xfffe
	s_and_not1_b32 exec_lo, exec_lo, s0
	s_cbranch_execnz .LBB3_1554
.LBB3_1555:
	s_wait_alu 0xfffe
	s_or_b32 exec_lo, exec_lo, s3
	s_delay_alu instid0(SALU_CYCLE_1)
	s_and_b32 vcc_lo, exec_lo, s26
	s_wait_alu 0xfffe
	s_cbranch_vccz .LBB3_1634
; %bb.1556:
	s_wait_loadcnt 0x0
	v_dual_mov_b32 v6, 0 :: v_dual_and_b32 v31, 2, v0
	v_dual_mov_b32 v3, v1 :: v_dual_and_b32 v2, -3, v0
	v_dual_mov_b32 v7, 2 :: v_dual_mov_b32 v8, 1
	s_mov_b64 s[4:5], 3
	s_getpc_b64 s[2:3]
	s_wait_alu 0xfffe
	s_sext_i32_i16 s3, s3
	s_add_co_u32 s2, s2, .str.8@rel32@lo+12
	s_wait_alu 0xfffe
	s_add_co_ci_u32 s3, s3, .str.8@rel32@hi+24
	s_branch .LBB3_1558
.LBB3_1557:                             ;   in Loop: Header=BB3_1558 Depth=1
	s_wait_alu 0xfffe
	s_or_b32 exec_lo, exec_lo, s11
	s_sub_nc_u64 s[4:5], s[4:5], s[6:7]
	s_add_nc_u64 s[2:3], s[2:3], s[6:7]
	s_wait_alu 0xfffe
	s_cmp_lg_u64 s[4:5], 0
	s_cbranch_scc0 .LBB3_1633
.LBB3_1558:                             ; =>This Loop Header: Depth=1
                                        ;     Child Loop BB3_1567 Depth 2
                                        ;     Child Loop BB3_1563 Depth 2
	;; [unrolled: 1-line block ×11, first 2 shown]
	v_cmp_lt_u64_e64 s0, s[4:5], 56
	v_cmp_gt_u64_e64 s1, s[4:5], 7
                                        ; implicit-def: $vgpr11_vgpr12
                                        ; implicit-def: $sgpr15
	s_delay_alu instid0(VALU_DEP_2) | instskip(SKIP_2) | instid1(VALU_DEP_1)
	s_and_b32 s0, s0, exec_lo
	s_cselect_b32 s7, s5, 0
	s_cselect_b32 s6, s4, 56
	s_and_b32 vcc_lo, exec_lo, s1
	s_mov_b32 s0, -1
	s_wait_alu 0xfffe
	s_cbranch_vccz .LBB3_1565
; %bb.1559:                             ;   in Loop: Header=BB3_1558 Depth=1
	s_and_not1_b32 vcc_lo, exec_lo, s0
	s_mov_b64 s[0:1], s[2:3]
	s_wait_alu 0xfffe
	s_cbranch_vccz .LBB3_1569
.LBB3_1560:                             ;   in Loop: Header=BB3_1558 Depth=1
	s_wait_alu 0xfffe
	s_cmp_gt_u32 s15, 7
	s_cbranch_scc1 .LBB3_1570
.LBB3_1561:                             ;   in Loop: Header=BB3_1558 Depth=1
	v_mov_b32_e32 v13, 0
	v_mov_b32_e32 v14, 0
	s_cmp_eq_u32 s15, 0
	s_cbranch_scc1 .LBB3_1564
; %bb.1562:                             ;   in Loop: Header=BB3_1558 Depth=1
	s_mov_b64 s[10:11], 0
	s_mov_b64 s[16:17], 0
.LBB3_1563:                             ;   Parent Loop BB3_1558 Depth=1
                                        ; =>  This Inner Loop Header: Depth=2
	s_wait_alu 0xfffe
	s_add_nc_u64 s[18:19], s[0:1], s[16:17]
	s_add_nc_u64 s[16:17], s[16:17], 1
	global_load_u8 v4, v6, s[18:19]
	s_wait_alu 0xfffe
	s_cmp_lg_u32 s15, s16
	s_wait_loadcnt 0x0
	v_and_b32_e32 v5, 0xffff, v4
	s_delay_alu instid0(VALU_DEP_1) | instskip(SKIP_1) | instid1(VALU_DEP_1)
	v_lshlrev_b64_e32 v[4:5], s10, v[5:6]
	s_add_nc_u64 s[10:11], s[10:11], 8
	v_or_b32_e32 v13, v4, v13
	s_delay_alu instid0(VALU_DEP_2)
	v_or_b32_e32 v14, v5, v14
	s_cbranch_scc1 .LBB3_1563
.LBB3_1564:                             ;   in Loop: Header=BB3_1558 Depth=1
	s_mov_b32 s18, 0
	s_cbranch_execz .LBB3_1571
	s_branch .LBB3_1572
.LBB3_1565:                             ;   in Loop: Header=BB3_1558 Depth=1
	v_mov_b32_e32 v11, 0
	v_mov_b32_e32 v12, 0
	s_cmp_eq_u64 s[4:5], 0
	s_mov_b64 s[0:1], 0
	s_cbranch_scc1 .LBB3_1568
; %bb.1566:                             ;   in Loop: Header=BB3_1558 Depth=1
	v_mov_b32_e32 v11, 0
	v_mov_b32_e32 v12, 0
	s_mov_b64 s[10:11], 0
.LBB3_1567:                             ;   Parent Loop BB3_1558 Depth=1
                                        ; =>  This Inner Loop Header: Depth=2
	s_wait_alu 0xfffe
	s_add_nc_u64 s[16:17], s[2:3], s[10:11]
	s_add_nc_u64 s[10:11], s[10:11], 1
	global_load_u8 v4, v6, s[16:17]
	s_wait_alu 0xfffe
	s_cmp_lg_u32 s6, s10
	s_wait_loadcnt 0x0
	v_and_b32_e32 v5, 0xffff, v4
	s_delay_alu instid0(VALU_DEP_1) | instskip(SKIP_1) | instid1(VALU_DEP_1)
	v_lshlrev_b64_e32 v[4:5], s0, v[5:6]
	s_add_nc_u64 s[0:1], s[0:1], 8
	v_or_b32_e32 v11, v4, v11
	s_delay_alu instid0(VALU_DEP_2)
	v_or_b32_e32 v12, v5, v12
	s_cbranch_scc1 .LBB3_1567
.LBB3_1568:                             ;   in Loop: Header=BB3_1558 Depth=1
	s_mov_b32 s15, 0
	s_mov_b64 s[0:1], s[2:3]
	s_cbranch_execnz .LBB3_1560
.LBB3_1569:                             ;   in Loop: Header=BB3_1558 Depth=1
	global_load_b64 v[11:12], v6, s[2:3]
	s_add_co_i32 s15, s6, -8
	s_add_nc_u64 s[0:1], s[2:3], 8
	s_wait_alu 0xfffe
	s_cmp_gt_u32 s15, 7
	s_cbranch_scc0 .LBB3_1561
.LBB3_1570:                             ;   in Loop: Header=BB3_1558 Depth=1
                                        ; implicit-def: $vgpr13_vgpr14
                                        ; implicit-def: $sgpr18
.LBB3_1571:                             ;   in Loop: Header=BB3_1558 Depth=1
	global_load_b64 v[13:14], v6, s[0:1]
	s_add_co_i32 s18, s15, -8
	s_add_nc_u64 s[0:1], s[0:1], 8
.LBB3_1572:                             ;   in Loop: Header=BB3_1558 Depth=1
	s_wait_alu 0xfffe
	s_cmp_gt_u32 s18, 7
	s_cbranch_scc1 .LBB3_1577
; %bb.1573:                             ;   in Loop: Header=BB3_1558 Depth=1
	v_mov_b32_e32 v15, 0
	v_mov_b32_e32 v16, 0
	s_cmp_eq_u32 s18, 0
	s_cbranch_scc1 .LBB3_1576
; %bb.1574:                             ;   in Loop: Header=BB3_1558 Depth=1
	s_mov_b64 s[10:11], 0
	s_mov_b64 s[16:17], 0
.LBB3_1575:                             ;   Parent Loop BB3_1558 Depth=1
                                        ; =>  This Inner Loop Header: Depth=2
	s_wait_alu 0xfffe
	s_add_nc_u64 s[20:21], s[0:1], s[16:17]
	s_add_nc_u64 s[16:17], s[16:17], 1
	global_load_u8 v4, v6, s[20:21]
	s_wait_alu 0xfffe
	s_cmp_lg_u32 s18, s16
	s_wait_loadcnt 0x0
	v_and_b32_e32 v5, 0xffff, v4
	s_delay_alu instid0(VALU_DEP_1) | instskip(SKIP_1) | instid1(VALU_DEP_1)
	v_lshlrev_b64_e32 v[4:5], s10, v[5:6]
	s_add_nc_u64 s[10:11], s[10:11], 8
	v_or_b32_e32 v15, v4, v15
	s_delay_alu instid0(VALU_DEP_2)
	v_or_b32_e32 v16, v5, v16
	s_cbranch_scc1 .LBB3_1575
.LBB3_1576:                             ;   in Loop: Header=BB3_1558 Depth=1
	s_mov_b32 s15, 0
	s_cbranch_execz .LBB3_1578
	s_branch .LBB3_1579
.LBB3_1577:                             ;   in Loop: Header=BB3_1558 Depth=1
                                        ; implicit-def: $sgpr15
.LBB3_1578:                             ;   in Loop: Header=BB3_1558 Depth=1
	global_load_b64 v[15:16], v6, s[0:1]
	s_add_co_i32 s15, s18, -8
	s_add_nc_u64 s[0:1], s[0:1], 8
.LBB3_1579:                             ;   in Loop: Header=BB3_1558 Depth=1
	s_wait_alu 0xfffe
	s_cmp_gt_u32 s15, 7
	s_cbranch_scc1 .LBB3_1584
; %bb.1580:                             ;   in Loop: Header=BB3_1558 Depth=1
	v_mov_b32_e32 v17, 0
	v_mov_b32_e32 v18, 0
	s_cmp_eq_u32 s15, 0
	s_cbranch_scc1 .LBB3_1583
; %bb.1581:                             ;   in Loop: Header=BB3_1558 Depth=1
	s_mov_b64 s[10:11], 0
	s_mov_b64 s[16:17], 0
.LBB3_1582:                             ;   Parent Loop BB3_1558 Depth=1
                                        ; =>  This Inner Loop Header: Depth=2
	s_wait_alu 0xfffe
	s_add_nc_u64 s[18:19], s[0:1], s[16:17]
	s_add_nc_u64 s[16:17], s[16:17], 1
	global_load_u8 v4, v6, s[18:19]
	s_wait_alu 0xfffe
	s_cmp_lg_u32 s15, s16
	s_wait_loadcnt 0x0
	v_and_b32_e32 v5, 0xffff, v4
	s_delay_alu instid0(VALU_DEP_1) | instskip(SKIP_1) | instid1(VALU_DEP_1)
	v_lshlrev_b64_e32 v[4:5], s10, v[5:6]
	s_add_nc_u64 s[10:11], s[10:11], 8
	v_or_b32_e32 v17, v4, v17
	s_delay_alu instid0(VALU_DEP_2)
	v_or_b32_e32 v18, v5, v18
	s_cbranch_scc1 .LBB3_1582
.LBB3_1583:                             ;   in Loop: Header=BB3_1558 Depth=1
	s_mov_b32 s18, 0
	s_cbranch_execz .LBB3_1585
	s_branch .LBB3_1586
.LBB3_1584:                             ;   in Loop: Header=BB3_1558 Depth=1
                                        ; implicit-def: $vgpr17_vgpr18
                                        ; implicit-def: $sgpr18
.LBB3_1585:                             ;   in Loop: Header=BB3_1558 Depth=1
	global_load_b64 v[17:18], v6, s[0:1]
	s_add_co_i32 s18, s15, -8
	s_add_nc_u64 s[0:1], s[0:1], 8
.LBB3_1586:                             ;   in Loop: Header=BB3_1558 Depth=1
	s_wait_alu 0xfffe
	s_cmp_gt_u32 s18, 7
	s_cbranch_scc1 .LBB3_1591
; %bb.1587:                             ;   in Loop: Header=BB3_1558 Depth=1
	v_mov_b32_e32 v19, 0
	v_mov_b32_e32 v20, 0
	s_cmp_eq_u32 s18, 0
	s_cbranch_scc1 .LBB3_1590
; %bb.1588:                             ;   in Loop: Header=BB3_1558 Depth=1
	s_mov_b64 s[10:11], 0
	s_mov_b64 s[16:17], 0
.LBB3_1589:                             ;   Parent Loop BB3_1558 Depth=1
                                        ; =>  This Inner Loop Header: Depth=2
	s_wait_alu 0xfffe
	s_add_nc_u64 s[20:21], s[0:1], s[16:17]
	s_add_nc_u64 s[16:17], s[16:17], 1
	global_load_u8 v4, v6, s[20:21]
	s_wait_alu 0xfffe
	s_cmp_lg_u32 s18, s16
	s_wait_loadcnt 0x0
	v_and_b32_e32 v5, 0xffff, v4
	s_delay_alu instid0(VALU_DEP_1) | instskip(SKIP_1) | instid1(VALU_DEP_1)
	v_lshlrev_b64_e32 v[4:5], s10, v[5:6]
	s_add_nc_u64 s[10:11], s[10:11], 8
	v_or_b32_e32 v19, v4, v19
	s_delay_alu instid0(VALU_DEP_2)
	v_or_b32_e32 v20, v5, v20
	s_cbranch_scc1 .LBB3_1589
.LBB3_1590:                             ;   in Loop: Header=BB3_1558 Depth=1
	s_mov_b32 s15, 0
	s_cbranch_execz .LBB3_1592
	s_branch .LBB3_1593
.LBB3_1591:                             ;   in Loop: Header=BB3_1558 Depth=1
                                        ; implicit-def: $sgpr15
.LBB3_1592:                             ;   in Loop: Header=BB3_1558 Depth=1
	global_load_b64 v[19:20], v6, s[0:1]
	s_add_co_i32 s15, s18, -8
	s_add_nc_u64 s[0:1], s[0:1], 8
.LBB3_1593:                             ;   in Loop: Header=BB3_1558 Depth=1
	s_wait_alu 0xfffe
	s_cmp_gt_u32 s15, 7
	s_cbranch_scc1 .LBB3_1598
; %bb.1594:                             ;   in Loop: Header=BB3_1558 Depth=1
	v_mov_b32_e32 v21, 0
	v_mov_b32_e32 v22, 0
	s_cmp_eq_u32 s15, 0
	s_cbranch_scc1 .LBB3_1597
; %bb.1595:                             ;   in Loop: Header=BB3_1558 Depth=1
	s_mov_b64 s[10:11], 0
	s_mov_b64 s[16:17], 0
.LBB3_1596:                             ;   Parent Loop BB3_1558 Depth=1
                                        ; =>  This Inner Loop Header: Depth=2
	s_wait_alu 0xfffe
	s_add_nc_u64 s[18:19], s[0:1], s[16:17]
	s_add_nc_u64 s[16:17], s[16:17], 1
	global_load_u8 v4, v6, s[18:19]
	s_wait_alu 0xfffe
	s_cmp_lg_u32 s15, s16
	s_wait_loadcnt 0x0
	v_and_b32_e32 v5, 0xffff, v4
	s_delay_alu instid0(VALU_DEP_1) | instskip(SKIP_1) | instid1(VALU_DEP_1)
	v_lshlrev_b64_e32 v[4:5], s10, v[5:6]
	s_add_nc_u64 s[10:11], s[10:11], 8
	v_or_b32_e32 v21, v4, v21
	s_delay_alu instid0(VALU_DEP_2)
	v_or_b32_e32 v22, v5, v22
	s_cbranch_scc1 .LBB3_1596
.LBB3_1597:                             ;   in Loop: Header=BB3_1558 Depth=1
	s_mov_b32 s18, 0
	s_cbranch_execz .LBB3_1599
	s_branch .LBB3_1600
.LBB3_1598:                             ;   in Loop: Header=BB3_1558 Depth=1
                                        ; implicit-def: $vgpr21_vgpr22
                                        ; implicit-def: $sgpr18
.LBB3_1599:                             ;   in Loop: Header=BB3_1558 Depth=1
	global_load_b64 v[21:22], v6, s[0:1]
	s_add_co_i32 s18, s15, -8
	s_add_nc_u64 s[0:1], s[0:1], 8
.LBB3_1600:                             ;   in Loop: Header=BB3_1558 Depth=1
	s_wait_alu 0xfffe
	s_cmp_gt_u32 s18, 7
	s_cbranch_scc1 .LBB3_1605
; %bb.1601:                             ;   in Loop: Header=BB3_1558 Depth=1
	v_mov_b32_e32 v23, 0
	v_mov_b32_e32 v24, 0
	s_cmp_eq_u32 s18, 0
	s_cbranch_scc1 .LBB3_1604
; %bb.1602:                             ;   in Loop: Header=BB3_1558 Depth=1
	s_mov_b64 s[10:11], 0
	s_mov_b64 s[16:17], s[0:1]
.LBB3_1603:                             ;   Parent Loop BB3_1558 Depth=1
                                        ; =>  This Inner Loop Header: Depth=2
	global_load_u8 v4, v6, s[16:17]
	s_add_co_i32 s18, s18, -1
	s_wait_alu 0xfffe
	s_add_nc_u64 s[16:17], s[16:17], 1
	s_cmp_lg_u32 s18, 0
	s_wait_loadcnt 0x0
	v_and_b32_e32 v5, 0xffff, v4
	s_delay_alu instid0(VALU_DEP_1) | instskip(SKIP_1) | instid1(VALU_DEP_1)
	v_lshlrev_b64_e32 v[4:5], s10, v[5:6]
	s_add_nc_u64 s[10:11], s[10:11], 8
	v_or_b32_e32 v23, v4, v23
	s_delay_alu instid0(VALU_DEP_2)
	v_or_b32_e32 v24, v5, v24
	s_cbranch_scc1 .LBB3_1603
.LBB3_1604:                             ;   in Loop: Header=BB3_1558 Depth=1
	s_cbranch_execz .LBB3_1606
	s_branch .LBB3_1607
.LBB3_1605:                             ;   in Loop: Header=BB3_1558 Depth=1
.LBB3_1606:                             ;   in Loop: Header=BB3_1558 Depth=1
	global_load_b64 v[23:24], v6, s[0:1]
.LBB3_1607:                             ;   in Loop: Header=BB3_1558 Depth=1
	v_readfirstlane_b32 s0, v50
	s_wait_loadcnt 0x0
	v_mov_b32_e32 v4, 0
	v_mov_b32_e32 v5, 0
	s_wait_alu 0xf1ff
	v_cmp_eq_u32_e64 s0, s0, v50
	s_delay_alu instid0(VALU_DEP_1)
	s_and_saveexec_b32 s1, s0
	s_cbranch_execz .LBB3_1613
; %bb.1608:                             ;   in Loop: Header=BB3_1558 Depth=1
	global_load_b64 v[27:28], v6, s[22:23] offset:24 scope:SCOPE_SYS
	s_wait_loadcnt 0x0
	global_inv scope:SCOPE_SYS
	s_clause 0x1
	global_load_b64 v[4:5], v6, s[22:23] offset:40
	global_load_b64 v[9:10], v6, s[22:23]
	s_mov_b32 s10, exec_lo
	s_wait_loadcnt 0x1
	v_and_b32_e32 v5, v5, v28
	v_and_b32_e32 v4, v4, v27
	s_delay_alu instid0(VALU_DEP_2) | instskip(NEXT) | instid1(VALU_DEP_2)
	v_mul_lo_u32 v5, 24, v5
	v_mul_lo_u32 v25, 0, v4
	v_mul_hi_u32 v26, 24, v4
	v_mul_lo_u32 v4, 24, v4
	s_delay_alu instid0(VALU_DEP_3) | instskip(SKIP_1) | instid1(VALU_DEP_2)
	v_add_nc_u32_e32 v5, v5, v25
	s_wait_loadcnt 0x0
	v_add_co_u32 v4, vcc_lo, v9, v4
	s_delay_alu instid0(VALU_DEP_2) | instskip(SKIP_1) | instid1(VALU_DEP_1)
	v_add_nc_u32_e32 v5, v5, v26
	s_wait_alu 0xfffd
	v_add_co_ci_u32_e32 v5, vcc_lo, v10, v5, vcc_lo
	global_load_b64 v[25:26], v[4:5], off scope:SCOPE_SYS
	s_wait_loadcnt 0x0
	global_atomic_cmpswap_b64 v[4:5], v6, v[25:28], s[22:23] offset:24 th:TH_ATOMIC_RETURN scope:SCOPE_SYS
	s_wait_loadcnt 0x0
	global_inv scope:SCOPE_SYS
	v_cmpx_ne_u64_e64 v[4:5], v[27:28]
	s_cbranch_execz .LBB3_1612
; %bb.1609:                             ;   in Loop: Header=BB3_1558 Depth=1
	s_mov_b32 s11, 0
.LBB3_1610:                             ;   Parent Loop BB3_1558 Depth=1
                                        ; =>  This Inner Loop Header: Depth=2
	s_sleep 1
	s_clause 0x1
	global_load_b64 v[9:10], v6, s[22:23] offset:40
	global_load_b64 v[25:26], v6, s[22:23]
	v_dual_mov_b32 v28, v5 :: v_dual_mov_b32 v27, v4
	s_wait_loadcnt 0x1
	s_delay_alu instid0(VALU_DEP_1) | instskip(NEXT) | instid1(VALU_DEP_2)
	v_and_b32_e32 v4, v9, v27
	v_and_b32_e32 v9, v10, v28
	s_wait_loadcnt 0x0
	s_delay_alu instid0(VALU_DEP_2) | instskip(NEXT) | instid1(VALU_DEP_1)
	v_mad_co_u64_u32 v[4:5], null, v4, 24, v[25:26]
	v_mad_co_u64_u32 v[9:10], null, v9, 24, v[5:6]
	s_delay_alu instid0(VALU_DEP_1)
	v_mov_b32_e32 v5, v9
	global_load_b64 v[25:26], v[4:5], off scope:SCOPE_SYS
	s_wait_loadcnt 0x0
	global_atomic_cmpswap_b64 v[4:5], v6, v[25:28], s[22:23] offset:24 th:TH_ATOMIC_RETURN scope:SCOPE_SYS
	s_wait_loadcnt 0x0
	global_inv scope:SCOPE_SYS
	v_cmp_eq_u64_e32 vcc_lo, v[4:5], v[27:28]
	s_wait_alu 0xfffe
	s_or_b32 s11, vcc_lo, s11
	s_wait_alu 0xfffe
	s_and_not1_b32 exec_lo, exec_lo, s11
	s_cbranch_execnz .LBB3_1610
; %bb.1611:                             ;   in Loop: Header=BB3_1558 Depth=1
	s_or_b32 exec_lo, exec_lo, s11
.LBB3_1612:                             ;   in Loop: Header=BB3_1558 Depth=1
	s_wait_alu 0xfffe
	s_or_b32 exec_lo, exec_lo, s10
.LBB3_1613:                             ;   in Loop: Header=BB3_1558 Depth=1
	s_wait_alu 0xfffe
	s_or_b32 exec_lo, exec_lo, s1
	s_clause 0x1
	global_load_b64 v[9:10], v6, s[22:23] offset:40
	global_load_b128 v[25:28], v6, s[22:23]
	v_readfirstlane_b32 s1, v5
	v_readfirstlane_b32 s10, v4
	s_mov_b32 s11, exec_lo
	s_wait_loadcnt 0x1
	s_wait_alu 0xf1ff
	v_and_b32_e32 v10, s1, v10
	v_and_b32_e32 v9, s10, v9
	s_delay_alu instid0(VALU_DEP_2) | instskip(NEXT) | instid1(VALU_DEP_2)
	v_mul_lo_u32 v4, 24, v10
	v_mul_lo_u32 v5, 0, v9
	v_mul_hi_u32 v29, 24, v9
	v_mul_lo_u32 v30, 24, v9
	s_delay_alu instid0(VALU_DEP_3) | instskip(NEXT) | instid1(VALU_DEP_1)
	v_add_nc_u32_e32 v4, v4, v5
	v_add_nc_u32_e32 v4, v4, v29
	s_wait_loadcnt 0x0
	s_delay_alu instid0(VALU_DEP_3) | instskip(SKIP_1) | instid1(VALU_DEP_2)
	v_add_co_u32 v29, vcc_lo, v25, v30
	s_wait_alu 0xfffd
	v_add_co_ci_u32_e32 v30, vcc_lo, v26, v4, vcc_lo
	s_and_saveexec_b32 s15, s0
	s_cbranch_execz .LBB3_1615
; %bb.1614:                             ;   in Loop: Header=BB3_1558 Depth=1
	s_wait_alu 0xfffe
	v_mov_b32_e32 v5, s11
	global_store_b128 v[29:30], v[5:8], off offset:8
.LBB3_1615:                             ;   in Loop: Header=BB3_1558 Depth=1
	s_wait_alu 0xfffe
	s_or_b32 exec_lo, exec_lo, s15
	v_cmp_gt_u64_e64 vcc_lo, s[4:5], 56
	v_lshlrev_b64_e32 v[4:5], 12, v[9:10]
	v_or_b32_e32 v32, 0, v3
	v_or_b32_e32 v33, v2, v31
	s_lshl_b32 s11, s6, 2
	s_wait_alu 0xfffe
	s_add_co_i32 s11, s11, 28
	s_wait_alu 0xfffd
	v_cndmask_b32_e32 v10, v32, v3, vcc_lo
	v_cndmask_b32_e32 v2, v33, v2, vcc_lo
	v_add_co_u32 v27, vcc_lo, v27, v4
	s_wait_alu 0xfffd
	v_add_co_ci_u32_e32 v28, vcc_lo, v28, v5, vcc_lo
	s_wait_alu 0xfffe
	s_and_b32 s11, s11, 0x1e0
	v_readfirstlane_b32 s16, v27
	s_wait_alu 0xfffe
	v_and_or_b32 v9, 0xffffff1f, v2, s11
	v_readfirstlane_b32 s17, v28
	s_clause 0x3
	global_store_b128 v39, v[9:12], s[16:17]
	global_store_b128 v39, v[13:16], s[16:17] offset:16
	global_store_b128 v39, v[17:20], s[16:17] offset:32
	;; [unrolled: 1-line block ×3, first 2 shown]
	s_and_saveexec_b32 s11, s0
	s_cbranch_execz .LBB3_1623
; %bb.1616:                             ;   in Loop: Header=BB3_1558 Depth=1
	s_clause 0x1
	global_load_b64 v[13:14], v6, s[22:23] offset:32 scope:SCOPE_SYS
	global_load_b64 v[2:3], v6, s[22:23] offset:40
	s_mov_b32 s15, exec_lo
	v_dual_mov_b32 v11, s10 :: v_dual_mov_b32 v12, s1
	s_wait_loadcnt 0x0
	v_and_b32_e32 v3, s1, v3
	v_and_b32_e32 v2, s10, v2
	s_delay_alu instid0(VALU_DEP_2) | instskip(NEXT) | instid1(VALU_DEP_2)
	v_mul_lo_u32 v3, 24, v3
	v_mul_lo_u32 v4, 0, v2
	v_mul_hi_u32 v5, 24, v2
	v_mul_lo_u32 v2, 24, v2
	s_delay_alu instid0(VALU_DEP_3) | instskip(NEXT) | instid1(VALU_DEP_2)
	v_add_nc_u32_e32 v3, v3, v4
	v_add_co_u32 v9, vcc_lo, v25, v2
	s_delay_alu instid0(VALU_DEP_2) | instskip(SKIP_1) | instid1(VALU_DEP_1)
	v_add_nc_u32_e32 v3, v3, v5
	s_wait_alu 0xfffd
	v_add_co_ci_u32_e32 v10, vcc_lo, v26, v3, vcc_lo
	global_store_b64 v[9:10], v[13:14], off
	global_wb scope:SCOPE_SYS
	s_wait_storecnt 0x0
	global_atomic_cmpswap_b64 v[4:5], v6, v[11:14], s[22:23] offset:32 th:TH_ATOMIC_RETURN scope:SCOPE_SYS
	s_wait_loadcnt 0x0
	v_cmpx_ne_u64_e64 v[4:5], v[13:14]
	s_cbranch_execz .LBB3_1619
; %bb.1617:                             ;   in Loop: Header=BB3_1558 Depth=1
	s_mov_b32 s16, 0
.LBB3_1618:                             ;   Parent Loop BB3_1558 Depth=1
                                        ; =>  This Inner Loop Header: Depth=2
	v_dual_mov_b32 v2, s10 :: v_dual_mov_b32 v3, s1
	s_sleep 1
	global_store_b64 v[9:10], v[4:5], off
	global_wb scope:SCOPE_SYS
	s_wait_storecnt 0x0
	global_atomic_cmpswap_b64 v[2:3], v6, v[2:5], s[22:23] offset:32 th:TH_ATOMIC_RETURN scope:SCOPE_SYS
	s_wait_loadcnt 0x0
	v_cmp_eq_u64_e32 vcc_lo, v[2:3], v[4:5]
	v_dual_mov_b32 v5, v3 :: v_dual_mov_b32 v4, v2
	s_wait_alu 0xfffe
	s_or_b32 s16, vcc_lo, s16
	s_wait_alu 0xfffe
	s_and_not1_b32 exec_lo, exec_lo, s16
	s_cbranch_execnz .LBB3_1618
.LBB3_1619:                             ;   in Loop: Header=BB3_1558 Depth=1
	s_wait_alu 0xfffe
	s_or_b32 exec_lo, exec_lo, s15
	global_load_b64 v[2:3], v6, s[22:23] offset:16
	s_mov_b32 s16, exec_lo
	s_mov_b32 s15, exec_lo
	s_wait_alu 0xfffe
	v_mbcnt_lo_u32_b32 v4, s16, 0
	s_delay_alu instid0(VALU_DEP_1)
	v_cmpx_eq_u32_e32 0, v4
	s_cbranch_execz .LBB3_1621
; %bb.1620:                             ;   in Loop: Header=BB3_1558 Depth=1
	s_bcnt1_i32_b32 s16, s16
	s_wait_alu 0xfffe
	v_mov_b32_e32 v5, s16
	global_wb scope:SCOPE_SYS
	s_wait_loadcnt 0x0
	global_atomic_add_u64 v[2:3], v[5:6], off offset:8 scope:SCOPE_SYS
.LBB3_1621:                             ;   in Loop: Header=BB3_1558 Depth=1
	s_or_b32 exec_lo, exec_lo, s15
	s_wait_loadcnt 0x0
	global_load_b64 v[9:10], v[2:3], off offset:16
	s_wait_loadcnt 0x0
	v_cmp_eq_u64_e32 vcc_lo, 0, v[9:10]
	s_cbranch_vccnz .LBB3_1623
; %bb.1622:                             ;   in Loop: Header=BB3_1558 Depth=1
	global_load_b32 v5, v[2:3], off offset:24
	s_wait_loadcnt 0x0
	v_and_b32_e32 v2, 0xffffff, v5
	global_wb scope:SCOPE_SYS
	s_wait_storecnt 0x0
	global_store_b64 v[9:10], v[5:6], off scope:SCOPE_SYS
	v_readfirstlane_b32 m0, v2
	s_sendmsg sendmsg(MSG_INTERRUPT)
.LBB3_1623:                             ;   in Loop: Header=BB3_1558 Depth=1
	s_wait_alu 0xfffe
	s_or_b32 exec_lo, exec_lo, s11
	v_add_co_u32 v2, vcc_lo, v27, v39
	s_wait_alu 0xfffd
	v_add_co_ci_u32_e32 v3, vcc_lo, 0, v28, vcc_lo
	s_branch .LBB3_1627
.LBB3_1624:                             ;   in Loop: Header=BB3_1627 Depth=2
	s_wait_alu 0xfffe
	s_or_b32 exec_lo, exec_lo, s11
	s_delay_alu instid0(VALU_DEP_1) | instskip(NEXT) | instid1(VALU_DEP_1)
	v_readfirstlane_b32 s11, v4
	s_cmp_eq_u32 s11, 0
	s_cbranch_scc1 .LBB3_1626
; %bb.1625:                             ;   in Loop: Header=BB3_1627 Depth=2
	s_sleep 1
	s_cbranch_execnz .LBB3_1627
	s_branch .LBB3_1629
.LBB3_1626:                             ;   in Loop: Header=BB3_1558 Depth=1
	s_branch .LBB3_1629
.LBB3_1627:                             ;   Parent Loop BB3_1558 Depth=1
                                        ; =>  This Inner Loop Header: Depth=2
	v_mov_b32_e32 v4, 1
	s_and_saveexec_b32 s11, s0
	s_cbranch_execz .LBB3_1624
; %bb.1628:                             ;   in Loop: Header=BB3_1627 Depth=2
	global_load_b32 v4, v[29:30], off offset:20 scope:SCOPE_SYS
	s_wait_loadcnt 0x0
	global_inv scope:SCOPE_SYS
	v_and_b32_e32 v4, 1, v4
	s_branch .LBB3_1624
.LBB3_1629:                             ;   in Loop: Header=BB3_1558 Depth=1
	global_load_b128 v[2:5], v[2:3], off
	s_and_saveexec_b32 s11, s0
	s_cbranch_execz .LBB3_1557
; %bb.1630:                             ;   in Loop: Header=BB3_1558 Depth=1
	s_clause 0x2
	global_load_b64 v[4:5], v6, s[22:23] offset:40
	global_load_b64 v[13:14], v6, s[22:23] offset:24 scope:SCOPE_SYS
	global_load_b64 v[11:12], v6, s[22:23]
	s_wait_loadcnt 0x2
	v_add_co_u32 v15, vcc_lo, v4, 1
	s_wait_alu 0xfffd
	v_add_co_ci_u32_e32 v16, vcc_lo, 0, v5, vcc_lo
	s_delay_alu instid0(VALU_DEP_2) | instskip(SKIP_1) | instid1(VALU_DEP_2)
	v_add_co_u32 v9, vcc_lo, v15, s10
	s_wait_alu 0xfffd
	v_add_co_ci_u32_e32 v10, vcc_lo, s1, v16, vcc_lo
	s_delay_alu instid0(VALU_DEP_1) | instskip(SKIP_2) | instid1(VALU_DEP_1)
	v_cmp_eq_u64_e32 vcc_lo, 0, v[9:10]
	s_wait_alu 0xfffd
	v_dual_cndmask_b32 v10, v10, v16 :: v_dual_cndmask_b32 v9, v9, v15
	v_and_b32_e32 v5, v10, v5
	s_delay_alu instid0(VALU_DEP_2) | instskip(NEXT) | instid1(VALU_DEP_2)
	v_and_b32_e32 v4, v9, v4
	v_mul_lo_u32 v5, 24, v5
	s_delay_alu instid0(VALU_DEP_2) | instskip(SKIP_2) | instid1(VALU_DEP_3)
	v_mul_lo_u32 v15, 0, v4
	v_mul_hi_u32 v16, 24, v4
	v_mul_lo_u32 v4, 24, v4
	v_add_nc_u32_e32 v5, v5, v15
	s_wait_loadcnt 0x0
	s_delay_alu instid0(VALU_DEP_2) | instskip(SKIP_1) | instid1(VALU_DEP_3)
	v_add_co_u32 v4, vcc_lo, v11, v4
	v_mov_b32_e32 v11, v13
	v_add_nc_u32_e32 v5, v5, v16
	s_wait_alu 0xfffd
	s_delay_alu instid0(VALU_DEP_1)
	v_add_co_ci_u32_e32 v5, vcc_lo, v12, v5, vcc_lo
	v_mov_b32_e32 v12, v14
	global_store_b64 v[4:5], v[13:14], off
	global_wb scope:SCOPE_SYS
	s_wait_storecnt 0x0
	global_atomic_cmpswap_b64 v[11:12], v6, v[9:12], s[22:23] offset:24 th:TH_ATOMIC_RETURN scope:SCOPE_SYS
	s_wait_loadcnt 0x0
	v_cmp_ne_u64_e32 vcc_lo, v[11:12], v[13:14]
	s_and_b32 exec_lo, exec_lo, vcc_lo
	s_cbranch_execz .LBB3_1557
; %bb.1631:                             ;   in Loop: Header=BB3_1558 Depth=1
	s_mov_b32 s0, 0
.LBB3_1632:                             ;   Parent Loop BB3_1558 Depth=1
                                        ; =>  This Inner Loop Header: Depth=2
	s_sleep 1
	global_store_b64 v[4:5], v[11:12], off
	global_wb scope:SCOPE_SYS
	s_wait_storecnt 0x0
	global_atomic_cmpswap_b64 v[13:14], v6, v[9:12], s[22:23] offset:24 th:TH_ATOMIC_RETURN scope:SCOPE_SYS
	s_wait_loadcnt 0x0
	v_cmp_eq_u64_e32 vcc_lo, v[13:14], v[11:12]
	v_dual_mov_b32 v11, v13 :: v_dual_mov_b32 v12, v14
	s_wait_alu 0xfffe
	s_or_b32 s0, vcc_lo, s0
	s_wait_alu 0xfffe
	s_and_not1_b32 exec_lo, exec_lo, s0
	s_cbranch_execnz .LBB3_1632
	s_branch .LBB3_1557
.LBB3_1633:
	s_branch .LBB3_1662
.LBB3_1634:
                                        ; implicit-def: $vgpr2_vgpr3
	s_cbranch_execz .LBB3_1662
; %bb.1635:
	v_readfirstlane_b32 s0, v50
	v_mov_b32_e32 v8, 0
	v_mov_b32_e32 v9, 0
	s_wait_alu 0xf1ff
	s_delay_alu instid0(VALU_DEP_3) | instskip(NEXT) | instid1(VALU_DEP_1)
	v_cmp_eq_u32_e64 s0, s0, v50
	s_and_saveexec_b32 s1, s0
	s_cbranch_execz .LBB3_1641
; %bb.1636:
	s_wait_loadcnt 0x0
	v_mov_b32_e32 v2, 0
	s_mov_b32 s2, exec_lo
	global_load_b64 v[5:6], v2, s[22:23] offset:24 scope:SCOPE_SYS
	s_wait_loadcnt 0x0
	global_inv scope:SCOPE_SYS
	s_clause 0x1
	global_load_b64 v[3:4], v2, s[22:23] offset:40
	global_load_b64 v[7:8], v2, s[22:23]
	s_wait_loadcnt 0x1
	v_and_b32_e32 v3, v3, v5
	v_and_b32_e32 v4, v4, v6
	s_delay_alu instid0(VALU_DEP_2) | instskip(NEXT) | instid1(VALU_DEP_2)
	v_mul_lo_u32 v9, 0, v3
	v_mul_lo_u32 v4, 24, v4
	v_mul_hi_u32 v10, 24, v3
	v_mul_lo_u32 v3, 24, v3
	s_delay_alu instid0(VALU_DEP_3) | instskip(SKIP_1) | instid1(VALU_DEP_2)
	v_add_nc_u32_e32 v4, v4, v9
	s_wait_loadcnt 0x0
	v_add_co_u32 v3, vcc_lo, v7, v3
	s_delay_alu instid0(VALU_DEP_2) | instskip(SKIP_1) | instid1(VALU_DEP_1)
	v_add_nc_u32_e32 v4, v4, v10
	s_wait_alu 0xfffd
	v_add_co_ci_u32_e32 v4, vcc_lo, v8, v4, vcc_lo
	global_load_b64 v[3:4], v[3:4], off scope:SCOPE_SYS
	s_wait_loadcnt 0x0
	global_atomic_cmpswap_b64 v[8:9], v2, v[3:6], s[22:23] offset:24 th:TH_ATOMIC_RETURN scope:SCOPE_SYS
	s_wait_loadcnt 0x0
	global_inv scope:SCOPE_SYS
	v_cmpx_ne_u64_e64 v[8:9], v[5:6]
	s_cbranch_execz .LBB3_1640
; %bb.1637:
	s_mov_b32 s3, 0
.LBB3_1638:                             ; =>This Inner Loop Header: Depth=1
	s_sleep 1
	s_clause 0x1
	global_load_b64 v[3:4], v2, s[22:23] offset:40
	global_load_b64 v[10:11], v2, s[22:23]
	v_dual_mov_b32 v5, v8 :: v_dual_mov_b32 v6, v9
	s_wait_loadcnt 0x1
	s_delay_alu instid0(VALU_DEP_1) | instskip(NEXT) | instid1(VALU_DEP_2)
	v_and_b32_e32 v3, v3, v5
	v_and_b32_e32 v4, v4, v6
	s_wait_loadcnt 0x0
	s_delay_alu instid0(VALU_DEP_2) | instskip(NEXT) | instid1(VALU_DEP_1)
	v_mad_co_u64_u32 v[7:8], null, v3, 24, v[10:11]
	v_mov_b32_e32 v3, v8
	s_delay_alu instid0(VALU_DEP_1) | instskip(NEXT) | instid1(VALU_DEP_1)
	v_mad_co_u64_u32 v[3:4], null, v4, 24, v[3:4]
	v_mov_b32_e32 v8, v3
	global_load_b64 v[3:4], v[7:8], off scope:SCOPE_SYS
	s_wait_loadcnt 0x0
	global_atomic_cmpswap_b64 v[8:9], v2, v[3:6], s[22:23] offset:24 th:TH_ATOMIC_RETURN scope:SCOPE_SYS
	s_wait_loadcnt 0x0
	global_inv scope:SCOPE_SYS
	v_cmp_eq_u64_e32 vcc_lo, v[8:9], v[5:6]
	s_wait_alu 0xfffe
	s_or_b32 s3, vcc_lo, s3
	s_wait_alu 0xfffe
	s_and_not1_b32 exec_lo, exec_lo, s3
	s_cbranch_execnz .LBB3_1638
; %bb.1639:
	s_or_b32 exec_lo, exec_lo, s3
.LBB3_1640:
	s_wait_alu 0xfffe
	s_or_b32 exec_lo, exec_lo, s2
.LBB3_1641:
	s_wait_alu 0xfffe
	s_or_b32 exec_lo, exec_lo, s1
	v_readfirstlane_b32 s1, v9
	s_wait_loadcnt 0x0
	v_mov_b32_e32 v2, 0
	v_readfirstlane_b32 s2, v8
	s_mov_b32 s3, exec_lo
	s_clause 0x1
	global_load_b64 v[10:11], v2, s[22:23] offset:40
	global_load_b128 v[4:7], v2, s[22:23]
	s_wait_loadcnt 0x1
	s_wait_alu 0xf1ff
	v_and_b32_e32 v11, s1, v11
	v_and_b32_e32 v10, s2, v10
	s_delay_alu instid0(VALU_DEP_2) | instskip(NEXT) | instid1(VALU_DEP_2)
	v_mul_lo_u32 v3, 24, v11
	v_mul_lo_u32 v8, 0, v10
	v_mul_hi_u32 v9, 24, v10
	v_mul_lo_u32 v12, 24, v10
	s_delay_alu instid0(VALU_DEP_3) | instskip(SKIP_1) | instid1(VALU_DEP_2)
	v_add_nc_u32_e32 v3, v3, v8
	s_wait_loadcnt 0x0
	v_add_co_u32 v8, vcc_lo, v4, v12
	s_delay_alu instid0(VALU_DEP_2) | instskip(SKIP_1) | instid1(VALU_DEP_1)
	v_add_nc_u32_e32 v3, v3, v9
	s_wait_alu 0xfffd
	v_add_co_ci_u32_e32 v9, vcc_lo, v5, v3, vcc_lo
	s_and_saveexec_b32 s4, s0
	s_cbranch_execz .LBB3_1643
; %bb.1642:
	s_wait_alu 0xfffe
	v_dual_mov_b32 v12, s3 :: v_dual_mov_b32 v13, v2
	v_dual_mov_b32 v14, 2 :: v_dual_mov_b32 v15, 1
	global_store_b128 v[8:9], v[12:15], off offset:8
.LBB3_1643:
	s_wait_alu 0xfffe
	s_or_b32 exec_lo, exec_lo, s4
	v_lshlrev_b64_e32 v[10:11], 12, v[10:11]
	s_mov_b32 s4, 0
	v_and_or_b32 v0, 0xffffff1f, v0, 32
	s_wait_alu 0xfffe
	s_mov_b32 s7, s4
	s_mov_b32 s5, s4
	;; [unrolled: 1-line block ×3, first 2 shown]
	v_add_co_u32 v6, vcc_lo, v6, v10
	s_wait_alu 0xfffd
	v_add_co_ci_u32_e32 v7, vcc_lo, v7, v11, vcc_lo
	v_mov_b32_e32 v3, v2
	s_delay_alu instid0(VALU_DEP_3) | instskip(SKIP_1) | instid1(VALU_DEP_4)
	v_readfirstlane_b32 s10, v6
	v_add_co_u32 v6, vcc_lo, v6, v39
	v_readfirstlane_b32 s11, v7
	s_wait_alu 0xfffe
	v_dual_mov_b32 v13, s7 :: v_dual_mov_b32 v10, s4
	s_wait_alu 0xfffd
	v_add_co_ci_u32_e32 v7, vcc_lo, 0, v7, vcc_lo
	v_dual_mov_b32 v12, s6 :: v_dual_mov_b32 v11, s5
	s_clause 0x3
	global_store_b128 v39, v[0:3], s[10:11]
	global_store_b128 v39, v[10:13], s[10:11] offset:16
	global_store_b128 v39, v[10:13], s[10:11] offset:32
	;; [unrolled: 1-line block ×3, first 2 shown]
	s_and_saveexec_b32 s3, s0
	s_cbranch_execz .LBB3_1651
; %bb.1644:
	v_mov_b32_e32 v10, 0
	s_mov_b32 s4, exec_lo
	s_clause 0x1
	global_load_b64 v[13:14], v10, s[22:23] offset:32 scope:SCOPE_SYS
	global_load_b64 v[0:1], v10, s[22:23] offset:40
	v_dual_mov_b32 v11, s2 :: v_dual_mov_b32 v12, s1
	s_wait_loadcnt 0x0
	v_and_b32_e32 v1, s1, v1
	v_and_b32_e32 v0, s2, v0
	s_delay_alu instid0(VALU_DEP_2) | instskip(NEXT) | instid1(VALU_DEP_2)
	v_mul_lo_u32 v1, 24, v1
	v_mul_lo_u32 v2, 0, v0
	v_mul_hi_u32 v3, 24, v0
	v_mul_lo_u32 v0, 24, v0
	s_delay_alu instid0(VALU_DEP_3) | instskip(NEXT) | instid1(VALU_DEP_2)
	v_add_nc_u32_e32 v1, v1, v2
	v_add_co_u32 v4, vcc_lo, v4, v0
	s_delay_alu instid0(VALU_DEP_2) | instskip(SKIP_1) | instid1(VALU_DEP_1)
	v_add_nc_u32_e32 v1, v1, v3
	s_wait_alu 0xfffd
	v_add_co_ci_u32_e32 v5, vcc_lo, v5, v1, vcc_lo
	global_store_b64 v[4:5], v[13:14], off
	global_wb scope:SCOPE_SYS
	s_wait_storecnt 0x0
	global_atomic_cmpswap_b64 v[2:3], v10, v[11:14], s[22:23] offset:32 th:TH_ATOMIC_RETURN scope:SCOPE_SYS
	s_wait_loadcnt 0x0
	v_cmpx_ne_u64_e64 v[2:3], v[13:14]
	s_cbranch_execz .LBB3_1647
; %bb.1645:
	s_mov_b32 s5, 0
.LBB3_1646:                             ; =>This Inner Loop Header: Depth=1
	v_dual_mov_b32 v0, s2 :: v_dual_mov_b32 v1, s1
	s_sleep 1
	global_store_b64 v[4:5], v[2:3], off
	global_wb scope:SCOPE_SYS
	s_wait_storecnt 0x0
	global_atomic_cmpswap_b64 v[0:1], v10, v[0:3], s[22:23] offset:32 th:TH_ATOMIC_RETURN scope:SCOPE_SYS
	s_wait_loadcnt 0x0
	v_cmp_eq_u64_e32 vcc_lo, v[0:1], v[2:3]
	v_dual_mov_b32 v3, v1 :: v_dual_mov_b32 v2, v0
	s_wait_alu 0xfffe
	s_or_b32 s5, vcc_lo, s5
	s_wait_alu 0xfffe
	s_and_not1_b32 exec_lo, exec_lo, s5
	s_cbranch_execnz .LBB3_1646
.LBB3_1647:
	s_wait_alu 0xfffe
	s_or_b32 exec_lo, exec_lo, s4
	v_mov_b32_e32 v3, 0
	s_mov_b32 s5, exec_lo
	s_mov_b32 s4, exec_lo
	s_wait_alu 0xfffe
	v_mbcnt_lo_u32_b32 v2, s5, 0
	global_load_b64 v[0:1], v3, s[22:23] offset:16
	v_cmpx_eq_u32_e32 0, v2
	s_cbranch_execz .LBB3_1649
; %bb.1648:
	s_bcnt1_i32_b32 s5, s5
	s_wait_alu 0xfffe
	v_mov_b32_e32 v2, s5
	global_wb scope:SCOPE_SYS
	s_wait_loadcnt 0x0
	global_atomic_add_u64 v[0:1], v[2:3], off offset:8 scope:SCOPE_SYS
.LBB3_1649:
	s_or_b32 exec_lo, exec_lo, s4
	s_wait_loadcnt 0x0
	global_load_b64 v[2:3], v[0:1], off offset:16
	s_wait_loadcnt 0x0
	v_cmp_eq_u64_e32 vcc_lo, 0, v[2:3]
	s_cbranch_vccnz .LBB3_1651
; %bb.1650:
	global_load_b32 v0, v[0:1], off offset:24
	s_wait_loadcnt 0x0
	v_dual_mov_b32 v1, 0 :: v_dual_and_b32 v4, 0xffffff, v0
	global_wb scope:SCOPE_SYS
	s_wait_storecnt 0x0
	global_store_b64 v[2:3], v[0:1], off scope:SCOPE_SYS
	v_readfirstlane_b32 m0, v4
	s_sendmsg sendmsg(MSG_INTERRUPT)
.LBB3_1651:
	s_wait_alu 0xfffe
	s_or_b32 exec_lo, exec_lo, s3
	s_branch .LBB3_1655
.LBB3_1652:                             ;   in Loop: Header=BB3_1655 Depth=1
	s_wait_alu 0xfffe
	s_or_b32 exec_lo, exec_lo, s3
	s_delay_alu instid0(VALU_DEP_1) | instskip(NEXT) | instid1(VALU_DEP_1)
	v_readfirstlane_b32 s3, v0
	s_cmp_eq_u32 s3, 0
	s_cbranch_scc1 .LBB3_1654
; %bb.1653:                             ;   in Loop: Header=BB3_1655 Depth=1
	s_sleep 1
	s_cbranch_execnz .LBB3_1655
	s_branch .LBB3_1657
.LBB3_1654:
	s_branch .LBB3_1657
.LBB3_1655:                             ; =>This Inner Loop Header: Depth=1
	v_mov_b32_e32 v0, 1
	s_and_saveexec_b32 s3, s0
	s_cbranch_execz .LBB3_1652
; %bb.1656:                             ;   in Loop: Header=BB3_1655 Depth=1
	global_load_b32 v0, v[8:9], off offset:20 scope:SCOPE_SYS
	s_wait_loadcnt 0x0
	global_inv scope:SCOPE_SYS
	v_and_b32_e32 v0, 1, v0
	s_branch .LBB3_1652
.LBB3_1657:
	global_load_b64 v[2:3], v[6:7], off
	s_and_saveexec_b32 s3, s0
	s_cbranch_execz .LBB3_1661
; %bb.1658:
	v_mov_b32_e32 v8, 0
	s_clause 0x2
	global_load_b64 v[0:1], v8, s[22:23] offset:40
	global_load_b64 v[9:10], v8, s[22:23] offset:24 scope:SCOPE_SYS
	global_load_b64 v[6:7], v8, s[22:23]
	s_wait_loadcnt 0x2
	v_add_co_u32 v11, vcc_lo, v0, 1
	s_wait_alu 0xfffd
	v_add_co_ci_u32_e32 v12, vcc_lo, 0, v1, vcc_lo
	s_delay_alu instid0(VALU_DEP_2) | instskip(SKIP_1) | instid1(VALU_DEP_2)
	v_add_co_u32 v4, vcc_lo, v11, s2
	s_wait_alu 0xfffd
	v_add_co_ci_u32_e32 v5, vcc_lo, s1, v12, vcc_lo
	s_delay_alu instid0(VALU_DEP_1) | instskip(SKIP_2) | instid1(VALU_DEP_1)
	v_cmp_eq_u64_e32 vcc_lo, 0, v[4:5]
	s_wait_alu 0xfffd
	v_dual_cndmask_b32 v5, v5, v12 :: v_dual_cndmask_b32 v4, v4, v11
	v_and_b32_e32 v1, v5, v1
	s_delay_alu instid0(VALU_DEP_2) | instskip(NEXT) | instid1(VALU_DEP_2)
	v_and_b32_e32 v0, v4, v0
	v_mul_lo_u32 v1, 24, v1
	s_delay_alu instid0(VALU_DEP_2) | instskip(SKIP_2) | instid1(VALU_DEP_3)
	v_mul_lo_u32 v11, 0, v0
	v_mul_hi_u32 v12, 24, v0
	v_mul_lo_u32 v0, 24, v0
	v_add_nc_u32_e32 v1, v1, v11
	s_wait_loadcnt 0x0
	s_delay_alu instid0(VALU_DEP_2) | instskip(SKIP_1) | instid1(VALU_DEP_3)
	v_add_co_u32 v0, vcc_lo, v6, v0
	v_mov_b32_e32 v6, v9
	v_add_nc_u32_e32 v1, v1, v12
	s_wait_alu 0xfffd
	s_delay_alu instid0(VALU_DEP_1)
	v_add_co_ci_u32_e32 v1, vcc_lo, v7, v1, vcc_lo
	v_mov_b32_e32 v7, v10
	global_store_b64 v[0:1], v[9:10], off
	global_wb scope:SCOPE_SYS
	s_wait_storecnt 0x0
	global_atomic_cmpswap_b64 v[6:7], v8, v[4:7], s[22:23] offset:24 th:TH_ATOMIC_RETURN scope:SCOPE_SYS
	s_wait_loadcnt 0x0
	v_cmp_ne_u64_e32 vcc_lo, v[6:7], v[9:10]
	s_and_b32 exec_lo, exec_lo, vcc_lo
	s_cbranch_execz .LBB3_1661
; %bb.1659:
	s_mov_b32 s0, 0
.LBB3_1660:                             ; =>This Inner Loop Header: Depth=1
	s_sleep 1
	global_store_b64 v[0:1], v[6:7], off
	global_wb scope:SCOPE_SYS
	s_wait_storecnt 0x0
	global_atomic_cmpswap_b64 v[9:10], v8, v[4:7], s[22:23] offset:24 th:TH_ATOMIC_RETURN scope:SCOPE_SYS
	s_wait_loadcnt 0x0
	v_cmp_eq_u64_e32 vcc_lo, v[9:10], v[6:7]
	v_dual_mov_b32 v6, v9 :: v_dual_mov_b32 v7, v10
	s_wait_alu 0xfffe
	s_or_b32 s0, vcc_lo, s0
	s_wait_alu 0xfffe
	s_and_not1_b32 exec_lo, exec_lo, s0
	s_cbranch_execnz .LBB3_1660
.LBB3_1661:
	s_wait_alu 0xfffe
	s_or_b32 exec_lo, exec_lo, s3
.LBB3_1662:
	v_readfirstlane_b32 s0, v50
	s_wait_loadcnt 0x0
	v_mov_b32_e32 v0, 0
	v_mov_b32_e32 v1, 0
	s_wait_alu 0xf1ff
	v_cmp_eq_u32_e64 s0, s0, v50
	s_delay_alu instid0(VALU_DEP_1)
	s_and_saveexec_b32 s1, s0
	s_cbranch_execz .LBB3_1668
; %bb.1663:
	v_mov_b32_e32 v4, 0
	s_mov_b32 s2, exec_lo
	global_load_b64 v[7:8], v4, s[22:23] offset:24 scope:SCOPE_SYS
	s_wait_loadcnt 0x0
	global_inv scope:SCOPE_SYS
	s_clause 0x1
	global_load_b64 v[0:1], v4, s[22:23] offset:40
	global_load_b64 v[5:6], v4, s[22:23]
	s_wait_loadcnt 0x1
	v_and_b32_e32 v1, v1, v8
	v_and_b32_e32 v0, v0, v7
	s_delay_alu instid0(VALU_DEP_2) | instskip(NEXT) | instid1(VALU_DEP_2)
	v_mul_lo_u32 v1, 24, v1
	v_mul_lo_u32 v9, 0, v0
	v_mul_hi_u32 v10, 24, v0
	v_mul_lo_u32 v0, 24, v0
	s_delay_alu instid0(VALU_DEP_3) | instskip(SKIP_1) | instid1(VALU_DEP_2)
	v_add_nc_u32_e32 v1, v1, v9
	s_wait_loadcnt 0x0
	v_add_co_u32 v0, vcc_lo, v5, v0
	s_delay_alu instid0(VALU_DEP_2) | instskip(SKIP_1) | instid1(VALU_DEP_1)
	v_add_nc_u32_e32 v1, v1, v10
	s_wait_alu 0xfffd
	v_add_co_ci_u32_e32 v1, vcc_lo, v6, v1, vcc_lo
	global_load_b64 v[5:6], v[0:1], off scope:SCOPE_SYS
	s_wait_loadcnt 0x0
	global_atomic_cmpswap_b64 v[0:1], v4, v[5:8], s[22:23] offset:24 th:TH_ATOMIC_RETURN scope:SCOPE_SYS
	s_wait_loadcnt 0x0
	global_inv scope:SCOPE_SYS
	v_cmpx_ne_u64_e64 v[0:1], v[7:8]
	s_cbranch_execz .LBB3_1667
; %bb.1664:
	s_mov_b32 s3, 0
.LBB3_1665:                             ; =>This Inner Loop Header: Depth=1
	s_sleep 1
	s_clause 0x1
	global_load_b64 v[5:6], v4, s[22:23] offset:40
	global_load_b64 v[9:10], v4, s[22:23]
	v_dual_mov_b32 v8, v1 :: v_dual_mov_b32 v7, v0
	s_wait_loadcnt 0x1
	s_delay_alu instid0(VALU_DEP_1) | instskip(NEXT) | instid1(VALU_DEP_2)
	v_and_b32_e32 v0, v5, v7
	v_and_b32_e32 v5, v6, v8
	s_wait_loadcnt 0x0
	s_delay_alu instid0(VALU_DEP_2) | instskip(NEXT) | instid1(VALU_DEP_1)
	v_mad_co_u64_u32 v[0:1], null, v0, 24, v[9:10]
	v_mad_co_u64_u32 v[5:6], null, v5, 24, v[1:2]
	s_delay_alu instid0(VALU_DEP_1)
	v_mov_b32_e32 v1, v5
	global_load_b64 v[5:6], v[0:1], off scope:SCOPE_SYS
	s_wait_loadcnt 0x0
	global_atomic_cmpswap_b64 v[0:1], v4, v[5:8], s[22:23] offset:24 th:TH_ATOMIC_RETURN scope:SCOPE_SYS
	s_wait_loadcnt 0x0
	global_inv scope:SCOPE_SYS
	v_cmp_eq_u64_e32 vcc_lo, v[0:1], v[7:8]
	s_wait_alu 0xfffe
	s_or_b32 s3, vcc_lo, s3
	s_wait_alu 0xfffe
	s_and_not1_b32 exec_lo, exec_lo, s3
	s_cbranch_execnz .LBB3_1665
; %bb.1666:
	s_or_b32 exec_lo, exec_lo, s3
.LBB3_1667:
	s_wait_alu 0xfffe
	s_or_b32 exec_lo, exec_lo, s2
.LBB3_1668:
	s_wait_alu 0xfffe
	s_or_b32 exec_lo, exec_lo, s1
	v_readfirstlane_b32 s2, v0
	v_mov_b32_e32 v5, 0
	v_readfirstlane_b32 s1, v1
	s_mov_b32 s3, exec_lo
	s_clause 0x1
	global_load_b64 v[10:11], v5, s[22:23] offset:40
	global_load_b128 v[6:9], v5, s[22:23]
	s_wait_loadcnt 0x1
	s_wait_alu 0xf1ff
	v_and_b32_e32 v0, s2, v10
	v_and_b32_e32 v1, s1, v11
	s_delay_alu instid0(VALU_DEP_2) | instskip(NEXT) | instid1(VALU_DEP_2)
	v_mul_lo_u32 v10, 0, v0
	v_mul_lo_u32 v4, 24, v1
	v_mul_hi_u32 v11, 24, v0
	v_mul_lo_u32 v12, 24, v0
	s_delay_alu instid0(VALU_DEP_3) | instskip(SKIP_1) | instid1(VALU_DEP_2)
	v_add_nc_u32_e32 v4, v4, v10
	s_wait_loadcnt 0x0
	v_add_co_u32 v10, vcc_lo, v6, v12
	s_delay_alu instid0(VALU_DEP_2) | instskip(SKIP_1) | instid1(VALU_DEP_1)
	v_add_nc_u32_e32 v4, v4, v11
	s_wait_alu 0xfffd
	v_add_co_ci_u32_e32 v11, vcc_lo, v7, v4, vcc_lo
	s_and_saveexec_b32 s4, s0
	s_cbranch_execz .LBB3_1670
; %bb.1669:
	s_wait_alu 0xfffe
	v_dual_mov_b32 v4, s3 :: v_dual_mov_b32 v15, 1
	v_dual_mov_b32 v14, 2 :: v_dual_mov_b32 v13, v5
	s_delay_alu instid0(VALU_DEP_2)
	v_mov_b32_e32 v12, v4
	global_store_b128 v[10:11], v[12:15], off offset:8
.LBB3_1670:
	s_wait_alu 0xfffe
	s_or_b32 exec_lo, exec_lo, s4
	v_lshlrev_b64_e32 v[0:1], 12, v[0:1]
	s_mov_b32 s4, 0
	v_and_or_b32 v2, 0xffffff1d, v2, 34
	s_wait_alu 0xfffe
	s_mov_b32 s7, s4
	s_mov_b32 s5, s4
	;; [unrolled: 1-line block ×3, first 2 shown]
	v_add_co_u32 v0, vcc_lo, v8, v0
	s_wait_alu 0xfffd
	v_add_co_ci_u32_e32 v1, vcc_lo, v9, v1, vcc_lo
	s_wait_alu 0xfffe
	v_dual_mov_b32 v4, 10 :: v_dual_mov_b32 v15, s7
	v_readfirstlane_b32 s10, v0
	s_delay_alu instid0(VALU_DEP_3)
	v_readfirstlane_b32 s11, v1
	v_dual_mov_b32 v14, s6 :: v_dual_mov_b32 v13, s5
	v_mov_b32_e32 v12, s4
	s_clause 0x3
	global_store_b128 v39, v[2:5], s[10:11]
	global_store_b128 v39, v[12:15], s[10:11] offset:16
	global_store_b128 v39, v[12:15], s[10:11] offset:32
	;; [unrolled: 1-line block ×3, first 2 shown]
	s_and_saveexec_b32 s3, s0
	s_cbranch_execz .LBB3_1678
; %bb.1671:
	v_mov_b32_e32 v8, 0
	s_mov_b32 s4, exec_lo
	s_clause 0x1
	global_load_b64 v[14:15], v8, s[22:23] offset:32 scope:SCOPE_SYS
	global_load_b64 v[0:1], v8, s[22:23] offset:40
	v_dual_mov_b32 v13, s1 :: v_dual_mov_b32 v12, s2
	s_wait_loadcnt 0x0
	v_and_b32_e32 v1, s1, v1
	v_and_b32_e32 v0, s2, v0
	s_delay_alu instid0(VALU_DEP_2) | instskip(NEXT) | instid1(VALU_DEP_2)
	v_mul_lo_u32 v1, 24, v1
	v_mul_lo_u32 v2, 0, v0
	v_mul_hi_u32 v3, 24, v0
	v_mul_lo_u32 v0, 24, v0
	s_delay_alu instid0(VALU_DEP_3) | instskip(NEXT) | instid1(VALU_DEP_2)
	v_add_nc_u32_e32 v1, v1, v2
	v_add_co_u32 v4, vcc_lo, v6, v0
	s_delay_alu instid0(VALU_DEP_2) | instskip(SKIP_1) | instid1(VALU_DEP_1)
	v_add_nc_u32_e32 v1, v1, v3
	s_wait_alu 0xfffd
	v_add_co_ci_u32_e32 v5, vcc_lo, v7, v1, vcc_lo
	global_store_b64 v[4:5], v[14:15], off
	global_wb scope:SCOPE_SYS
	s_wait_storecnt 0x0
	global_atomic_cmpswap_b64 v[2:3], v8, v[12:15], s[22:23] offset:32 th:TH_ATOMIC_RETURN scope:SCOPE_SYS
	s_wait_loadcnt 0x0
	v_cmpx_ne_u64_e64 v[2:3], v[14:15]
	s_cbranch_execz .LBB3_1674
; %bb.1672:
	s_mov_b32 s5, 0
.LBB3_1673:                             ; =>This Inner Loop Header: Depth=1
	v_dual_mov_b32 v0, s2 :: v_dual_mov_b32 v1, s1
	s_sleep 1
	global_store_b64 v[4:5], v[2:3], off
	global_wb scope:SCOPE_SYS
	s_wait_storecnt 0x0
	global_atomic_cmpswap_b64 v[0:1], v8, v[0:3], s[22:23] offset:32 th:TH_ATOMIC_RETURN scope:SCOPE_SYS
	s_wait_loadcnt 0x0
	v_cmp_eq_u64_e32 vcc_lo, v[0:1], v[2:3]
	v_dual_mov_b32 v3, v1 :: v_dual_mov_b32 v2, v0
	s_wait_alu 0xfffe
	s_or_b32 s5, vcc_lo, s5
	s_wait_alu 0xfffe
	s_and_not1_b32 exec_lo, exec_lo, s5
	s_cbranch_execnz .LBB3_1673
.LBB3_1674:
	s_wait_alu 0xfffe
	s_or_b32 exec_lo, exec_lo, s4
	v_mov_b32_e32 v3, 0
	s_mov_b32 s5, exec_lo
	s_mov_b32 s4, exec_lo
	s_wait_alu 0xfffe
	v_mbcnt_lo_u32_b32 v2, s5, 0
	global_load_b64 v[0:1], v3, s[22:23] offset:16
	v_cmpx_eq_u32_e32 0, v2
	s_cbranch_execz .LBB3_1676
; %bb.1675:
	s_bcnt1_i32_b32 s5, s5
	s_wait_alu 0xfffe
	v_mov_b32_e32 v2, s5
	global_wb scope:SCOPE_SYS
	s_wait_loadcnt 0x0
	global_atomic_add_u64 v[0:1], v[2:3], off offset:8 scope:SCOPE_SYS
.LBB3_1676:
	s_or_b32 exec_lo, exec_lo, s4
	s_wait_loadcnt 0x0
	global_load_b64 v[2:3], v[0:1], off offset:16
	s_wait_loadcnt 0x0
	v_cmp_eq_u64_e32 vcc_lo, 0, v[2:3]
	s_cbranch_vccnz .LBB3_1678
; %bb.1677:
	global_load_b32 v0, v[0:1], off offset:24
	s_wait_loadcnt 0x0
	v_dual_mov_b32 v1, 0 :: v_dual_and_b32 v4, 0xffffff, v0
	global_wb scope:SCOPE_SYS
	s_wait_storecnt 0x0
	global_store_b64 v[2:3], v[0:1], off scope:SCOPE_SYS
	v_readfirstlane_b32 m0, v4
	s_sendmsg sendmsg(MSG_INTERRUPT)
.LBB3_1678:
	s_wait_alu 0xfffe
	s_or_b32 exec_lo, exec_lo, s3
	s_branch .LBB3_1682
.LBB3_1679:                             ;   in Loop: Header=BB3_1682 Depth=1
	s_wait_alu 0xfffe
	s_or_b32 exec_lo, exec_lo, s3
	s_delay_alu instid0(VALU_DEP_1) | instskip(NEXT) | instid1(VALU_DEP_1)
	v_readfirstlane_b32 s3, v0
	s_cmp_eq_u32 s3, 0
	s_cbranch_scc1 .LBB3_1681
; %bb.1680:                             ;   in Loop: Header=BB3_1682 Depth=1
	s_sleep 1
	s_cbranch_execnz .LBB3_1682
	s_branch .LBB3_1684
.LBB3_1681:
	s_branch .LBB3_1684
.LBB3_1682:                             ; =>This Inner Loop Header: Depth=1
	v_mov_b32_e32 v0, 1
	s_and_saveexec_b32 s3, s0
	s_cbranch_execz .LBB3_1679
; %bb.1683:                             ;   in Loop: Header=BB3_1682 Depth=1
	global_load_b32 v0, v[10:11], off offset:20 scope:SCOPE_SYS
	s_wait_loadcnt 0x0
	global_inv scope:SCOPE_SYS
	v_and_b32_e32 v0, 1, v0
	s_branch .LBB3_1679
.LBB3_1684:
	s_and_saveexec_b32 s3, s0
	s_cbranch_execz .LBB3_1688
; %bb.1685:
	v_mov_b32_e32 v6, 0
	s_clause 0x2
	global_load_b64 v[2:3], v6, s[22:23] offset:40
	global_load_b64 v[7:8], v6, s[22:23] offset:24 scope:SCOPE_SYS
	global_load_b64 v[4:5], v6, s[22:23]
	s_wait_loadcnt 0x2
	v_add_co_u32 v9, vcc_lo, v2, 1
	s_wait_alu 0xfffd
	v_add_co_ci_u32_e32 v10, vcc_lo, 0, v3, vcc_lo
	s_delay_alu instid0(VALU_DEP_2) | instskip(SKIP_1) | instid1(VALU_DEP_2)
	v_add_co_u32 v0, vcc_lo, v9, s2
	s_wait_alu 0xfffd
	v_add_co_ci_u32_e32 v1, vcc_lo, s1, v10, vcc_lo
	s_delay_alu instid0(VALU_DEP_1) | instskip(SKIP_2) | instid1(VALU_DEP_1)
	v_cmp_eq_u64_e32 vcc_lo, 0, v[0:1]
	s_wait_alu 0xfffd
	v_dual_cndmask_b32 v1, v1, v10 :: v_dual_cndmask_b32 v0, v0, v9
	v_and_b32_e32 v3, v1, v3
	s_delay_alu instid0(VALU_DEP_2) | instskip(NEXT) | instid1(VALU_DEP_2)
	v_and_b32_e32 v2, v0, v2
	v_mul_lo_u32 v3, 24, v3
	s_delay_alu instid0(VALU_DEP_2) | instskip(SKIP_2) | instid1(VALU_DEP_3)
	v_mul_lo_u32 v9, 0, v2
	v_mul_hi_u32 v10, 24, v2
	v_mul_lo_u32 v2, 24, v2
	v_add_nc_u32_e32 v3, v3, v9
	s_wait_loadcnt 0x0
	s_delay_alu instid0(VALU_DEP_2) | instskip(SKIP_1) | instid1(VALU_DEP_3)
	v_add_co_u32 v4, vcc_lo, v4, v2
	v_mov_b32_e32 v2, v7
	v_add_nc_u32_e32 v3, v3, v10
	s_wait_alu 0xfffd
	s_delay_alu instid0(VALU_DEP_1)
	v_add_co_ci_u32_e32 v5, vcc_lo, v5, v3, vcc_lo
	v_mov_b32_e32 v3, v8
	global_store_b64 v[4:5], v[7:8], off
	global_wb scope:SCOPE_SYS
	s_wait_storecnt 0x0
	global_atomic_cmpswap_b64 v[2:3], v6, v[0:3], s[22:23] offset:24 th:TH_ATOMIC_RETURN scope:SCOPE_SYS
	s_wait_loadcnt 0x0
	v_cmp_ne_u64_e32 vcc_lo, v[2:3], v[7:8]
	s_and_b32 exec_lo, exec_lo, vcc_lo
	s_cbranch_execz .LBB3_1688
; %bb.1686:
	s_mov_b32 s0, 0
.LBB3_1687:                             ; =>This Inner Loop Header: Depth=1
	s_sleep 1
	global_store_b64 v[4:5], v[2:3], off
	global_wb scope:SCOPE_SYS
	s_wait_storecnt 0x0
	global_atomic_cmpswap_b64 v[7:8], v6, v[0:3], s[22:23] offset:24 th:TH_ATOMIC_RETURN scope:SCOPE_SYS
	s_wait_loadcnt 0x0
	v_cmp_eq_u64_e32 vcc_lo, v[7:8], v[2:3]
	v_dual_mov_b32 v2, v7 :: v_dual_mov_b32 v3, v8
	s_wait_alu 0xfffe
	s_or_b32 s0, vcc_lo, s0
	s_wait_alu 0xfffe
	s_and_not1_b32 exec_lo, exec_lo, s0
	s_cbranch_execnz .LBB3_1687
.LBB3_1688:
	s_wait_alu 0xfffe
	s_or_b32 exec_lo, exec_lo, s3
	flat_load_b64 v[0:1], v[37:38]
	s_wait_loadcnt_dscnt 0x0
	flat_load_b32 v2, v[0:1]
	s_wait_loadcnt_dscnt 0x0
	v_add_nc_u32_e32 v2, 1, v2
	flat_store_b32 v[0:1], v2
.LBB3_1689:
	s_wait_alu 0xfffe
	s_or_b32 exec_lo, exec_lo, s25
	s_getpc_b64 s[0:1]
	s_wait_alu 0xfffe
	s_sext_i32_i16 s1, s1
	s_add_co_u32 s0, s0, _ZN8migraphx4test4failEv@rel32@lo+12
	s_wait_alu 0xfffe
	s_add_co_ci_u32 s1, s1, _ZN8migraphx4test4failEv@rel32@hi+24
	s_wait_alu 0xfffc
	s_swappc_b64 s[30:31], s[0:1]
	; divergent unreachable
.LBB3_1690:
	s_wait_alu 0xfffe
	s_or_b32 exec_lo, exec_lo, s24
	v_readlane_b32 s30, v40, 0
	v_readlane_b32 s31, v40, 1
	;; [unrolled: 1-line block ×3, first 2 shown]
	s_or_saveexec_b32 s1, -1
	scratch_load_b32 v40, off, s33          ; 4-byte Folded Reload
	s_wait_alu 0xfffe
	s_mov_b32 exec_lo, s1
	s_add_co_i32 s32, s32, -16
	s_mov_b32 s33, s0
	s_wait_loadcnt 0x0
	s_wait_alu 0xfffe
	s_setpc_b64 s[30:31]
.Lfunc_end3:
	.size	_ZN8migraphx4test12test_manager6failedINS0_14lhs_expressionIbNS0_3nopEEEPFvvEEEvRKT_PKcSC_SC_iT0_, .Lfunc_end3-_ZN8migraphx4test12test_manager6failedINS0_14lhs_expressionIbNS0_3nopEEEPFvvEEEvRKT_PKcSC_SC_iT0_
                                        ; -- End function
	.section	.AMDGPU.csdata,"",@progbits
; Function info:
; codeLenInByte = 81184
; NumSgprs: 38
; NumVgprs: 52
; ScratchSize: 16
; MemoryBound: 0
	.text
	.p2align	2                               ; -- Begin function _ZN8migraphx4testlsIKNS_13basic_printerIZNS_4coutEvEUlT_E_EEEERS3_S7_RKNS0_10expressionINS0_14lhs_expressionIRNS_5arrayIiLj3EEENS0_3nopEEESC_NS0_18greater_than_equalEEE
	.type	_ZN8migraphx4testlsIKNS_13basic_printerIZNS_4coutEvEUlT_E_EEEERS3_S7_RKNS0_10expressionINS0_14lhs_expressionIRNS_5arrayIiLj3EEENS0_3nopEEESC_NS0_18greater_than_equalEEE,@function
_ZN8migraphx4testlsIKNS_13basic_printerIZNS_4coutEvEUlT_E_EEEERS3_S7_RKNS0_10expressionINS0_14lhs_expressionIRNS_5arrayIiLj3EEENS0_3nopEEESC_NS0_18greater_than_equalEEE: ; @_ZN8migraphx4testlsIKNS_13basic_printerIZNS_4coutEvEUlT_E_EEEERS3_S7_RKNS0_10expressionINS0_14lhs_expressionIRNS_5arrayIiLj3EEENS0_3nopEEESC_NS0_18greater_than_equalEEE
; %bb.0:
	s_wait_loadcnt_dscnt 0x0
	s_wait_expcnt 0x0
	s_wait_samplecnt 0x0
	s_wait_bvhcnt 0x0
	s_wait_kmcnt 0x0
	s_mov_b32 s29, s33
	s_mov_b32 s33, s32
	s_or_saveexec_b32 s0, -1
	scratch_store_b32 off, v40, s33         ; 4-byte Folded Spill
	s_wait_alu 0xfffe
	s_mov_b32 exec_lo, s0
	v_writelane_b32 v40, s30, 0
	s_add_co_i32 s32, s32, 16
	v_writelane_b32 v40, s31, 1
	v_dual_mov_b32 v38, v1 :: v_dual_mov_b32 v37, v0
	v_mbcnt_lo_u32_b32 v39, -1, 0
	v_mov_b32_e32 v49, 0
	s_mov_b32 s27, 0
	s_getpc_b64 s[0:1]
	s_wait_alu 0xfffe
	s_sext_i32_i16 s1, s1
	s_add_co_u32 s0, s0, .str.9@rel32@lo+12
	s_wait_alu 0xfffe
	s_add_co_ci_u32 s1, s1, .str.9@rel32@hi+24
	flat_load_b64 v[68:69], v[37:38]
	v_lshlrev_b32_e32 v70, 6, v39
	s_mov_b32 s23, s27
	s_mov_b32 s20, s27
	;; [unrolled: 1-line block ×4, first 2 shown]
	s_wait_alu 0xfffe
	v_dual_mov_b32 v67, s23 :: v_dual_mov_b32 v66, s22
	v_dual_mov_b32 v52, 33 :: v_dual_mov_b32 v53, v49
	;; [unrolled: 1-line block ×5, first 2 shown]
	s_cmp_lg_u64 s[0:1], 0
	s_mov_b64 s[18:19], s[8:9]
	s_cselect_b32 s28, -1, 0
	s_mov_b32 s26, s27
	s_branch .LBB4_2
.LBB4_1:                                ;   in Loop: Header=BB4_2 Depth=1
	s_wait_alu 0xfffe
	s_or_b32 exec_lo, exec_lo, s3
	s_add_co_i32 s26, s26, 1
	s_wait_alu 0xfffe
	s_cmp_lg_u32 s26, 3
	s_cbranch_scc0 .LBB4_163
.LBB4_2:                                ; =>This Loop Header: Depth=1
                                        ;     Child Loop BB4_7 Depth 2
                                        ;     Child Loop BB4_15 Depth 2
	;; [unrolled: 1-line block ×9, first 2 shown]
                                        ;       Child Loop BB4_36 Depth 3
                                        ;       Child Loop BB4_43 Depth 3
	;; [unrolled: 1-line block ×11, first 2 shown]
                                        ;     Child Loop BB4_140 Depth 2
                                        ;     Child Loop BB4_148 Depth 2
	;; [unrolled: 1-line block ×4, first 2 shown]
	s_wait_alu 0xfffe
	s_cmp_eq_u32 s26, 0
	s_cbranch_scc1 .LBB4_4
; %bb.3:                                ;   in Loop: Header=BB4_2 Depth=1
	s_getpc_b64 s[0:1]
	s_wait_alu 0xfffe
	s_sext_i32_i16 s1, s1
	s_add_co_u32 s0, s0, .str.13@rel32@lo+12
	s_wait_alu 0xfffe
	s_add_co_ci_u32 s1, s1, .str.13@rel32@hi+24
	s_wait_alu 0xfffe
	v_dual_mov_b32 v0, s0 :: v_dual_mov_b32 v1, s1
	s_mov_b64 s[8:9], s[18:19]
	s_getpc_b64 s[2:3]
	s_wait_alu 0xfffe
	s_sext_i32_i16 s3, s3
	s_add_co_u32 s2, s2, _ZNK8migraphx13basic_printerIZNS_4coutEvEUlT_E_ElsEPKc@rel32@lo+12
	s_wait_alu 0xfffe
	s_add_co_ci_u32 s3, s3, _ZNK8migraphx13basic_printerIZNS_4coutEvEUlT_E_ElsEPKc@rel32@hi+24
	s_wait_alu 0xfffc
	s_swappc_b64 s[30:31], s[2:3]
.LBB4_4:                                ;   in Loop: Header=BB4_2 Depth=1
	s_lshl_b64 s[0:1], s[26:27], 2
	s_load_b64 s[24:25], s[18:19], 0x50
	s_wait_loadcnt_dscnt 0x0
	v_add_co_u32 v0, vcc_lo, v68, s0
	s_wait_alu 0xfffd
	v_add_co_ci_u32_e32 v1, vcc_lo, s1, v69, vcc_lo
	v_readfirstlane_b32 s0, v39
	v_mov_b32_e32 v4, 0
	v_mov_b32_e32 v5, 0
	flat_load_b32 v26, v[0:1]
	s_wait_alu 0xf1ff
	v_cmp_eq_u32_e64 s0, s0, v39
	s_delay_alu instid0(VALU_DEP_1)
	s_and_saveexec_b32 s1, s0
	s_cbranch_execz .LBB4_10
; %bb.5:                                ;   in Loop: Header=BB4_2 Depth=1
	s_wait_kmcnt 0x0
	global_load_b64 v[2:3], v49, s[24:25] offset:24 scope:SCOPE_SYS
	s_wait_loadcnt 0x0
	global_inv scope:SCOPE_SYS
	s_clause 0x1
	global_load_b64 v[0:1], v49, s[24:25] offset:40
	global_load_b64 v[4:5], v49, s[24:25]
	s_mov_b32 s2, exec_lo
	s_wait_loadcnt 0x1
	v_and_b32_e32 v1, v1, v3
	v_and_b32_e32 v0, v0, v2
	s_delay_alu instid0(VALU_DEP_2) | instskip(NEXT) | instid1(VALU_DEP_2)
	v_mul_lo_u32 v1, 24, v1
	v_mul_lo_u32 v6, 0, v0
	v_mul_hi_u32 v7, 24, v0
	v_mul_lo_u32 v0, 24, v0
	s_delay_alu instid0(VALU_DEP_3) | instskip(SKIP_1) | instid1(VALU_DEP_2)
	v_add_nc_u32_e32 v1, v1, v6
	s_wait_loadcnt 0x0
	v_add_co_u32 v0, vcc_lo, v4, v0
	s_delay_alu instid0(VALU_DEP_2) | instskip(SKIP_1) | instid1(VALU_DEP_1)
	v_add_nc_u32_e32 v1, v1, v7
	s_wait_alu 0xfffd
	v_add_co_ci_u32_e32 v1, vcc_lo, v5, v1, vcc_lo
	global_load_b64 v[0:1], v[0:1], off scope:SCOPE_SYS
	s_wait_loadcnt 0x0
	global_atomic_cmpswap_b64 v[4:5], v49, v[0:3], s[24:25] offset:24 th:TH_ATOMIC_RETURN scope:SCOPE_SYS
	s_wait_loadcnt 0x0
	global_inv scope:SCOPE_SYS
	v_cmpx_ne_u64_e64 v[4:5], v[2:3]
	s_cbranch_execz .LBB4_9
; %bb.6:                                ;   in Loop: Header=BB4_2 Depth=1
	s_mov_b32 s3, 0
.LBB4_7:                                ;   Parent Loop BB4_2 Depth=1
                                        ; =>  This Inner Loop Header: Depth=2
	s_sleep 1
	s_clause 0x1
	global_load_b64 v[0:1], v49, s[24:25] offset:40
	global_load_b64 v[6:7], v49, s[24:25]
	v_dual_mov_b32 v2, v4 :: v_dual_mov_b32 v3, v5
	s_wait_loadcnt 0x1
	s_delay_alu instid0(VALU_DEP_1) | instskip(NEXT) | instid1(VALU_DEP_2)
	v_and_b32_e32 v0, v0, v2
	v_and_b32_e32 v1, v1, v3
	s_wait_loadcnt 0x0
	s_delay_alu instid0(VALU_DEP_2) | instskip(NEXT) | instid1(VALU_DEP_1)
	v_mad_co_u64_u32 v[4:5], null, v0, 24, v[6:7]
	v_mov_b32_e32 v0, v5
	s_delay_alu instid0(VALU_DEP_1) | instskip(NEXT) | instid1(VALU_DEP_1)
	v_mad_co_u64_u32 v[0:1], null, v1, 24, v[0:1]
	v_mov_b32_e32 v5, v0
	global_load_b64 v[0:1], v[4:5], off scope:SCOPE_SYS
	s_wait_loadcnt 0x0
	global_atomic_cmpswap_b64 v[4:5], v49, v[0:3], s[24:25] offset:24 th:TH_ATOMIC_RETURN scope:SCOPE_SYS
	s_wait_loadcnt 0x0
	global_inv scope:SCOPE_SYS
	v_cmp_eq_u64_e32 vcc_lo, v[4:5], v[2:3]
	s_wait_alu 0xfffe
	s_or_b32 s3, vcc_lo, s3
	s_wait_alu 0xfffe
	s_and_not1_b32 exec_lo, exec_lo, s3
	s_cbranch_execnz .LBB4_7
; %bb.8:                                ;   in Loop: Header=BB4_2 Depth=1
	s_or_b32 exec_lo, exec_lo, s3
.LBB4_9:                                ;   in Loop: Header=BB4_2 Depth=1
	s_wait_alu 0xfffe
	s_or_b32 exec_lo, exec_lo, s2
.LBB4_10:                               ;   in Loop: Header=BB4_2 Depth=1
	s_wait_alu 0xfffe
	s_or_b32 exec_lo, exec_lo, s1
	s_wait_kmcnt 0x0
	s_clause 0x1
	global_load_b64 v[6:7], v49, s[24:25] offset:40
	global_load_b128 v[0:3], v49, s[24:25]
	v_readfirstlane_b32 s1, v5
	v_readfirstlane_b32 s2, v4
	s_mov_b32 s3, exec_lo
	s_wait_loadcnt 0x1
	s_wait_alu 0xf1ff
	v_and_b32_e32 v7, s1, v7
	v_and_b32_e32 v6, s2, v6
	s_delay_alu instid0(VALU_DEP_2) | instskip(NEXT) | instid1(VALU_DEP_2)
	v_mul_lo_u32 v4, 24, v7
	v_mul_lo_u32 v5, 0, v6
	v_mul_hi_u32 v8, 24, v6
	v_mul_lo_u32 v9, 24, v6
	s_delay_alu instid0(VALU_DEP_3) | instskip(NEXT) | instid1(VALU_DEP_1)
	v_add_nc_u32_e32 v4, v4, v5
	v_add_nc_u32_e32 v5, v4, v8
	s_wait_loadcnt 0x0
	s_delay_alu instid0(VALU_DEP_3) | instskip(SKIP_1) | instid1(VALU_DEP_2)
	v_add_co_u32 v4, vcc_lo, v0, v9
	s_wait_alu 0xfffd
	v_add_co_ci_u32_e32 v5, vcc_lo, v1, v5, vcc_lo
	s_and_saveexec_b32 s4, s0
	s_cbranch_execz .LBB4_12
; %bb.11:                               ;   in Loop: Header=BB4_2 Depth=1
	s_wait_alu 0xfffe
	v_mov_b32_e32 v48, s3
	global_store_b128 v[4:5], v[48:51], off offset:8
.LBB4_12:                               ;   in Loop: Header=BB4_2 Depth=1
	s_wait_alu 0xfffe
	s_or_b32 exec_lo, exec_lo, s4
	v_lshlrev_b64_e32 v[6:7], 12, v[6:7]
	s_delay_alu instid0(VALU_DEP_1) | instskip(SKIP_1) | instid1(VALU_DEP_2)
	v_add_co_u32 v8, vcc_lo, v2, v6
	s_wait_alu 0xfffd
	v_add_co_ci_u32_e32 v9, vcc_lo, v3, v7, vcc_lo
	s_delay_alu instid0(VALU_DEP_2) | instskip(NEXT) | instid1(VALU_DEP_2)
	v_readfirstlane_b32 s4, v8
	v_readfirstlane_b32 s5, v9
	s_clause 0x3
	global_store_b128 v70, v[52:55], s[4:5]
	global_store_b128 v70, v[64:67], s[4:5] offset:16
	global_store_b128 v70, v[64:67], s[4:5] offset:32
	;; [unrolled: 1-line block ×3, first 2 shown]
	s_and_saveexec_b32 s3, s0
	s_cbranch_execz .LBB4_20
; %bb.13:                               ;   in Loop: Header=BB4_2 Depth=1
	s_clause 0x1
	global_load_b64 v[12:13], v49, s[24:25] offset:32 scope:SCOPE_SYS
	global_load_b64 v[2:3], v49, s[24:25] offset:40
	s_mov_b32 s4, exec_lo
	v_dual_mov_b32 v10, s2 :: v_dual_mov_b32 v11, s1
	s_wait_loadcnt 0x0
	v_and_b32_e32 v3, s1, v3
	v_and_b32_e32 v2, s2, v2
	s_delay_alu instid0(VALU_DEP_2) | instskip(NEXT) | instid1(VALU_DEP_2)
	v_mul_lo_u32 v3, 24, v3
	v_mul_lo_u32 v6, 0, v2
	v_mul_hi_u32 v7, 24, v2
	v_mul_lo_u32 v2, 24, v2
	s_delay_alu instid0(VALU_DEP_3) | instskip(NEXT) | instid1(VALU_DEP_2)
	v_add_nc_u32_e32 v3, v3, v6
	v_add_co_u32 v6, vcc_lo, v0, v2
	s_delay_alu instid0(VALU_DEP_2) | instskip(SKIP_1) | instid1(VALU_DEP_1)
	v_add_nc_u32_e32 v3, v3, v7
	s_wait_alu 0xfffd
	v_add_co_ci_u32_e32 v7, vcc_lo, v1, v3, vcc_lo
	global_store_b64 v[6:7], v[12:13], off
	global_wb scope:SCOPE_SYS
	s_wait_storecnt 0x0
	global_atomic_cmpswap_b64 v[2:3], v49, v[10:13], s[24:25] offset:32 th:TH_ATOMIC_RETURN scope:SCOPE_SYS
	s_wait_loadcnt 0x0
	v_cmpx_ne_u64_e64 v[2:3], v[12:13]
	s_cbranch_execz .LBB4_16
; %bb.14:                               ;   in Loop: Header=BB4_2 Depth=1
	s_mov_b32 s5, 0
.LBB4_15:                               ;   Parent Loop BB4_2 Depth=1
                                        ; =>  This Inner Loop Header: Depth=2
	v_dual_mov_b32 v0, s2 :: v_dual_mov_b32 v1, s1
	s_sleep 1
	global_store_b64 v[6:7], v[2:3], off
	global_wb scope:SCOPE_SYS
	s_wait_storecnt 0x0
	global_atomic_cmpswap_b64 v[0:1], v49, v[0:3], s[24:25] offset:32 th:TH_ATOMIC_RETURN scope:SCOPE_SYS
	s_wait_loadcnt 0x0
	v_cmp_eq_u64_e32 vcc_lo, v[0:1], v[2:3]
	v_dual_mov_b32 v3, v1 :: v_dual_mov_b32 v2, v0
	s_wait_alu 0xfffe
	s_or_b32 s5, vcc_lo, s5
	s_wait_alu 0xfffe
	s_and_not1_b32 exec_lo, exec_lo, s5
	s_cbranch_execnz .LBB4_15
.LBB4_16:                               ;   in Loop: Header=BB4_2 Depth=1
	s_wait_alu 0xfffe
	s_or_b32 exec_lo, exec_lo, s4
	global_load_b64 v[0:1], v49, s[24:25] offset:16
	s_mov_b32 s5, exec_lo
	s_mov_b32 s4, exec_lo
	s_wait_alu 0xfffe
	v_mbcnt_lo_u32_b32 v2, s5, 0
	s_delay_alu instid0(VALU_DEP_1)
	v_cmpx_eq_u32_e32 0, v2
	s_cbranch_execz .LBB4_18
; %bb.17:                               ;   in Loop: Header=BB4_2 Depth=1
	s_bcnt1_i32_b32 s5, s5
	s_wait_alu 0xfffe
	v_mov_b32_e32 v48, s5
	global_wb scope:SCOPE_SYS
	s_wait_loadcnt 0x0
	global_atomic_add_u64 v[0:1], v[48:49], off offset:8 scope:SCOPE_SYS
.LBB4_18:                               ;   in Loop: Header=BB4_2 Depth=1
	s_or_b32 exec_lo, exec_lo, s4
	s_wait_loadcnt 0x0
	global_load_b64 v[2:3], v[0:1], off offset:16
	s_wait_loadcnt 0x0
	v_cmp_eq_u64_e32 vcc_lo, 0, v[2:3]
	s_cbranch_vccnz .LBB4_20
; %bb.19:                               ;   in Loop: Header=BB4_2 Depth=1
	global_load_b32 v48, v[0:1], off offset:24
	s_wait_loadcnt 0x0
	v_and_b32_e32 v0, 0xffffff, v48
	global_wb scope:SCOPE_SYS
	s_wait_storecnt 0x0
	global_store_b64 v[2:3], v[48:49], off scope:SCOPE_SYS
	v_readfirstlane_b32 m0, v0
	s_sendmsg sendmsg(MSG_INTERRUPT)
.LBB4_20:                               ;   in Loop: Header=BB4_2 Depth=1
	s_wait_alu 0xfffe
	s_or_b32 exec_lo, exec_lo, s3
	v_add_co_u32 v0, vcc_lo, v8, v70
	s_wait_alu 0xfffd
	v_add_co_ci_u32_e32 v1, vcc_lo, 0, v9, vcc_lo
	s_branch .LBB4_24
.LBB4_21:                               ;   in Loop: Header=BB4_24 Depth=2
	s_wait_alu 0xfffe
	s_or_b32 exec_lo, exec_lo, s3
	s_delay_alu instid0(VALU_DEP_1) | instskip(NEXT) | instid1(VALU_DEP_1)
	v_readfirstlane_b32 s3, v2
	s_cmp_eq_u32 s3, 0
	s_cbranch_scc1 .LBB4_23
; %bb.22:                               ;   in Loop: Header=BB4_24 Depth=2
	s_sleep 1
	s_cbranch_execnz .LBB4_24
	s_branch .LBB4_26
.LBB4_23:                               ;   in Loop: Header=BB4_2 Depth=1
	s_branch .LBB4_26
.LBB4_24:                               ;   Parent Loop BB4_2 Depth=1
                                        ; =>  This Inner Loop Header: Depth=2
	v_mov_b32_e32 v2, 1
	s_and_saveexec_b32 s3, s0
	s_cbranch_execz .LBB4_21
; %bb.25:                               ;   in Loop: Header=BB4_24 Depth=2
	global_load_b32 v2, v[4:5], off offset:20 scope:SCOPE_SYS
	s_wait_loadcnt 0x0
	global_inv scope:SCOPE_SYS
	v_and_b32_e32 v2, 1, v2
	s_branch .LBB4_21
.LBB4_26:                               ;   in Loop: Header=BB4_2 Depth=1
	global_load_b64 v[0:1], v[0:1], off
	s_and_saveexec_b32 s3, s0
	s_cbranch_execz .LBB4_30
; %bb.27:                               ;   in Loop: Header=BB4_2 Depth=1
	s_clause 0x2
	global_load_b64 v[4:5], v49, s[24:25] offset:40
	global_load_b64 v[8:9], v49, s[24:25] offset:24 scope:SCOPE_SYS
	global_load_b64 v[6:7], v49, s[24:25]
	s_wait_loadcnt 0x2
	v_add_co_u32 v10, vcc_lo, v4, 1
	s_wait_alu 0xfffd
	v_add_co_ci_u32_e32 v11, vcc_lo, 0, v5, vcc_lo
	s_delay_alu instid0(VALU_DEP_2) | instskip(SKIP_1) | instid1(VALU_DEP_2)
	v_add_co_u32 v2, vcc_lo, v10, s2
	s_wait_alu 0xfffd
	v_add_co_ci_u32_e32 v3, vcc_lo, s1, v11, vcc_lo
	s_delay_alu instid0(VALU_DEP_1) | instskip(SKIP_2) | instid1(VALU_DEP_1)
	v_cmp_eq_u64_e32 vcc_lo, 0, v[2:3]
	s_wait_alu 0xfffd
	v_dual_cndmask_b32 v3, v3, v11 :: v_dual_cndmask_b32 v2, v2, v10
	v_and_b32_e32 v5, v3, v5
	s_delay_alu instid0(VALU_DEP_2) | instskip(NEXT) | instid1(VALU_DEP_1)
	v_and_b32_e32 v4, v2, v4
	v_mul_lo_u32 v10, 0, v4
	v_mul_hi_u32 v11, 24, v4
	v_mul_lo_u32 v4, 24, v4
	s_wait_loadcnt 0x0
	s_delay_alu instid0(VALU_DEP_1) | instskip(SKIP_2) | instid1(VALU_DEP_1)
	v_add_co_u32 v6, vcc_lo, v6, v4
	v_mov_b32_e32 v4, v8
	v_mul_lo_u32 v5, 24, v5
	v_add_nc_u32_e32 v5, v5, v10
	s_delay_alu instid0(VALU_DEP_1) | instskip(SKIP_1) | instid1(VALU_DEP_1)
	v_add_nc_u32_e32 v5, v5, v11
	s_wait_alu 0xfffd
	v_add_co_ci_u32_e32 v7, vcc_lo, v7, v5, vcc_lo
	v_mov_b32_e32 v5, v9
	global_store_b64 v[6:7], v[8:9], off
	global_wb scope:SCOPE_SYS
	s_wait_storecnt 0x0
	global_atomic_cmpswap_b64 v[4:5], v49, v[2:5], s[24:25] offset:24 th:TH_ATOMIC_RETURN scope:SCOPE_SYS
	s_wait_loadcnt 0x0
	v_cmp_ne_u64_e32 vcc_lo, v[4:5], v[8:9]
	s_and_b32 exec_lo, exec_lo, vcc_lo
	s_cbranch_execz .LBB4_30
; %bb.28:                               ;   in Loop: Header=BB4_2 Depth=1
	s_mov_b32 s0, 0
.LBB4_29:                               ;   Parent Loop BB4_2 Depth=1
                                        ; =>  This Inner Loop Header: Depth=2
	s_sleep 1
	global_store_b64 v[6:7], v[4:5], off
	global_wb scope:SCOPE_SYS
	s_wait_storecnt 0x0
	global_atomic_cmpswap_b64 v[8:9], v49, v[2:5], s[24:25] offset:24 th:TH_ATOMIC_RETURN scope:SCOPE_SYS
	s_wait_loadcnt 0x0
	v_cmp_eq_u64_e32 vcc_lo, v[8:9], v[4:5]
	v_dual_mov_b32 v4, v8 :: v_dual_mov_b32 v5, v9
	s_wait_alu 0xfffe
	s_or_b32 s0, vcc_lo, s0
	s_wait_alu 0xfffe
	s_and_not1_b32 exec_lo, exec_lo, s0
	s_cbranch_execnz .LBB4_29
.LBB4_30:                               ;   in Loop: Header=BB4_2 Depth=1
	s_wait_alu 0xfffe
	s_or_b32 exec_lo, exec_lo, s3
	s_delay_alu instid0(SALU_CYCLE_1)
	s_and_b32 vcc_lo, exec_lo, s28
	s_wait_alu 0xfffe
	s_cbranch_vccz .LBB4_109
; %bb.31:                               ;   in Loop: Header=BB4_2 Depth=1
	s_wait_loadcnt 0x0
	v_and_b32_e32 v27, 2, v0
	v_dual_mov_b32 v3, v1 :: v_dual_and_b32 v2, -3, v0
	s_mov_b64 s[4:5], 4
	s_getpc_b64 s[2:3]
	s_wait_alu 0xfffe
	s_sext_i32_i16 s3, s3
	s_add_co_u32 s2, s2, .str.9@rel32@lo+12
	s_wait_alu 0xfffe
	s_add_co_ci_u32 s3, s3, .str.9@rel32@hi+24
	s_branch .LBB4_33
.LBB4_32:                               ;   in Loop: Header=BB4_33 Depth=2
	s_wait_alu 0xfffe
	s_or_b32 exec_lo, exec_lo, s9
	s_sub_nc_u64 s[4:5], s[4:5], s[6:7]
	s_add_nc_u64 s[2:3], s[2:3], s[6:7]
	s_wait_alu 0xfffe
	s_cmp_lg_u64 s[4:5], 0
	s_cbranch_scc0 .LBB4_108
.LBB4_33:                               ;   Parent Loop BB4_2 Depth=1
                                        ; =>  This Loop Header: Depth=2
                                        ;       Child Loop BB4_36 Depth 3
                                        ;       Child Loop BB4_43 Depth 3
	;; [unrolled: 1-line block ×11, first 2 shown]
	v_cmp_lt_u64_e64 s0, s[4:5], 56
	v_cmp_gt_u64_e64 s1, s[4:5], 7
	s_delay_alu instid0(VALU_DEP_2) | instskip(SKIP_2) | instid1(VALU_DEP_1)
	s_and_b32 s0, s0, exec_lo
	s_cselect_b32 s7, s5, 0
	s_cselect_b32 s6, s4, 56
	s_and_b32 vcc_lo, exec_lo, s1
	s_wait_alu 0xfffe
	s_cbranch_vccnz .LBB4_38
; %bb.34:                               ;   in Loop: Header=BB4_33 Depth=2
	s_wait_loadcnt 0x0
	v_mov_b32_e32 v4, 0
	v_mov_b32_e32 v5, 0
	s_cmp_eq_u64 s[4:5], 0
	s_mov_b64 s[0:1], 0
	s_cbranch_scc1 .LBB4_37
; %bb.35:                               ;   in Loop: Header=BB4_33 Depth=2
	v_mov_b32_e32 v4, 0
	v_mov_b32_e32 v5, 0
	s_mov_b64 s[8:9], 0
.LBB4_36:                               ;   Parent Loop BB4_2 Depth=1
                                        ;     Parent Loop BB4_33 Depth=2
                                        ; =>    This Inner Loop Header: Depth=3
	s_wait_alu 0xfffe
	s_add_nc_u64 s[10:11], s[2:3], s[8:9]
	s_add_nc_u64 s[8:9], s[8:9], 1
	global_load_u8 v6, v49, s[10:11]
	s_wait_alu 0xfffe
	s_cmp_lg_u32 s6, s8
	s_wait_loadcnt 0x0
	v_and_b32_e32 v48, 0xffff, v6
	s_delay_alu instid0(VALU_DEP_1) | instskip(SKIP_1) | instid1(VALU_DEP_1)
	v_lshlrev_b64_e32 v[6:7], s0, v[48:49]
	s_add_nc_u64 s[0:1], s[0:1], 8
	v_or_b32_e32 v4, v6, v4
	s_delay_alu instid0(VALU_DEP_2)
	v_or_b32_e32 v5, v7, v5
	s_cbranch_scc1 .LBB4_36
.LBB4_37:                               ;   in Loop: Header=BB4_33 Depth=2
	s_mov_b32 s12, 0
	s_mov_b64 s[0:1], s[2:3]
	s_cbranch_execz .LBB4_39
	s_branch .LBB4_40
.LBB4_38:                               ;   in Loop: Header=BB4_33 Depth=2
                                        ; implicit-def: $vgpr4_vgpr5
                                        ; implicit-def: $sgpr12
	s_mov_b64 s[0:1], s[2:3]
.LBB4_39:                               ;   in Loop: Header=BB4_33 Depth=2
	global_load_b64 v[4:5], v49, s[2:3]
	s_add_co_i32 s12, s6, -8
	s_add_nc_u64 s[0:1], s[2:3], 8
.LBB4_40:                               ;   in Loop: Header=BB4_33 Depth=2
	s_wait_alu 0xfffe
	s_cmp_gt_u32 s12, 7
	s_cbranch_scc1 .LBB4_45
; %bb.41:                               ;   in Loop: Header=BB4_33 Depth=2
	v_mov_b32_e32 v6, 0
	v_mov_b32_e32 v7, 0
	s_cmp_eq_u32 s12, 0
	s_cbranch_scc1 .LBB4_44
; %bb.42:                               ;   in Loop: Header=BB4_33 Depth=2
	s_mov_b64 s[8:9], 0
	s_mov_b64 s[10:11], 0
.LBB4_43:                               ;   Parent Loop BB4_2 Depth=1
                                        ;     Parent Loop BB4_33 Depth=2
                                        ; =>    This Inner Loop Header: Depth=3
	s_wait_alu 0xfffe
	s_add_nc_u64 s[14:15], s[0:1], s[10:11]
	s_add_nc_u64 s[10:11], s[10:11], 1
	global_load_u8 v8, v49, s[14:15]
	s_wait_alu 0xfffe
	s_cmp_lg_u32 s12, s10
	s_wait_loadcnt 0x0
	v_and_b32_e32 v48, 0xffff, v8
	s_delay_alu instid0(VALU_DEP_1) | instskip(SKIP_1) | instid1(VALU_DEP_1)
	v_lshlrev_b64_e32 v[8:9], s8, v[48:49]
	s_add_nc_u64 s[8:9], s[8:9], 8
	v_or_b32_e32 v6, v8, v6
	s_delay_alu instid0(VALU_DEP_2)
	v_or_b32_e32 v7, v9, v7
	s_cbranch_scc1 .LBB4_43
.LBB4_44:                               ;   in Loop: Header=BB4_33 Depth=2
	s_mov_b32 s13, 0
	s_cbranch_execz .LBB4_46
	s_branch .LBB4_47
.LBB4_45:                               ;   in Loop: Header=BB4_33 Depth=2
                                        ; implicit-def: $vgpr6_vgpr7
                                        ; implicit-def: $sgpr13
.LBB4_46:                               ;   in Loop: Header=BB4_33 Depth=2
	global_load_b64 v[6:7], v49, s[0:1]
	s_add_co_i32 s13, s12, -8
	s_add_nc_u64 s[0:1], s[0:1], 8
.LBB4_47:                               ;   in Loop: Header=BB4_33 Depth=2
	s_wait_alu 0xfffe
	s_cmp_gt_u32 s13, 7
	s_cbranch_scc1 .LBB4_52
; %bb.48:                               ;   in Loop: Header=BB4_33 Depth=2
	v_mov_b32_e32 v8, 0
	v_mov_b32_e32 v9, 0
	s_cmp_eq_u32 s13, 0
	s_cbranch_scc1 .LBB4_51
; %bb.49:                               ;   in Loop: Header=BB4_33 Depth=2
	s_mov_b64 s[8:9], 0
	s_mov_b64 s[10:11], 0
.LBB4_50:                               ;   Parent Loop BB4_2 Depth=1
                                        ;     Parent Loop BB4_33 Depth=2
                                        ; =>    This Inner Loop Header: Depth=3
	s_wait_alu 0xfffe
	s_add_nc_u64 s[14:15], s[0:1], s[10:11]
	s_add_nc_u64 s[10:11], s[10:11], 1
	global_load_u8 v10, v49, s[14:15]
	s_wait_alu 0xfffe
	s_cmp_lg_u32 s13, s10
	s_wait_loadcnt 0x0
	v_and_b32_e32 v48, 0xffff, v10
	s_delay_alu instid0(VALU_DEP_1) | instskip(SKIP_1) | instid1(VALU_DEP_1)
	v_lshlrev_b64_e32 v[10:11], s8, v[48:49]
	s_add_nc_u64 s[8:9], s[8:9], 8
	v_or_b32_e32 v8, v10, v8
	s_delay_alu instid0(VALU_DEP_2)
	v_or_b32_e32 v9, v11, v9
	s_cbranch_scc1 .LBB4_50
.LBB4_51:                               ;   in Loop: Header=BB4_33 Depth=2
	s_mov_b32 s12, 0
	s_cbranch_execz .LBB4_53
	s_branch .LBB4_54
.LBB4_52:                               ;   in Loop: Header=BB4_33 Depth=2
                                        ; implicit-def: $sgpr12
.LBB4_53:                               ;   in Loop: Header=BB4_33 Depth=2
	global_load_b64 v[8:9], v49, s[0:1]
	s_add_co_i32 s12, s13, -8
	s_add_nc_u64 s[0:1], s[0:1], 8
.LBB4_54:                               ;   in Loop: Header=BB4_33 Depth=2
	s_wait_alu 0xfffe
	s_cmp_gt_u32 s12, 7
	s_cbranch_scc1 .LBB4_59
; %bb.55:                               ;   in Loop: Header=BB4_33 Depth=2
	v_mov_b32_e32 v10, 0
	v_mov_b32_e32 v11, 0
	s_cmp_eq_u32 s12, 0
	s_cbranch_scc1 .LBB4_58
; %bb.56:                               ;   in Loop: Header=BB4_33 Depth=2
	s_mov_b64 s[8:9], 0
	s_mov_b64 s[10:11], 0
.LBB4_57:                               ;   Parent Loop BB4_2 Depth=1
                                        ;     Parent Loop BB4_33 Depth=2
                                        ; =>    This Inner Loop Header: Depth=3
	s_wait_alu 0xfffe
	s_add_nc_u64 s[14:15], s[0:1], s[10:11]
	s_add_nc_u64 s[10:11], s[10:11], 1
	global_load_u8 v12, v49, s[14:15]
	s_wait_alu 0xfffe
	s_cmp_lg_u32 s12, s10
	s_wait_loadcnt 0x0
	v_and_b32_e32 v48, 0xffff, v12
	s_delay_alu instid0(VALU_DEP_1) | instskip(SKIP_1) | instid1(VALU_DEP_1)
	v_lshlrev_b64_e32 v[12:13], s8, v[48:49]
	s_add_nc_u64 s[8:9], s[8:9], 8
	v_or_b32_e32 v10, v12, v10
	s_delay_alu instid0(VALU_DEP_2)
	v_or_b32_e32 v11, v13, v11
	s_cbranch_scc1 .LBB4_57
.LBB4_58:                               ;   in Loop: Header=BB4_33 Depth=2
	s_mov_b32 s13, 0
	s_cbranch_execz .LBB4_60
	s_branch .LBB4_61
.LBB4_59:                               ;   in Loop: Header=BB4_33 Depth=2
                                        ; implicit-def: $vgpr10_vgpr11
                                        ; implicit-def: $sgpr13
.LBB4_60:                               ;   in Loop: Header=BB4_33 Depth=2
	global_load_b64 v[10:11], v49, s[0:1]
	s_add_co_i32 s13, s12, -8
	s_add_nc_u64 s[0:1], s[0:1], 8
.LBB4_61:                               ;   in Loop: Header=BB4_33 Depth=2
	s_wait_alu 0xfffe
	s_cmp_gt_u32 s13, 7
	s_cbranch_scc1 .LBB4_66
; %bb.62:                               ;   in Loop: Header=BB4_33 Depth=2
	v_mov_b32_e32 v12, 0
	v_mov_b32_e32 v13, 0
	s_cmp_eq_u32 s13, 0
	s_cbranch_scc1 .LBB4_65
; %bb.63:                               ;   in Loop: Header=BB4_33 Depth=2
	s_mov_b64 s[8:9], 0
	s_mov_b64 s[10:11], 0
.LBB4_64:                               ;   Parent Loop BB4_2 Depth=1
                                        ;     Parent Loop BB4_33 Depth=2
                                        ; =>    This Inner Loop Header: Depth=3
	s_wait_alu 0xfffe
	s_add_nc_u64 s[14:15], s[0:1], s[10:11]
	s_add_nc_u64 s[10:11], s[10:11], 1
	global_load_u8 v14, v49, s[14:15]
	s_wait_alu 0xfffe
	s_cmp_lg_u32 s13, s10
	s_wait_loadcnt 0x0
	v_and_b32_e32 v48, 0xffff, v14
	s_delay_alu instid0(VALU_DEP_1) | instskip(SKIP_1) | instid1(VALU_DEP_1)
	v_lshlrev_b64_e32 v[14:15], s8, v[48:49]
	s_add_nc_u64 s[8:9], s[8:9], 8
	v_or_b32_e32 v12, v14, v12
	s_delay_alu instid0(VALU_DEP_2)
	v_or_b32_e32 v13, v15, v13
	s_cbranch_scc1 .LBB4_64
.LBB4_65:                               ;   in Loop: Header=BB4_33 Depth=2
	s_mov_b32 s12, 0
	s_cbranch_execz .LBB4_67
	s_branch .LBB4_68
.LBB4_66:                               ;   in Loop: Header=BB4_33 Depth=2
                                        ; implicit-def: $sgpr12
.LBB4_67:                               ;   in Loop: Header=BB4_33 Depth=2
	global_load_b64 v[12:13], v49, s[0:1]
	s_add_co_i32 s12, s13, -8
	s_add_nc_u64 s[0:1], s[0:1], 8
.LBB4_68:                               ;   in Loop: Header=BB4_33 Depth=2
	s_wait_alu 0xfffe
	s_cmp_gt_u32 s12, 7
	s_cbranch_scc1 .LBB4_73
; %bb.69:                               ;   in Loop: Header=BB4_33 Depth=2
	v_mov_b32_e32 v14, 0
	v_mov_b32_e32 v15, 0
	s_cmp_eq_u32 s12, 0
	s_cbranch_scc1 .LBB4_72
; %bb.70:                               ;   in Loop: Header=BB4_33 Depth=2
	s_mov_b64 s[8:9], 0
	s_mov_b64 s[10:11], 0
.LBB4_71:                               ;   Parent Loop BB4_2 Depth=1
                                        ;     Parent Loop BB4_33 Depth=2
                                        ; =>    This Inner Loop Header: Depth=3
	s_wait_alu 0xfffe
	s_add_nc_u64 s[14:15], s[0:1], s[10:11]
	s_add_nc_u64 s[10:11], s[10:11], 1
	global_load_u8 v16, v49, s[14:15]
	s_wait_alu 0xfffe
	s_cmp_lg_u32 s12, s10
	s_wait_loadcnt 0x0
	v_and_b32_e32 v48, 0xffff, v16
	s_delay_alu instid0(VALU_DEP_1) | instskip(SKIP_1) | instid1(VALU_DEP_1)
	v_lshlrev_b64_e32 v[16:17], s8, v[48:49]
	s_add_nc_u64 s[8:9], s[8:9], 8
	v_or_b32_e32 v14, v16, v14
	s_delay_alu instid0(VALU_DEP_2)
	v_or_b32_e32 v15, v17, v15
	s_cbranch_scc1 .LBB4_71
.LBB4_72:                               ;   in Loop: Header=BB4_33 Depth=2
	s_mov_b32 s13, 0
	s_cbranch_execz .LBB4_74
	s_branch .LBB4_75
.LBB4_73:                               ;   in Loop: Header=BB4_33 Depth=2
                                        ; implicit-def: $vgpr14_vgpr15
                                        ; implicit-def: $sgpr13
.LBB4_74:                               ;   in Loop: Header=BB4_33 Depth=2
	global_load_b64 v[14:15], v49, s[0:1]
	s_add_co_i32 s13, s12, -8
	s_add_nc_u64 s[0:1], s[0:1], 8
.LBB4_75:                               ;   in Loop: Header=BB4_33 Depth=2
	s_wait_alu 0xfffe
	s_cmp_gt_u32 s13, 7
	s_cbranch_scc1 .LBB4_80
; %bb.76:                               ;   in Loop: Header=BB4_33 Depth=2
	v_mov_b32_e32 v16, 0
	v_mov_b32_e32 v17, 0
	s_cmp_eq_u32 s13, 0
	s_cbranch_scc1 .LBB4_79
; %bb.77:                               ;   in Loop: Header=BB4_33 Depth=2
	s_mov_b64 s[8:9], 0
	s_mov_b64 s[10:11], s[0:1]
.LBB4_78:                               ;   Parent Loop BB4_2 Depth=1
                                        ;     Parent Loop BB4_33 Depth=2
                                        ; =>    This Inner Loop Header: Depth=3
	global_load_u8 v18, v49, s[10:11]
	s_add_co_i32 s13, s13, -1
	s_wait_alu 0xfffe
	s_add_nc_u64 s[10:11], s[10:11], 1
	s_cmp_lg_u32 s13, 0
	s_wait_loadcnt 0x0
	v_and_b32_e32 v48, 0xffff, v18
	s_delay_alu instid0(VALU_DEP_1) | instskip(SKIP_1) | instid1(VALU_DEP_1)
	v_lshlrev_b64_e32 v[18:19], s8, v[48:49]
	s_add_nc_u64 s[8:9], s[8:9], 8
	v_or_b32_e32 v16, v18, v16
	s_delay_alu instid0(VALU_DEP_2)
	v_or_b32_e32 v17, v19, v17
	s_cbranch_scc1 .LBB4_78
.LBB4_79:                               ;   in Loop: Header=BB4_33 Depth=2
	s_cbranch_execz .LBB4_81
	s_branch .LBB4_82
.LBB4_80:                               ;   in Loop: Header=BB4_33 Depth=2
.LBB4_81:                               ;   in Loop: Header=BB4_33 Depth=2
	global_load_b64 v[16:17], v49, s[0:1]
.LBB4_82:                               ;   in Loop: Header=BB4_33 Depth=2
	v_readfirstlane_b32 s0, v39
	v_mov_b32_e32 v22, 0
	v_mov_b32_e32 v23, 0
	s_wait_alu 0xf1ff
	s_delay_alu instid0(VALU_DEP_3) | instskip(NEXT) | instid1(VALU_DEP_1)
	v_cmp_eq_u32_e64 s0, s0, v39
	s_and_saveexec_b32 s1, s0
	s_cbranch_execz .LBB4_88
; %bb.83:                               ;   in Loop: Header=BB4_33 Depth=2
	global_load_b64 v[20:21], v49, s[24:25] offset:24 scope:SCOPE_SYS
	s_wait_loadcnt 0x0
	global_inv scope:SCOPE_SYS
	s_clause 0x1
	global_load_b64 v[18:19], v49, s[24:25] offset:40
	global_load_b64 v[22:23], v49, s[24:25]
	s_mov_b32 s8, exec_lo
	s_wait_loadcnt 0x1
	v_and_b32_e32 v19, v19, v21
	v_and_b32_e32 v18, v18, v20
	s_delay_alu instid0(VALU_DEP_2) | instskip(NEXT) | instid1(VALU_DEP_2)
	v_mul_lo_u32 v19, 24, v19
	v_mul_lo_u32 v24, 0, v18
	v_mul_hi_u32 v25, 24, v18
	v_mul_lo_u32 v18, 24, v18
	s_delay_alu instid0(VALU_DEP_3) | instskip(SKIP_1) | instid1(VALU_DEP_2)
	v_add_nc_u32_e32 v19, v19, v24
	s_wait_loadcnt 0x0
	v_add_co_u32 v18, vcc_lo, v22, v18
	s_delay_alu instid0(VALU_DEP_2) | instskip(SKIP_1) | instid1(VALU_DEP_1)
	v_add_nc_u32_e32 v19, v19, v25
	s_wait_alu 0xfffd
	v_add_co_ci_u32_e32 v19, vcc_lo, v23, v19, vcc_lo
	global_load_b64 v[18:19], v[18:19], off scope:SCOPE_SYS
	s_wait_loadcnt 0x0
	global_atomic_cmpswap_b64 v[22:23], v49, v[18:21], s[24:25] offset:24 th:TH_ATOMIC_RETURN scope:SCOPE_SYS
	s_wait_loadcnt 0x0
	global_inv scope:SCOPE_SYS
	v_cmpx_ne_u64_e64 v[22:23], v[20:21]
	s_cbranch_execz .LBB4_87
; %bb.84:                               ;   in Loop: Header=BB4_33 Depth=2
	s_mov_b32 s9, 0
.LBB4_85:                               ;   Parent Loop BB4_2 Depth=1
                                        ;     Parent Loop BB4_33 Depth=2
                                        ; =>    This Inner Loop Header: Depth=3
	s_sleep 1
	s_clause 0x1
	global_load_b64 v[18:19], v49, s[24:25] offset:40
	global_load_b64 v[24:25], v49, s[24:25]
	v_dual_mov_b32 v20, v22 :: v_dual_mov_b32 v21, v23
	s_wait_loadcnt 0x1
	s_delay_alu instid0(VALU_DEP_1) | instskip(NEXT) | instid1(VALU_DEP_2)
	v_and_b32_e32 v18, v18, v20
	v_and_b32_e32 v19, v19, v21
	s_wait_loadcnt 0x0
	s_delay_alu instid0(VALU_DEP_2) | instskip(NEXT) | instid1(VALU_DEP_1)
	v_mad_co_u64_u32 v[22:23], null, v18, 24, v[24:25]
	v_mov_b32_e32 v18, v23
	s_delay_alu instid0(VALU_DEP_1) | instskip(NEXT) | instid1(VALU_DEP_1)
	v_mad_co_u64_u32 v[18:19], null, v19, 24, v[18:19]
	v_mov_b32_e32 v23, v18
	global_load_b64 v[18:19], v[22:23], off scope:SCOPE_SYS
	s_wait_loadcnt 0x0
	global_atomic_cmpswap_b64 v[22:23], v49, v[18:21], s[24:25] offset:24 th:TH_ATOMIC_RETURN scope:SCOPE_SYS
	s_wait_loadcnt 0x0
	global_inv scope:SCOPE_SYS
	v_cmp_eq_u64_e32 vcc_lo, v[22:23], v[20:21]
	s_wait_alu 0xfffe
	s_or_b32 s9, vcc_lo, s9
	s_wait_alu 0xfffe
	s_and_not1_b32 exec_lo, exec_lo, s9
	s_cbranch_execnz .LBB4_85
; %bb.86:                               ;   in Loop: Header=BB4_33 Depth=2
	s_or_b32 exec_lo, exec_lo, s9
.LBB4_87:                               ;   in Loop: Header=BB4_33 Depth=2
	s_wait_alu 0xfffe
	s_or_b32 exec_lo, exec_lo, s8
.LBB4_88:                               ;   in Loop: Header=BB4_33 Depth=2
	s_wait_alu 0xfffe
	s_or_b32 exec_lo, exec_lo, s1
	s_clause 0x1
	global_load_b64 v[24:25], v49, s[24:25] offset:40
	global_load_b128 v[18:21], v49, s[24:25]
	v_readfirstlane_b32 s1, v23
	v_readfirstlane_b32 s8, v22
	s_mov_b32 s9, exec_lo
	s_wait_loadcnt 0x1
	s_wait_alu 0xf1ff
	v_and_b32_e32 v25, s1, v25
	v_and_b32_e32 v24, s8, v24
	s_delay_alu instid0(VALU_DEP_2) | instskip(NEXT) | instid1(VALU_DEP_2)
	v_mul_lo_u32 v22, 24, v25
	v_mul_lo_u32 v23, 0, v24
	v_mul_hi_u32 v28, 24, v24
	v_mul_lo_u32 v29, 24, v24
	s_delay_alu instid0(VALU_DEP_3) | instskip(NEXT) | instid1(VALU_DEP_1)
	v_add_nc_u32_e32 v22, v22, v23
	v_add_nc_u32_e32 v23, v22, v28
	s_wait_loadcnt 0x0
	s_delay_alu instid0(VALU_DEP_3) | instskip(SKIP_1) | instid1(VALU_DEP_2)
	v_add_co_u32 v22, vcc_lo, v18, v29
	s_wait_alu 0xfffd
	v_add_co_ci_u32_e32 v23, vcc_lo, v19, v23, vcc_lo
	s_and_saveexec_b32 s10, s0
	s_cbranch_execz .LBB4_90
; %bb.89:                               ;   in Loop: Header=BB4_33 Depth=2
	s_wait_alu 0xfffe
	v_mov_b32_e32 v48, s9
	global_store_b128 v[22:23], v[48:51], off offset:8
.LBB4_90:                               ;   in Loop: Header=BB4_33 Depth=2
	s_wait_alu 0xfffe
	s_or_b32 exec_lo, exec_lo, s10
	v_cmp_gt_u64_e64 vcc_lo, s[4:5], 56
	v_lshlrev_b64_e32 v[24:25], 12, v[24:25]
	v_or_b32_e32 v28, 0, v3
	v_or_b32_e32 v29, v2, v27
	s_lshl_b32 s9, s6, 2
	s_wait_alu 0xfffe
	s_add_co_i32 s9, s9, 28
	s_wait_alu 0xfffd
	v_dual_cndmask_b32 v3, v28, v3 :: v_dual_cndmask_b32 v2, v29, v2
	v_add_co_u32 v20, vcc_lo, v20, v24
	s_wait_alu 0xfffd
	v_add_co_ci_u32_e32 v21, vcc_lo, v21, v25, vcc_lo
	s_wait_alu 0xfffe
	s_and_b32 s9, s9, 0x1e0
	v_lshlrev_b32_e32 v24, 6, v39
	s_wait_alu 0xfffe
	v_and_or_b32 v2, 0xffffff1f, v2, s9
	v_readfirstlane_b32 s10, v20
	v_readfirstlane_b32 s11, v21
	s_clause 0x3
	global_store_b128 v24, v[2:5], s[10:11]
	global_store_b128 v24, v[6:9], s[10:11] offset:16
	global_store_b128 v24, v[10:13], s[10:11] offset:32
	;; [unrolled: 1-line block ×3, first 2 shown]
	s_and_saveexec_b32 s9, s0
	s_cbranch_execz .LBB4_98
; %bb.91:                               ;   in Loop: Header=BB4_33 Depth=2
	s_clause 0x1
	global_load_b64 v[10:11], v49, s[24:25] offset:32 scope:SCOPE_SYS
	global_load_b64 v[2:3], v49, s[24:25] offset:40
	s_mov_b32 s10, exec_lo
	v_dual_mov_b32 v8, s8 :: v_dual_mov_b32 v9, s1
	s_wait_loadcnt 0x0
	v_and_b32_e32 v3, s1, v3
	v_and_b32_e32 v2, s8, v2
	s_delay_alu instid0(VALU_DEP_2) | instskip(NEXT) | instid1(VALU_DEP_2)
	v_mul_lo_u32 v3, 24, v3
	v_mul_lo_u32 v4, 0, v2
	v_mul_hi_u32 v5, 24, v2
	v_mul_lo_u32 v2, 24, v2
	s_delay_alu instid0(VALU_DEP_3) | instskip(NEXT) | instid1(VALU_DEP_2)
	v_add_nc_u32_e32 v3, v3, v4
	v_add_co_u32 v6, vcc_lo, v18, v2
	s_delay_alu instid0(VALU_DEP_2) | instskip(SKIP_1) | instid1(VALU_DEP_1)
	v_add_nc_u32_e32 v3, v3, v5
	s_wait_alu 0xfffd
	v_add_co_ci_u32_e32 v7, vcc_lo, v19, v3, vcc_lo
	global_store_b64 v[6:7], v[10:11], off
	global_wb scope:SCOPE_SYS
	s_wait_storecnt 0x0
	global_atomic_cmpswap_b64 v[4:5], v49, v[8:11], s[24:25] offset:32 th:TH_ATOMIC_RETURN scope:SCOPE_SYS
	s_wait_loadcnt 0x0
	v_cmpx_ne_u64_e64 v[4:5], v[10:11]
	s_cbranch_execz .LBB4_94
; %bb.92:                               ;   in Loop: Header=BB4_33 Depth=2
	s_mov_b32 s11, 0
.LBB4_93:                               ;   Parent Loop BB4_2 Depth=1
                                        ;     Parent Loop BB4_33 Depth=2
                                        ; =>    This Inner Loop Header: Depth=3
	v_dual_mov_b32 v2, s8 :: v_dual_mov_b32 v3, s1
	s_sleep 1
	global_store_b64 v[6:7], v[4:5], off
	global_wb scope:SCOPE_SYS
	s_wait_storecnt 0x0
	global_atomic_cmpswap_b64 v[2:3], v49, v[2:5], s[24:25] offset:32 th:TH_ATOMIC_RETURN scope:SCOPE_SYS
	s_wait_loadcnt 0x0
	v_cmp_eq_u64_e32 vcc_lo, v[2:3], v[4:5]
	v_dual_mov_b32 v5, v3 :: v_dual_mov_b32 v4, v2
	s_wait_alu 0xfffe
	s_or_b32 s11, vcc_lo, s11
	s_wait_alu 0xfffe
	s_and_not1_b32 exec_lo, exec_lo, s11
	s_cbranch_execnz .LBB4_93
.LBB4_94:                               ;   in Loop: Header=BB4_33 Depth=2
	s_wait_alu 0xfffe
	s_or_b32 exec_lo, exec_lo, s10
	global_load_b64 v[2:3], v49, s[24:25] offset:16
	s_mov_b32 s11, exec_lo
	s_mov_b32 s10, exec_lo
	s_wait_alu 0xfffe
	v_mbcnt_lo_u32_b32 v4, s11, 0
	s_delay_alu instid0(VALU_DEP_1)
	v_cmpx_eq_u32_e32 0, v4
	s_cbranch_execz .LBB4_96
; %bb.95:                               ;   in Loop: Header=BB4_33 Depth=2
	s_bcnt1_i32_b32 s11, s11
	s_wait_alu 0xfffe
	v_mov_b32_e32 v48, s11
	global_wb scope:SCOPE_SYS
	s_wait_loadcnt 0x0
	global_atomic_add_u64 v[2:3], v[48:49], off offset:8 scope:SCOPE_SYS
.LBB4_96:                               ;   in Loop: Header=BB4_33 Depth=2
	s_or_b32 exec_lo, exec_lo, s10
	s_wait_loadcnt 0x0
	global_load_b64 v[4:5], v[2:3], off offset:16
	s_wait_loadcnt 0x0
	v_cmp_eq_u64_e32 vcc_lo, 0, v[4:5]
	s_cbranch_vccnz .LBB4_98
; %bb.97:                               ;   in Loop: Header=BB4_33 Depth=2
	global_load_b32 v48, v[2:3], off offset:24
	s_wait_loadcnt 0x0
	v_and_b32_e32 v2, 0xffffff, v48
	global_wb scope:SCOPE_SYS
	s_wait_storecnt 0x0
	global_store_b64 v[4:5], v[48:49], off scope:SCOPE_SYS
	v_readfirstlane_b32 m0, v2
	s_sendmsg sendmsg(MSG_INTERRUPT)
.LBB4_98:                               ;   in Loop: Header=BB4_33 Depth=2
	s_wait_alu 0xfffe
	s_or_b32 exec_lo, exec_lo, s9
	v_add_co_u32 v2, vcc_lo, v20, v24
	s_wait_alu 0xfffd
	v_add_co_ci_u32_e32 v3, vcc_lo, 0, v21, vcc_lo
	s_branch .LBB4_102
.LBB4_99:                               ;   in Loop: Header=BB4_102 Depth=3
	s_wait_alu 0xfffe
	s_or_b32 exec_lo, exec_lo, s9
	s_delay_alu instid0(VALU_DEP_1) | instskip(NEXT) | instid1(VALU_DEP_1)
	v_readfirstlane_b32 s9, v4
	s_cmp_eq_u32 s9, 0
	s_cbranch_scc1 .LBB4_101
; %bb.100:                              ;   in Loop: Header=BB4_102 Depth=3
	s_sleep 1
	s_cbranch_execnz .LBB4_102
	s_branch .LBB4_104
.LBB4_101:                              ;   in Loop: Header=BB4_33 Depth=2
	s_branch .LBB4_104
.LBB4_102:                              ;   Parent Loop BB4_2 Depth=1
                                        ;     Parent Loop BB4_33 Depth=2
                                        ; =>    This Inner Loop Header: Depth=3
	v_mov_b32_e32 v4, 1
	s_and_saveexec_b32 s9, s0
	s_cbranch_execz .LBB4_99
; %bb.103:                              ;   in Loop: Header=BB4_102 Depth=3
	global_load_b32 v4, v[22:23], off offset:20 scope:SCOPE_SYS
	s_wait_loadcnt 0x0
	global_inv scope:SCOPE_SYS
	v_and_b32_e32 v4, 1, v4
	s_branch .LBB4_99
.LBB4_104:                              ;   in Loop: Header=BB4_33 Depth=2
	global_load_b128 v[2:5], v[2:3], off
	s_and_saveexec_b32 s9, s0
	s_cbranch_execz .LBB4_32
; %bb.105:                              ;   in Loop: Header=BB4_33 Depth=2
	s_clause 0x2
	global_load_b64 v[6:7], v49, s[24:25] offset:40
	global_load_b64 v[10:11], v49, s[24:25] offset:24 scope:SCOPE_SYS
	global_load_b64 v[8:9], v49, s[24:25]
	s_wait_loadcnt 0x2
	v_add_co_u32 v12, vcc_lo, v6, 1
	s_wait_alu 0xfffd
	v_add_co_ci_u32_e32 v13, vcc_lo, 0, v7, vcc_lo
	s_delay_alu instid0(VALU_DEP_2) | instskip(SKIP_1) | instid1(VALU_DEP_2)
	v_add_co_u32 v4, vcc_lo, v12, s8
	s_wait_alu 0xfffd
	v_add_co_ci_u32_e32 v5, vcc_lo, s1, v13, vcc_lo
	s_delay_alu instid0(VALU_DEP_1) | instskip(SKIP_2) | instid1(VALU_DEP_1)
	v_cmp_eq_u64_e32 vcc_lo, 0, v[4:5]
	s_wait_alu 0xfffd
	v_dual_cndmask_b32 v5, v5, v13 :: v_dual_cndmask_b32 v4, v4, v12
	v_and_b32_e32 v7, v5, v7
	s_delay_alu instid0(VALU_DEP_2) | instskip(NEXT) | instid1(VALU_DEP_1)
	v_and_b32_e32 v6, v4, v6
	v_mul_lo_u32 v12, 0, v6
	v_mul_hi_u32 v13, 24, v6
	v_mul_lo_u32 v6, 24, v6
	s_wait_loadcnt 0x0
	s_delay_alu instid0(VALU_DEP_1) | instskip(SKIP_2) | instid1(VALU_DEP_1)
	v_add_co_u32 v8, vcc_lo, v8, v6
	v_mov_b32_e32 v6, v10
	v_mul_lo_u32 v7, 24, v7
	v_add_nc_u32_e32 v7, v7, v12
	s_delay_alu instid0(VALU_DEP_1) | instskip(SKIP_1) | instid1(VALU_DEP_1)
	v_add_nc_u32_e32 v7, v7, v13
	s_wait_alu 0xfffd
	v_add_co_ci_u32_e32 v9, vcc_lo, v9, v7, vcc_lo
	v_mov_b32_e32 v7, v11
	global_store_b64 v[8:9], v[10:11], off
	global_wb scope:SCOPE_SYS
	s_wait_storecnt 0x0
	global_atomic_cmpswap_b64 v[6:7], v49, v[4:7], s[24:25] offset:24 th:TH_ATOMIC_RETURN scope:SCOPE_SYS
	s_wait_loadcnt 0x0
	v_cmp_ne_u64_e32 vcc_lo, v[6:7], v[10:11]
	s_and_b32 exec_lo, exec_lo, vcc_lo
	s_cbranch_execz .LBB4_32
; %bb.106:                              ;   in Loop: Header=BB4_33 Depth=2
	s_mov_b32 s0, 0
.LBB4_107:                              ;   Parent Loop BB4_2 Depth=1
                                        ;     Parent Loop BB4_33 Depth=2
                                        ; =>    This Inner Loop Header: Depth=3
	s_sleep 1
	global_store_b64 v[8:9], v[6:7], off
	global_wb scope:SCOPE_SYS
	s_wait_storecnt 0x0
	global_atomic_cmpswap_b64 v[10:11], v49, v[4:7], s[24:25] offset:24 th:TH_ATOMIC_RETURN scope:SCOPE_SYS
	s_wait_loadcnt 0x0
	v_cmp_eq_u64_e32 vcc_lo, v[10:11], v[6:7]
	v_dual_mov_b32 v6, v10 :: v_dual_mov_b32 v7, v11
	s_wait_alu 0xfffe
	s_or_b32 s0, vcc_lo, s0
	s_wait_alu 0xfffe
	s_and_not1_b32 exec_lo, exec_lo, s0
	s_cbranch_execnz .LBB4_107
	s_branch .LBB4_32
.LBB4_108:                              ;   in Loop: Header=BB4_2 Depth=1
	s_branch .LBB4_137
.LBB4_109:                              ;   in Loop: Header=BB4_2 Depth=1
                                        ; implicit-def: $vgpr2_vgpr3
	s_cbranch_execz .LBB4_137
; %bb.110:                              ;   in Loop: Header=BB4_2 Depth=1
	v_readfirstlane_b32 s0, v39
	s_wait_loadcnt 0x0
	v_mov_b32_e32 v2, 0
	v_mov_b32_e32 v3, 0
	s_wait_alu 0xf1ff
	v_cmp_eq_u32_e64 s0, s0, v39
	s_delay_alu instid0(VALU_DEP_1)
	s_and_saveexec_b32 s1, s0
	s_cbranch_execz .LBB4_116
; %bb.111:                              ;   in Loop: Header=BB4_2 Depth=1
	global_load_b64 v[4:5], v49, s[24:25] offset:24 scope:SCOPE_SYS
	s_wait_loadcnt 0x0
	global_inv scope:SCOPE_SYS
	s_clause 0x1
	global_load_b64 v[2:3], v49, s[24:25] offset:40
	global_load_b64 v[6:7], v49, s[24:25]
	s_mov_b32 s2, exec_lo
	s_wait_loadcnt 0x1
	v_and_b32_e32 v3, v3, v5
	v_and_b32_e32 v2, v2, v4
	s_delay_alu instid0(VALU_DEP_2) | instskip(NEXT) | instid1(VALU_DEP_2)
	v_mul_lo_u32 v3, 24, v3
	v_mul_lo_u32 v8, 0, v2
	v_mul_hi_u32 v9, 24, v2
	v_mul_lo_u32 v2, 24, v2
	s_delay_alu instid0(VALU_DEP_3) | instskip(SKIP_1) | instid1(VALU_DEP_2)
	v_add_nc_u32_e32 v3, v3, v8
	s_wait_loadcnt 0x0
	v_add_co_u32 v2, vcc_lo, v6, v2
	s_delay_alu instid0(VALU_DEP_2) | instskip(SKIP_1) | instid1(VALU_DEP_1)
	v_add_nc_u32_e32 v3, v3, v9
	s_wait_alu 0xfffd
	v_add_co_ci_u32_e32 v3, vcc_lo, v7, v3, vcc_lo
	global_load_b64 v[2:3], v[2:3], off scope:SCOPE_SYS
	s_wait_loadcnt 0x0
	global_atomic_cmpswap_b64 v[2:3], v49, v[2:5], s[24:25] offset:24 th:TH_ATOMIC_RETURN scope:SCOPE_SYS
	s_wait_loadcnt 0x0
	global_inv scope:SCOPE_SYS
	v_cmpx_ne_u64_e64 v[2:3], v[4:5]
	s_cbranch_execz .LBB4_115
; %bb.112:                              ;   in Loop: Header=BB4_2 Depth=1
	s_mov_b32 s3, 0
.LBB4_113:                              ;   Parent Loop BB4_2 Depth=1
                                        ; =>  This Inner Loop Header: Depth=2
	s_sleep 1
	s_clause 0x1
	global_load_b64 v[6:7], v49, s[24:25] offset:40
	global_load_b64 v[8:9], v49, s[24:25]
	v_dual_mov_b32 v5, v3 :: v_dual_mov_b32 v4, v2
	s_wait_loadcnt 0x1
	s_delay_alu instid0(VALU_DEP_1) | instskip(NEXT) | instid1(VALU_DEP_2)
	v_and_b32_e32 v2, v6, v4
	v_and_b32_e32 v6, v7, v5
	s_wait_loadcnt 0x0
	s_delay_alu instid0(VALU_DEP_2) | instskip(NEXT) | instid1(VALU_DEP_1)
	v_mad_co_u64_u32 v[2:3], null, v2, 24, v[8:9]
	v_mad_co_u64_u32 v[6:7], null, v6, 24, v[3:4]
	s_delay_alu instid0(VALU_DEP_1)
	v_mov_b32_e32 v3, v6
	global_load_b64 v[2:3], v[2:3], off scope:SCOPE_SYS
	s_wait_loadcnt 0x0
	global_atomic_cmpswap_b64 v[2:3], v49, v[2:5], s[24:25] offset:24 th:TH_ATOMIC_RETURN scope:SCOPE_SYS
	s_wait_loadcnt 0x0
	global_inv scope:SCOPE_SYS
	v_cmp_eq_u64_e32 vcc_lo, v[2:3], v[4:5]
	s_wait_alu 0xfffe
	s_or_b32 s3, vcc_lo, s3
	s_wait_alu 0xfffe
	s_and_not1_b32 exec_lo, exec_lo, s3
	s_cbranch_execnz .LBB4_113
; %bb.114:                              ;   in Loop: Header=BB4_2 Depth=1
	s_or_b32 exec_lo, exec_lo, s3
.LBB4_115:                              ;   in Loop: Header=BB4_2 Depth=1
	s_wait_alu 0xfffe
	s_or_b32 exec_lo, exec_lo, s2
.LBB4_116:                              ;   in Loop: Header=BB4_2 Depth=1
	s_wait_alu 0xfffe
	s_or_b32 exec_lo, exec_lo, s1
	s_clause 0x1
	global_load_b64 v[8:9], v49, s[24:25] offset:40
	global_load_b128 v[4:7], v49, s[24:25]
	v_readfirstlane_b32 s1, v3
	v_readfirstlane_b32 s2, v2
	s_mov_b32 s3, exec_lo
	s_wait_loadcnt 0x1
	s_wait_alu 0xf1ff
	v_and_b32_e32 v3, s1, v9
	v_and_b32_e32 v2, s2, v8
	s_delay_alu instid0(VALU_DEP_2) | instskip(NEXT) | instid1(VALU_DEP_2)
	v_mul_lo_u32 v8, 24, v3
	v_mul_lo_u32 v9, 0, v2
	v_mul_hi_u32 v10, 24, v2
	v_mul_lo_u32 v11, 24, v2
	s_delay_alu instid0(VALU_DEP_3) | instskip(NEXT) | instid1(VALU_DEP_1)
	v_add_nc_u32_e32 v8, v8, v9
	v_add_nc_u32_e32 v9, v8, v10
	s_wait_loadcnt 0x0
	s_delay_alu instid0(VALU_DEP_3) | instskip(SKIP_1) | instid1(VALU_DEP_2)
	v_add_co_u32 v8, vcc_lo, v4, v11
	s_wait_alu 0xfffd
	v_add_co_ci_u32_e32 v9, vcc_lo, v5, v9, vcc_lo
	s_and_saveexec_b32 s4, s0
	s_cbranch_execz .LBB4_118
; %bb.117:                              ;   in Loop: Header=BB4_2 Depth=1
	s_wait_alu 0xfffe
	v_mov_b32_e32 v48, s3
	global_store_b128 v[8:9], v[48:51], off offset:8
.LBB4_118:                              ;   in Loop: Header=BB4_2 Depth=1
	s_wait_alu 0xfffe
	s_or_b32 exec_lo, exec_lo, s4
	v_lshlrev_b64_e32 v[2:3], 12, v[2:3]
	v_and_or_b32 v0, 0xffffff1f, v0, 32
	v_dual_mov_b32 v11, s20 :: v_dual_lshlrev_b32 v10, 6, v39
	v_dual_mov_b32 v12, s21 :: v_dual_mov_b32 v13, s22
	s_delay_alu instid0(VALU_DEP_4) | instskip(SKIP_3) | instid1(VALU_DEP_3)
	v_add_co_u32 v6, vcc_lo, v6, v2
	s_wait_alu 0xfffd
	v_add_co_ci_u32_e32 v7, vcc_lo, v7, v3, vcc_lo
	v_dual_mov_b32 v2, v49 :: v_dual_mov_b32 v3, v49
	v_readfirstlane_b32 s4, v6
	s_delay_alu instid0(VALU_DEP_3)
	v_readfirstlane_b32 s5, v7
	v_mov_b32_e32 v14, s23
	s_clause 0x3
	global_store_b128 v10, v[0:3], s[4:5]
	global_store_b128 v10, v[11:14], s[4:5] offset:16
	global_store_b128 v10, v[11:14], s[4:5] offset:32
	;; [unrolled: 1-line block ×3, first 2 shown]
	s_and_saveexec_b32 s3, s0
	s_cbranch_execz .LBB4_126
; %bb.119:                              ;   in Loop: Header=BB4_2 Depth=1
	s_clause 0x1
	global_load_b64 v[13:14], v49, s[24:25] offset:32 scope:SCOPE_SYS
	global_load_b64 v[0:1], v49, s[24:25] offset:40
	s_mov_b32 s4, exec_lo
	v_dual_mov_b32 v11, s2 :: v_dual_mov_b32 v12, s1
	s_wait_loadcnt 0x0
	v_and_b32_e32 v1, s1, v1
	v_and_b32_e32 v0, s2, v0
	s_delay_alu instid0(VALU_DEP_2) | instskip(NEXT) | instid1(VALU_DEP_2)
	v_mul_lo_u32 v1, 24, v1
	v_mul_lo_u32 v2, 0, v0
	v_mul_hi_u32 v3, 24, v0
	v_mul_lo_u32 v0, 24, v0
	s_delay_alu instid0(VALU_DEP_3) | instskip(NEXT) | instid1(VALU_DEP_2)
	v_add_nc_u32_e32 v1, v1, v2
	v_add_co_u32 v4, vcc_lo, v4, v0
	s_delay_alu instid0(VALU_DEP_2) | instskip(SKIP_1) | instid1(VALU_DEP_1)
	v_add_nc_u32_e32 v1, v1, v3
	s_wait_alu 0xfffd
	v_add_co_ci_u32_e32 v5, vcc_lo, v5, v1, vcc_lo
	global_store_b64 v[4:5], v[13:14], off
	global_wb scope:SCOPE_SYS
	s_wait_storecnt 0x0
	global_atomic_cmpswap_b64 v[2:3], v49, v[11:14], s[24:25] offset:32 th:TH_ATOMIC_RETURN scope:SCOPE_SYS
	s_wait_loadcnt 0x0
	v_cmpx_ne_u64_e64 v[2:3], v[13:14]
	s_cbranch_execz .LBB4_122
; %bb.120:                              ;   in Loop: Header=BB4_2 Depth=1
	s_mov_b32 s5, 0
.LBB4_121:                              ;   Parent Loop BB4_2 Depth=1
                                        ; =>  This Inner Loop Header: Depth=2
	v_dual_mov_b32 v0, s2 :: v_dual_mov_b32 v1, s1
	s_sleep 1
	global_store_b64 v[4:5], v[2:3], off
	global_wb scope:SCOPE_SYS
	s_wait_storecnt 0x0
	global_atomic_cmpswap_b64 v[0:1], v49, v[0:3], s[24:25] offset:32 th:TH_ATOMIC_RETURN scope:SCOPE_SYS
	s_wait_loadcnt 0x0
	v_cmp_eq_u64_e32 vcc_lo, v[0:1], v[2:3]
	v_dual_mov_b32 v3, v1 :: v_dual_mov_b32 v2, v0
	s_wait_alu 0xfffe
	s_or_b32 s5, vcc_lo, s5
	s_wait_alu 0xfffe
	s_and_not1_b32 exec_lo, exec_lo, s5
	s_cbranch_execnz .LBB4_121
.LBB4_122:                              ;   in Loop: Header=BB4_2 Depth=1
	s_wait_alu 0xfffe
	s_or_b32 exec_lo, exec_lo, s4
	global_load_b64 v[0:1], v49, s[24:25] offset:16
	s_mov_b32 s5, exec_lo
	s_mov_b32 s4, exec_lo
	s_wait_alu 0xfffe
	v_mbcnt_lo_u32_b32 v2, s5, 0
	s_delay_alu instid0(VALU_DEP_1)
	v_cmpx_eq_u32_e32 0, v2
	s_cbranch_execz .LBB4_124
; %bb.123:                              ;   in Loop: Header=BB4_2 Depth=1
	s_bcnt1_i32_b32 s5, s5
	s_wait_alu 0xfffe
	v_mov_b32_e32 v48, s5
	global_wb scope:SCOPE_SYS
	s_wait_loadcnt 0x0
	global_atomic_add_u64 v[0:1], v[48:49], off offset:8 scope:SCOPE_SYS
.LBB4_124:                              ;   in Loop: Header=BB4_2 Depth=1
	s_or_b32 exec_lo, exec_lo, s4
	s_wait_loadcnt 0x0
	global_load_b64 v[2:3], v[0:1], off offset:16
	s_wait_loadcnt 0x0
	v_cmp_eq_u64_e32 vcc_lo, 0, v[2:3]
	s_cbranch_vccnz .LBB4_126
; %bb.125:                              ;   in Loop: Header=BB4_2 Depth=1
	global_load_b32 v48, v[0:1], off offset:24
	s_wait_loadcnt 0x0
	v_and_b32_e32 v0, 0xffffff, v48
	global_wb scope:SCOPE_SYS
	s_wait_storecnt 0x0
	global_store_b64 v[2:3], v[48:49], off scope:SCOPE_SYS
	v_readfirstlane_b32 m0, v0
	s_sendmsg sendmsg(MSG_INTERRUPT)
.LBB4_126:                              ;   in Loop: Header=BB4_2 Depth=1
	s_wait_alu 0xfffe
	s_or_b32 exec_lo, exec_lo, s3
	v_add_co_u32 v0, vcc_lo, v6, v10
	s_wait_alu 0xfffd
	v_add_co_ci_u32_e32 v1, vcc_lo, 0, v7, vcc_lo
	s_branch .LBB4_130
.LBB4_127:                              ;   in Loop: Header=BB4_130 Depth=2
	s_wait_alu 0xfffe
	s_or_b32 exec_lo, exec_lo, s3
	s_delay_alu instid0(VALU_DEP_1) | instskip(NEXT) | instid1(VALU_DEP_1)
	v_readfirstlane_b32 s3, v2
	s_cmp_eq_u32 s3, 0
	s_cbranch_scc1 .LBB4_129
; %bb.128:                              ;   in Loop: Header=BB4_130 Depth=2
	s_sleep 1
	s_cbranch_execnz .LBB4_130
	s_branch .LBB4_132
.LBB4_129:                              ;   in Loop: Header=BB4_2 Depth=1
	s_branch .LBB4_132
.LBB4_130:                              ;   Parent Loop BB4_2 Depth=1
                                        ; =>  This Inner Loop Header: Depth=2
	v_mov_b32_e32 v2, 1
	s_and_saveexec_b32 s3, s0
	s_cbranch_execz .LBB4_127
; %bb.131:                              ;   in Loop: Header=BB4_130 Depth=2
	global_load_b32 v2, v[8:9], off offset:20 scope:SCOPE_SYS
	s_wait_loadcnt 0x0
	global_inv scope:SCOPE_SYS
	v_and_b32_e32 v2, 1, v2
	s_branch .LBB4_127
.LBB4_132:                              ;   in Loop: Header=BB4_2 Depth=1
	global_load_b64 v[2:3], v[0:1], off
	s_and_saveexec_b32 s3, s0
	s_cbranch_execz .LBB4_136
; %bb.133:                              ;   in Loop: Header=BB4_2 Depth=1
	s_clause 0x2
	global_load_b64 v[0:1], v49, s[24:25] offset:40
	global_load_b64 v[8:9], v49, s[24:25] offset:24 scope:SCOPE_SYS
	global_load_b64 v[6:7], v49, s[24:25]
	s_wait_loadcnt 0x2
	v_add_co_u32 v10, vcc_lo, v0, 1
	s_wait_alu 0xfffd
	v_add_co_ci_u32_e32 v11, vcc_lo, 0, v1, vcc_lo
	s_delay_alu instid0(VALU_DEP_2) | instskip(SKIP_1) | instid1(VALU_DEP_2)
	v_add_co_u32 v4, vcc_lo, v10, s2
	s_wait_alu 0xfffd
	v_add_co_ci_u32_e32 v5, vcc_lo, s1, v11, vcc_lo
	s_delay_alu instid0(VALU_DEP_1) | instskip(SKIP_2) | instid1(VALU_DEP_1)
	v_cmp_eq_u64_e32 vcc_lo, 0, v[4:5]
	s_wait_alu 0xfffd
	v_dual_cndmask_b32 v5, v5, v11 :: v_dual_cndmask_b32 v4, v4, v10
	v_and_b32_e32 v1, v5, v1
	s_delay_alu instid0(VALU_DEP_2) | instskip(NEXT) | instid1(VALU_DEP_1)
	v_and_b32_e32 v0, v4, v0
	v_mul_lo_u32 v10, 0, v0
	v_mul_hi_u32 v11, 24, v0
	v_mul_lo_u32 v0, 24, v0
	s_wait_loadcnt 0x0
	s_delay_alu instid0(VALU_DEP_1) | instskip(SKIP_2) | instid1(VALU_DEP_1)
	v_add_co_u32 v0, vcc_lo, v6, v0
	v_mov_b32_e32 v6, v8
	v_mul_lo_u32 v1, 24, v1
	v_add_nc_u32_e32 v1, v1, v10
	s_delay_alu instid0(VALU_DEP_1) | instskip(SKIP_1) | instid1(VALU_DEP_1)
	v_add_nc_u32_e32 v1, v1, v11
	s_wait_alu 0xfffd
	v_add_co_ci_u32_e32 v1, vcc_lo, v7, v1, vcc_lo
	v_mov_b32_e32 v7, v9
	global_store_b64 v[0:1], v[8:9], off
	global_wb scope:SCOPE_SYS
	s_wait_storecnt 0x0
	global_atomic_cmpswap_b64 v[6:7], v49, v[4:7], s[24:25] offset:24 th:TH_ATOMIC_RETURN scope:SCOPE_SYS
	s_wait_loadcnt 0x0
	v_cmp_ne_u64_e32 vcc_lo, v[6:7], v[8:9]
	s_and_b32 exec_lo, exec_lo, vcc_lo
	s_cbranch_execz .LBB4_136
; %bb.134:                              ;   in Loop: Header=BB4_2 Depth=1
	s_mov_b32 s0, 0
.LBB4_135:                              ;   Parent Loop BB4_2 Depth=1
                                        ; =>  This Inner Loop Header: Depth=2
	s_sleep 1
	global_store_b64 v[0:1], v[6:7], off
	global_wb scope:SCOPE_SYS
	s_wait_storecnt 0x0
	global_atomic_cmpswap_b64 v[8:9], v49, v[4:7], s[24:25] offset:24 th:TH_ATOMIC_RETURN scope:SCOPE_SYS
	s_wait_loadcnt 0x0
	v_cmp_eq_u64_e32 vcc_lo, v[8:9], v[6:7]
	v_dual_mov_b32 v6, v8 :: v_dual_mov_b32 v7, v9
	s_wait_alu 0xfffe
	s_or_b32 s0, vcc_lo, s0
	s_wait_alu 0xfffe
	s_and_not1_b32 exec_lo, exec_lo, s0
	s_cbranch_execnz .LBB4_135
.LBB4_136:                              ;   in Loop: Header=BB4_2 Depth=1
	s_wait_alu 0xfffe
	s_or_b32 exec_lo, exec_lo, s3
.LBB4_137:                              ;   in Loop: Header=BB4_2 Depth=1
	v_readfirstlane_b32 s0, v39
	s_wait_loadcnt 0x0
	v_mov_b32_e32 v0, 0
	v_mov_b32_e32 v1, 0
	s_wait_alu 0xf1ff
	v_cmp_eq_u32_e64 s0, s0, v39
	s_delay_alu instid0(VALU_DEP_1)
	s_and_saveexec_b32 s1, s0
	s_cbranch_execz .LBB4_143
; %bb.138:                              ;   in Loop: Header=BB4_2 Depth=1
	global_load_b64 v[6:7], v49, s[24:25] offset:24 scope:SCOPE_SYS
	s_wait_loadcnt 0x0
	global_inv scope:SCOPE_SYS
	s_clause 0x1
	global_load_b64 v[0:1], v49, s[24:25] offset:40
	global_load_b64 v[4:5], v49, s[24:25]
	s_mov_b32 s2, exec_lo
	s_wait_loadcnt 0x1
	v_and_b32_e32 v1, v1, v7
	v_and_b32_e32 v0, v0, v6
	s_delay_alu instid0(VALU_DEP_2) | instskip(NEXT) | instid1(VALU_DEP_2)
	v_mul_lo_u32 v1, 24, v1
	v_mul_lo_u32 v8, 0, v0
	v_mul_hi_u32 v9, 24, v0
	v_mul_lo_u32 v0, 24, v0
	s_delay_alu instid0(VALU_DEP_3) | instskip(SKIP_1) | instid1(VALU_DEP_2)
	v_add_nc_u32_e32 v1, v1, v8
	s_wait_loadcnt 0x0
	v_add_co_u32 v0, vcc_lo, v4, v0
	s_delay_alu instid0(VALU_DEP_2) | instskip(SKIP_1) | instid1(VALU_DEP_1)
	v_add_nc_u32_e32 v1, v1, v9
	s_wait_alu 0xfffd
	v_add_co_ci_u32_e32 v1, vcc_lo, v5, v1, vcc_lo
	global_load_b64 v[4:5], v[0:1], off scope:SCOPE_SYS
	s_wait_loadcnt 0x0
	global_atomic_cmpswap_b64 v[0:1], v49, v[4:7], s[24:25] offset:24 th:TH_ATOMIC_RETURN scope:SCOPE_SYS
	s_wait_loadcnt 0x0
	global_inv scope:SCOPE_SYS
	v_cmpx_ne_u64_e64 v[0:1], v[6:7]
	s_cbranch_execz .LBB4_142
; %bb.139:                              ;   in Loop: Header=BB4_2 Depth=1
	s_mov_b32 s3, 0
.LBB4_140:                              ;   Parent Loop BB4_2 Depth=1
                                        ; =>  This Inner Loop Header: Depth=2
	s_sleep 1
	s_clause 0x1
	global_load_b64 v[4:5], v49, s[24:25] offset:40
	global_load_b64 v[8:9], v49, s[24:25]
	v_dual_mov_b32 v7, v1 :: v_dual_mov_b32 v6, v0
	s_wait_loadcnt 0x1
	s_delay_alu instid0(VALU_DEP_1) | instskip(NEXT) | instid1(VALU_DEP_2)
	v_and_b32_e32 v0, v4, v6
	v_and_b32_e32 v4, v5, v7
	s_wait_loadcnt 0x0
	s_delay_alu instid0(VALU_DEP_2) | instskip(NEXT) | instid1(VALU_DEP_1)
	v_mad_co_u64_u32 v[0:1], null, v0, 24, v[8:9]
	v_mad_co_u64_u32 v[4:5], null, v4, 24, v[1:2]
	s_delay_alu instid0(VALU_DEP_1)
	v_mov_b32_e32 v1, v4
	global_load_b64 v[4:5], v[0:1], off scope:SCOPE_SYS
	s_wait_loadcnt 0x0
	global_atomic_cmpswap_b64 v[0:1], v49, v[4:7], s[24:25] offset:24 th:TH_ATOMIC_RETURN scope:SCOPE_SYS
	s_wait_loadcnt 0x0
	global_inv scope:SCOPE_SYS
	v_cmp_eq_u64_e32 vcc_lo, v[0:1], v[6:7]
	s_wait_alu 0xfffe
	s_or_b32 s3, vcc_lo, s3
	s_wait_alu 0xfffe
	s_and_not1_b32 exec_lo, exec_lo, s3
	s_cbranch_execnz .LBB4_140
; %bb.141:                              ;   in Loop: Header=BB4_2 Depth=1
	s_or_b32 exec_lo, exec_lo, s3
.LBB4_142:                              ;   in Loop: Header=BB4_2 Depth=1
	s_wait_alu 0xfffe
	s_or_b32 exec_lo, exec_lo, s2
.LBB4_143:                              ;   in Loop: Header=BB4_2 Depth=1
	s_wait_alu 0xfffe
	s_or_b32 exec_lo, exec_lo, s1
	s_clause 0x1
	global_load_b64 v[4:5], v49, s[24:25] offset:40
	global_load_b128 v[6:9], v49, s[24:25]
	v_readfirstlane_b32 s1, v1
	v_readfirstlane_b32 s2, v0
	s_mov_b32 s3, exec_lo
	s_wait_loadcnt 0x1
	s_wait_alu 0xf1ff
	v_and_b32_e32 v1, s1, v5
	v_and_b32_e32 v0, s2, v4
	s_delay_alu instid0(VALU_DEP_2) | instskip(NEXT) | instid1(VALU_DEP_2)
	v_mul_lo_u32 v4, 24, v1
	v_mul_lo_u32 v5, 0, v0
	v_mul_hi_u32 v10, 24, v0
	v_mul_lo_u32 v11, 24, v0
	s_delay_alu instid0(VALU_DEP_3) | instskip(NEXT) | instid1(VALU_DEP_1)
	v_add_nc_u32_e32 v4, v4, v5
	v_add_nc_u32_e32 v4, v4, v10
	s_wait_loadcnt 0x0
	s_delay_alu instid0(VALU_DEP_3) | instskip(SKIP_1) | instid1(VALU_DEP_2)
	v_add_co_u32 v10, vcc_lo, v6, v11
	s_wait_alu 0xfffd
	v_add_co_ci_u32_e32 v11, vcc_lo, v7, v4, vcc_lo
	s_and_saveexec_b32 s4, s0
	s_cbranch_execz .LBB4_145
; %bb.144:                              ;   in Loop: Header=BB4_2 Depth=1
	s_wait_alu 0xfffe
	v_mov_b32_e32 v48, s3
	global_store_b128 v[10:11], v[48:51], off offset:8
.LBB4_145:                              ;   in Loop: Header=BB4_2 Depth=1
	s_wait_alu 0xfffe
	s_or_b32 exec_lo, exec_lo, s4
	v_lshlrev_b64_e32 v[0:1], 12, v[0:1]
	v_and_or_b32 v2, 0xffffff1d, v2, 34
	s_wait_dscnt 0x0
	v_ashrrev_i32_e32 v5, 31, v26
	v_mov_b32_e32 v4, v26
	v_dual_mov_b32 v12, s20 :: v_dual_mov_b32 v15, s23
	v_add_co_u32 v0, vcc_lo, v8, v0
	s_wait_alu 0xfffd
	v_add_co_ci_u32_e32 v1, vcc_lo, v9, v1, vcc_lo
	v_dual_mov_b32 v13, s21 :: v_dual_lshlrev_b32 v8, 6, v39
	s_delay_alu instid0(VALU_DEP_3) | instskip(NEXT) | instid1(VALU_DEP_3)
	v_readfirstlane_b32 s4, v0
	v_readfirstlane_b32 s5, v1
	v_mov_b32_e32 v14, s22
	s_clause 0x3
	global_store_b128 v8, v[2:5], s[4:5]
	global_store_b128 v8, v[12:15], s[4:5] offset:16
	global_store_b128 v8, v[12:15], s[4:5] offset:32
	;; [unrolled: 1-line block ×3, first 2 shown]
	s_and_saveexec_b32 s3, s0
	s_cbranch_execz .LBB4_153
; %bb.146:                              ;   in Loop: Header=BB4_2 Depth=1
	s_clause 0x1
	global_load_b64 v[8:9], v49, s[24:25] offset:32 scope:SCOPE_SYS
	global_load_b64 v[0:1], v49, s[24:25] offset:40
	s_mov_b32 s4, exec_lo
	s_wait_loadcnt 0x0
	v_and_b32_e32 v0, s2, v0
	v_and_b32_e32 v1, s1, v1
	s_delay_alu instid0(VALU_DEP_2) | instskip(SKIP_2) | instid1(VALU_DEP_1)
	v_mul_lo_u32 v2, 0, v0
	v_mul_hi_u32 v3, 24, v0
	v_mul_lo_u32 v0, 24, v0
	v_add_co_u32 v4, vcc_lo, v6, v0
	v_mov_b32_e32 v6, s2
	v_mul_lo_u32 v1, 24, v1
	s_delay_alu instid0(VALU_DEP_1) | instskip(NEXT) | instid1(VALU_DEP_1)
	v_add_nc_u32_e32 v1, v1, v2
	v_add_nc_u32_e32 v1, v1, v3
	s_wait_alu 0xfffd
	s_delay_alu instid0(VALU_DEP_1)
	v_add_co_ci_u32_e32 v5, vcc_lo, v7, v1, vcc_lo
	v_mov_b32_e32 v7, s1
	global_store_b64 v[4:5], v[8:9], off
	global_wb scope:SCOPE_SYS
	s_wait_storecnt 0x0
	global_atomic_cmpswap_b64 v[2:3], v49, v[6:9], s[24:25] offset:32 th:TH_ATOMIC_RETURN scope:SCOPE_SYS
	s_wait_loadcnt 0x0
	v_cmpx_ne_u64_e64 v[2:3], v[8:9]
	s_cbranch_execz .LBB4_149
; %bb.147:                              ;   in Loop: Header=BB4_2 Depth=1
	s_mov_b32 s5, 0
.LBB4_148:                              ;   Parent Loop BB4_2 Depth=1
                                        ; =>  This Inner Loop Header: Depth=2
	v_dual_mov_b32 v0, s2 :: v_dual_mov_b32 v1, s1
	s_sleep 1
	global_store_b64 v[4:5], v[2:3], off
	global_wb scope:SCOPE_SYS
	s_wait_storecnt 0x0
	global_atomic_cmpswap_b64 v[0:1], v49, v[0:3], s[24:25] offset:32 th:TH_ATOMIC_RETURN scope:SCOPE_SYS
	s_wait_loadcnt 0x0
	v_cmp_eq_u64_e32 vcc_lo, v[0:1], v[2:3]
	v_dual_mov_b32 v3, v1 :: v_dual_mov_b32 v2, v0
	s_wait_alu 0xfffe
	s_or_b32 s5, vcc_lo, s5
	s_wait_alu 0xfffe
	s_and_not1_b32 exec_lo, exec_lo, s5
	s_cbranch_execnz .LBB4_148
.LBB4_149:                              ;   in Loop: Header=BB4_2 Depth=1
	s_wait_alu 0xfffe
	s_or_b32 exec_lo, exec_lo, s4
	global_load_b64 v[0:1], v49, s[24:25] offset:16
	s_mov_b32 s5, exec_lo
	s_mov_b32 s4, exec_lo
	s_wait_alu 0xfffe
	v_mbcnt_lo_u32_b32 v2, s5, 0
	s_delay_alu instid0(VALU_DEP_1)
	v_cmpx_eq_u32_e32 0, v2
	s_cbranch_execz .LBB4_151
; %bb.150:                              ;   in Loop: Header=BB4_2 Depth=1
	s_bcnt1_i32_b32 s5, s5
	s_wait_alu 0xfffe
	v_mov_b32_e32 v48, s5
	global_wb scope:SCOPE_SYS
	s_wait_loadcnt 0x0
	global_atomic_add_u64 v[0:1], v[48:49], off offset:8 scope:SCOPE_SYS
.LBB4_151:                              ;   in Loop: Header=BB4_2 Depth=1
	s_or_b32 exec_lo, exec_lo, s4
	s_wait_loadcnt 0x0
	global_load_b64 v[2:3], v[0:1], off offset:16
	s_wait_loadcnt 0x0
	v_cmp_eq_u64_e32 vcc_lo, 0, v[2:3]
	s_cbranch_vccnz .LBB4_153
; %bb.152:                              ;   in Loop: Header=BB4_2 Depth=1
	global_load_b32 v48, v[0:1], off offset:24
	s_wait_loadcnt 0x0
	v_and_b32_e32 v0, 0xffffff, v48
	global_wb scope:SCOPE_SYS
	s_wait_storecnt 0x0
	global_store_b64 v[2:3], v[48:49], off scope:SCOPE_SYS
	v_readfirstlane_b32 m0, v0
	s_sendmsg sendmsg(MSG_INTERRUPT)
.LBB4_153:                              ;   in Loop: Header=BB4_2 Depth=1
	s_wait_alu 0xfffe
	s_or_b32 exec_lo, exec_lo, s3
	s_branch .LBB4_157
.LBB4_154:                              ;   in Loop: Header=BB4_157 Depth=2
	s_wait_alu 0xfffe
	s_or_b32 exec_lo, exec_lo, s3
	s_delay_alu instid0(VALU_DEP_1) | instskip(NEXT) | instid1(VALU_DEP_1)
	v_readfirstlane_b32 s3, v0
	s_cmp_eq_u32 s3, 0
	s_cbranch_scc1 .LBB4_156
; %bb.155:                              ;   in Loop: Header=BB4_157 Depth=2
	s_sleep 1
	s_cbranch_execnz .LBB4_157
	s_branch .LBB4_159
.LBB4_156:                              ;   in Loop: Header=BB4_2 Depth=1
	s_branch .LBB4_159
.LBB4_157:                              ;   Parent Loop BB4_2 Depth=1
                                        ; =>  This Inner Loop Header: Depth=2
	v_mov_b32_e32 v0, 1
	s_and_saveexec_b32 s3, s0
	s_cbranch_execz .LBB4_154
; %bb.158:                              ;   in Loop: Header=BB4_157 Depth=2
	global_load_b32 v0, v[10:11], off offset:20 scope:SCOPE_SYS
	s_wait_loadcnt 0x0
	global_inv scope:SCOPE_SYS
	v_and_b32_e32 v0, 1, v0
	s_branch .LBB4_154
.LBB4_159:                              ;   in Loop: Header=BB4_2 Depth=1
	s_and_saveexec_b32 s3, s0
	s_cbranch_execz .LBB4_1
; %bb.160:                              ;   in Loop: Header=BB4_2 Depth=1
	s_clause 0x2
	global_load_b64 v[2:3], v49, s[24:25] offset:40
	global_load_b64 v[6:7], v49, s[24:25] offset:24 scope:SCOPE_SYS
	global_load_b64 v[4:5], v49, s[24:25]
	s_wait_loadcnt 0x2
	v_add_co_u32 v8, vcc_lo, v2, 1
	s_wait_alu 0xfffd
	v_add_co_ci_u32_e32 v9, vcc_lo, 0, v3, vcc_lo
	s_delay_alu instid0(VALU_DEP_2) | instskip(SKIP_1) | instid1(VALU_DEP_2)
	v_add_co_u32 v0, vcc_lo, v8, s2
	s_wait_alu 0xfffd
	v_add_co_ci_u32_e32 v1, vcc_lo, s1, v9, vcc_lo
	s_delay_alu instid0(VALU_DEP_1) | instskip(SKIP_2) | instid1(VALU_DEP_1)
	v_cmp_eq_u64_e32 vcc_lo, 0, v[0:1]
	s_wait_alu 0xfffd
	v_dual_cndmask_b32 v1, v1, v9 :: v_dual_cndmask_b32 v0, v0, v8
	v_and_b32_e32 v3, v1, v3
	s_delay_alu instid0(VALU_DEP_2) | instskip(NEXT) | instid1(VALU_DEP_1)
	v_and_b32_e32 v2, v0, v2
	v_mul_lo_u32 v8, 0, v2
	v_mul_hi_u32 v9, 24, v2
	v_mul_lo_u32 v2, 24, v2
	s_wait_loadcnt 0x0
	s_delay_alu instid0(VALU_DEP_1) | instskip(SKIP_2) | instid1(VALU_DEP_1)
	v_add_co_u32 v4, vcc_lo, v4, v2
	v_mov_b32_e32 v2, v6
	v_mul_lo_u32 v3, 24, v3
	v_add_nc_u32_e32 v3, v3, v8
	s_delay_alu instid0(VALU_DEP_1) | instskip(SKIP_1) | instid1(VALU_DEP_1)
	v_add_nc_u32_e32 v3, v3, v9
	s_wait_alu 0xfffd
	v_add_co_ci_u32_e32 v5, vcc_lo, v5, v3, vcc_lo
	v_mov_b32_e32 v3, v7
	global_store_b64 v[4:5], v[6:7], off
	global_wb scope:SCOPE_SYS
	s_wait_storecnt 0x0
	global_atomic_cmpswap_b64 v[2:3], v49, v[0:3], s[24:25] offset:24 th:TH_ATOMIC_RETURN scope:SCOPE_SYS
	s_wait_loadcnt 0x0
	v_cmp_ne_u64_e32 vcc_lo, v[2:3], v[6:7]
	s_and_b32 exec_lo, exec_lo, vcc_lo
	s_cbranch_execz .LBB4_1
; %bb.161:                              ;   in Loop: Header=BB4_2 Depth=1
	s_mov_b32 s0, 0
.LBB4_162:                              ;   Parent Loop BB4_2 Depth=1
                                        ; =>  This Inner Loop Header: Depth=2
	s_sleep 1
	global_store_b64 v[4:5], v[2:3], off
	global_wb scope:SCOPE_SYS
	s_wait_storecnt 0x0
	global_atomic_cmpswap_b64 v[6:7], v49, v[0:3], s[24:25] offset:24 th:TH_ATOMIC_RETURN scope:SCOPE_SYS
	s_wait_loadcnt 0x0
	v_cmp_eq_u64_e32 vcc_lo, v[6:7], v[2:3]
	v_dual_mov_b32 v2, v6 :: v_dual_mov_b32 v3, v7
	s_wait_alu 0xfffe
	s_or_b32 s0, vcc_lo, s0
	s_wait_alu 0xfffe
	s_and_not1_b32 exec_lo, exec_lo, s0
	s_cbranch_execnz .LBB4_162
	s_branch .LBB4_1
.LBB4_163:
	s_getpc_b64 s[20:21]
	s_wait_alu 0xfffe
	s_sext_i32_i16 s21, s21
	s_add_co_u32 s20, s20, .str.10@rel32@lo+12
	s_wait_alu 0xfffe
	s_add_co_ci_u32 s21, s21, .str.10@rel32@hi+24
	s_wait_alu 0xfffe
	v_dual_mov_b32 v0, s20 :: v_dual_mov_b32 v1, s21
	s_mov_b64 s[8:9], s[18:19]
	s_getpc_b64 s[22:23]
	s_wait_alu 0xfffe
	s_sext_i32_i16 s23, s23
	s_add_co_u32 s22, s22, _ZNK8migraphx13basic_printerIZNS_4coutEvEUlT_E_ElsEPKc@rel32@lo+12
	s_wait_alu 0xfffe
	s_add_co_ci_u32 s23, s23, _ZNK8migraphx13basic_printerIZNS_4coutEvEUlT_E_ElsEPKc@rel32@hi+24
	s_wait_alu 0xfffc
	s_swappc_b64 s[30:31], s[22:23]
	s_getpc_b64 s[0:1]
	s_wait_alu 0xfffe
	s_sext_i32_i16 s1, s1
	s_add_co_u32 s0, s0, .str.19@rel32@lo+12
	s_wait_alu 0xfffe
	s_add_co_ci_u32 s1, s1, .str.19@rel32@hi+24
	s_wait_alu 0xfffe
	v_dual_mov_b32 v0, s0 :: v_dual_mov_b32 v1, s1
	s_mov_b64 s[8:9], s[18:19]
	s_wait_alu 0xfffe
	s_swappc_b64 s[30:31], s[22:23]
	v_dual_mov_b32 v0, s20 :: v_dual_mov_b32 v1, s21
	s_mov_b64 s[8:9], s[18:19]
	s_wait_alu 0xfffe
	s_swappc_b64 s[30:31], s[22:23]
	flat_load_b64 v[37:38], v[37:38] offset:8
	v_dual_mov_b32 v49, 0 :: v_dual_mov_b32 v52, 33
	s_mov_b32 s27, 0
	v_mov_b32_e32 v51, 1
	s_wait_alu 0xfffe
	s_mov_b32 s23, s27
	s_mov_b32 s20, s27
	;; [unrolled: 1-line block ×4, first 2 shown]
	s_wait_alu 0xfffe
	v_dual_mov_b32 v67, s23 :: v_dual_mov_b32 v64, s20
	v_dual_mov_b32 v53, v49 :: v_dual_mov_b32 v54, v49
	;; [unrolled: 1-line block ×4, first 2 shown]
	s_mov_b32 s26, s27
	s_branch .LBB4_165
.LBB4_164:                              ;   in Loop: Header=BB4_165 Depth=1
	s_wait_alu 0xfffe
	s_or_b32 exec_lo, exec_lo, s3
	s_add_co_i32 s26, s26, 1
	s_wait_alu 0xfffe
	s_cmp_lg_u32 s26, 3
	s_cbranch_scc0 .LBB4_326
.LBB4_165:                              ; =>This Loop Header: Depth=1
                                        ;     Child Loop BB4_170 Depth 2
                                        ;     Child Loop BB4_178 Depth 2
	;; [unrolled: 1-line block ×9, first 2 shown]
                                        ;       Child Loop BB4_199 Depth 3
                                        ;       Child Loop BB4_206 Depth 3
	;; [unrolled: 1-line block ×11, first 2 shown]
                                        ;     Child Loop BB4_303 Depth 2
                                        ;     Child Loop BB4_311 Depth 2
	;; [unrolled: 1-line block ×4, first 2 shown]
	s_wait_alu 0xfffe
	s_cmp_eq_u32 s26, 0
	s_cbranch_scc1 .LBB4_167
; %bb.166:                              ;   in Loop: Header=BB4_165 Depth=1
	s_getpc_b64 s[0:1]
	s_wait_alu 0xfffe
	s_sext_i32_i16 s1, s1
	s_add_co_u32 s0, s0, .str.13@rel32@lo+12
	s_wait_alu 0xfffe
	s_add_co_ci_u32 s1, s1, .str.13@rel32@hi+24
	s_wait_alu 0xfffe
	v_dual_mov_b32 v0, s0 :: v_dual_mov_b32 v1, s1
	s_mov_b64 s[8:9], s[18:19]
	s_getpc_b64 s[2:3]
	s_wait_alu 0xfffe
	s_sext_i32_i16 s3, s3
	s_add_co_u32 s2, s2, _ZNK8migraphx13basic_printerIZNS_4coutEvEUlT_E_ElsEPKc@rel32@lo+12
	s_wait_alu 0xfffe
	s_add_co_ci_u32 s3, s3, _ZNK8migraphx13basic_printerIZNS_4coutEvEUlT_E_ElsEPKc@rel32@hi+24
	s_wait_alu 0xfffc
	s_swappc_b64 s[30:31], s[2:3]
.LBB4_167:                              ;   in Loop: Header=BB4_165 Depth=1
	s_lshl_b64 s[0:1], s[26:27], 2
	v_mov_b32_e32 v4, 0
	s_wait_loadcnt_dscnt 0x0
	s_wait_alu 0xfffe
	v_add_co_u32 v0, vcc_lo, v37, s0
	s_wait_alu 0xfffd
	v_add_co_ci_u32_e32 v1, vcc_lo, s1, v38, vcc_lo
	v_readfirstlane_b32 s0, v39
	v_mov_b32_e32 v5, 0
	flat_load_b32 v26, v[0:1]
	s_wait_alu 0xf1ff
	v_cmp_eq_u32_e64 s0, s0, v39
	s_delay_alu instid0(VALU_DEP_1)
	s_and_saveexec_b32 s1, s0
	s_cbranch_execz .LBB4_173
; %bb.168:                              ;   in Loop: Header=BB4_165 Depth=1
	global_load_b64 v[2:3], v49, s[24:25] offset:24 scope:SCOPE_SYS
	s_wait_loadcnt 0x0
	global_inv scope:SCOPE_SYS
	s_clause 0x1
	global_load_b64 v[0:1], v49, s[24:25] offset:40
	global_load_b64 v[4:5], v49, s[24:25]
	s_mov_b32 s2, exec_lo
	s_wait_loadcnt 0x1
	v_and_b32_e32 v1, v1, v3
	v_and_b32_e32 v0, v0, v2
	s_delay_alu instid0(VALU_DEP_2) | instskip(NEXT) | instid1(VALU_DEP_2)
	v_mul_lo_u32 v1, 24, v1
	v_mul_lo_u32 v6, 0, v0
	v_mul_hi_u32 v7, 24, v0
	v_mul_lo_u32 v0, 24, v0
	s_delay_alu instid0(VALU_DEP_3) | instskip(SKIP_1) | instid1(VALU_DEP_2)
	v_add_nc_u32_e32 v1, v1, v6
	s_wait_loadcnt 0x0
	v_add_co_u32 v0, vcc_lo, v4, v0
	s_delay_alu instid0(VALU_DEP_2) | instskip(SKIP_1) | instid1(VALU_DEP_1)
	v_add_nc_u32_e32 v1, v1, v7
	s_wait_alu 0xfffd
	v_add_co_ci_u32_e32 v1, vcc_lo, v5, v1, vcc_lo
	global_load_b64 v[0:1], v[0:1], off scope:SCOPE_SYS
	s_wait_loadcnt 0x0
	global_atomic_cmpswap_b64 v[4:5], v49, v[0:3], s[24:25] offset:24 th:TH_ATOMIC_RETURN scope:SCOPE_SYS
	s_wait_loadcnt 0x0
	global_inv scope:SCOPE_SYS
	v_cmpx_ne_u64_e64 v[4:5], v[2:3]
	s_cbranch_execz .LBB4_172
; %bb.169:                              ;   in Loop: Header=BB4_165 Depth=1
	s_mov_b32 s3, 0
.LBB4_170:                              ;   Parent Loop BB4_165 Depth=1
                                        ; =>  This Inner Loop Header: Depth=2
	s_sleep 1
	s_clause 0x1
	global_load_b64 v[0:1], v49, s[24:25] offset:40
	global_load_b64 v[6:7], v49, s[24:25]
	v_dual_mov_b32 v2, v4 :: v_dual_mov_b32 v3, v5
	s_wait_loadcnt 0x1
	s_delay_alu instid0(VALU_DEP_1) | instskip(NEXT) | instid1(VALU_DEP_2)
	v_and_b32_e32 v0, v0, v2
	v_and_b32_e32 v1, v1, v3
	s_wait_loadcnt 0x0
	s_delay_alu instid0(VALU_DEP_2) | instskip(NEXT) | instid1(VALU_DEP_1)
	v_mad_co_u64_u32 v[4:5], null, v0, 24, v[6:7]
	v_mov_b32_e32 v0, v5
	s_delay_alu instid0(VALU_DEP_1) | instskip(NEXT) | instid1(VALU_DEP_1)
	v_mad_co_u64_u32 v[0:1], null, v1, 24, v[0:1]
	v_mov_b32_e32 v5, v0
	global_load_b64 v[0:1], v[4:5], off scope:SCOPE_SYS
	s_wait_loadcnt 0x0
	global_atomic_cmpswap_b64 v[4:5], v49, v[0:3], s[24:25] offset:24 th:TH_ATOMIC_RETURN scope:SCOPE_SYS
	s_wait_loadcnt 0x0
	global_inv scope:SCOPE_SYS
	v_cmp_eq_u64_e32 vcc_lo, v[4:5], v[2:3]
	s_wait_alu 0xfffe
	s_or_b32 s3, vcc_lo, s3
	s_wait_alu 0xfffe
	s_and_not1_b32 exec_lo, exec_lo, s3
	s_cbranch_execnz .LBB4_170
; %bb.171:                              ;   in Loop: Header=BB4_165 Depth=1
	s_or_b32 exec_lo, exec_lo, s3
.LBB4_172:                              ;   in Loop: Header=BB4_165 Depth=1
	s_wait_alu 0xfffe
	s_or_b32 exec_lo, exec_lo, s2
.LBB4_173:                              ;   in Loop: Header=BB4_165 Depth=1
	s_wait_alu 0xfffe
	s_or_b32 exec_lo, exec_lo, s1
	s_clause 0x1
	global_load_b64 v[6:7], v49, s[24:25] offset:40
	global_load_b128 v[0:3], v49, s[24:25]
	v_readfirstlane_b32 s1, v5
	v_readfirstlane_b32 s2, v4
	s_mov_b32 s3, exec_lo
	s_wait_loadcnt 0x1
	s_wait_alu 0xf1ff
	v_and_b32_e32 v7, s1, v7
	v_and_b32_e32 v6, s2, v6
	s_delay_alu instid0(VALU_DEP_2) | instskip(NEXT) | instid1(VALU_DEP_2)
	v_mul_lo_u32 v4, 24, v7
	v_mul_lo_u32 v5, 0, v6
	v_mul_hi_u32 v8, 24, v6
	v_mul_lo_u32 v9, 24, v6
	s_delay_alu instid0(VALU_DEP_3) | instskip(NEXT) | instid1(VALU_DEP_1)
	v_add_nc_u32_e32 v4, v4, v5
	v_add_nc_u32_e32 v5, v4, v8
	s_wait_loadcnt 0x0
	s_delay_alu instid0(VALU_DEP_3) | instskip(SKIP_1) | instid1(VALU_DEP_2)
	v_add_co_u32 v4, vcc_lo, v0, v9
	s_wait_alu 0xfffd
	v_add_co_ci_u32_e32 v5, vcc_lo, v1, v5, vcc_lo
	s_and_saveexec_b32 s4, s0
	s_cbranch_execz .LBB4_175
; %bb.174:                              ;   in Loop: Header=BB4_165 Depth=1
	s_wait_alu 0xfffe
	v_mov_b32_e32 v48, s3
	global_store_b128 v[4:5], v[48:51], off offset:8
.LBB4_175:                              ;   in Loop: Header=BB4_165 Depth=1
	s_wait_alu 0xfffe
	s_or_b32 exec_lo, exec_lo, s4
	v_lshlrev_b64_e32 v[6:7], 12, v[6:7]
	s_delay_alu instid0(VALU_DEP_1) | instskip(SKIP_1) | instid1(VALU_DEP_2)
	v_add_co_u32 v8, vcc_lo, v2, v6
	s_wait_alu 0xfffd
	v_add_co_ci_u32_e32 v9, vcc_lo, v3, v7, vcc_lo
	s_delay_alu instid0(VALU_DEP_2) | instskip(NEXT) | instid1(VALU_DEP_2)
	v_readfirstlane_b32 s4, v8
	v_readfirstlane_b32 s5, v9
	s_clause 0x3
	global_store_b128 v70, v[52:55], s[4:5]
	global_store_b128 v70, v[64:67], s[4:5] offset:16
	global_store_b128 v70, v[64:67], s[4:5] offset:32
	;; [unrolled: 1-line block ×3, first 2 shown]
	s_and_saveexec_b32 s3, s0
	s_cbranch_execz .LBB4_183
; %bb.176:                              ;   in Loop: Header=BB4_165 Depth=1
	s_clause 0x1
	global_load_b64 v[12:13], v49, s[24:25] offset:32 scope:SCOPE_SYS
	global_load_b64 v[2:3], v49, s[24:25] offset:40
	s_mov_b32 s4, exec_lo
	v_dual_mov_b32 v10, s2 :: v_dual_mov_b32 v11, s1
	s_wait_loadcnt 0x0
	v_and_b32_e32 v3, s1, v3
	v_and_b32_e32 v2, s2, v2
	s_delay_alu instid0(VALU_DEP_2) | instskip(NEXT) | instid1(VALU_DEP_2)
	v_mul_lo_u32 v3, 24, v3
	v_mul_lo_u32 v6, 0, v2
	v_mul_hi_u32 v7, 24, v2
	v_mul_lo_u32 v2, 24, v2
	s_delay_alu instid0(VALU_DEP_3) | instskip(NEXT) | instid1(VALU_DEP_2)
	v_add_nc_u32_e32 v3, v3, v6
	v_add_co_u32 v6, vcc_lo, v0, v2
	s_delay_alu instid0(VALU_DEP_2) | instskip(SKIP_1) | instid1(VALU_DEP_1)
	v_add_nc_u32_e32 v3, v3, v7
	s_wait_alu 0xfffd
	v_add_co_ci_u32_e32 v7, vcc_lo, v1, v3, vcc_lo
	global_store_b64 v[6:7], v[12:13], off
	global_wb scope:SCOPE_SYS
	s_wait_storecnt 0x0
	global_atomic_cmpswap_b64 v[2:3], v49, v[10:13], s[24:25] offset:32 th:TH_ATOMIC_RETURN scope:SCOPE_SYS
	s_wait_loadcnt 0x0
	v_cmpx_ne_u64_e64 v[2:3], v[12:13]
	s_cbranch_execz .LBB4_179
; %bb.177:                              ;   in Loop: Header=BB4_165 Depth=1
	s_mov_b32 s5, 0
.LBB4_178:                              ;   Parent Loop BB4_165 Depth=1
                                        ; =>  This Inner Loop Header: Depth=2
	v_dual_mov_b32 v0, s2 :: v_dual_mov_b32 v1, s1
	s_sleep 1
	global_store_b64 v[6:7], v[2:3], off
	global_wb scope:SCOPE_SYS
	s_wait_storecnt 0x0
	global_atomic_cmpswap_b64 v[0:1], v49, v[0:3], s[24:25] offset:32 th:TH_ATOMIC_RETURN scope:SCOPE_SYS
	s_wait_loadcnt 0x0
	v_cmp_eq_u64_e32 vcc_lo, v[0:1], v[2:3]
	v_dual_mov_b32 v3, v1 :: v_dual_mov_b32 v2, v0
	s_wait_alu 0xfffe
	s_or_b32 s5, vcc_lo, s5
	s_wait_alu 0xfffe
	s_and_not1_b32 exec_lo, exec_lo, s5
	s_cbranch_execnz .LBB4_178
.LBB4_179:                              ;   in Loop: Header=BB4_165 Depth=1
	s_wait_alu 0xfffe
	s_or_b32 exec_lo, exec_lo, s4
	global_load_b64 v[0:1], v49, s[24:25] offset:16
	s_mov_b32 s5, exec_lo
	s_mov_b32 s4, exec_lo
	s_wait_alu 0xfffe
	v_mbcnt_lo_u32_b32 v2, s5, 0
	s_delay_alu instid0(VALU_DEP_1)
	v_cmpx_eq_u32_e32 0, v2
	s_cbranch_execz .LBB4_181
; %bb.180:                              ;   in Loop: Header=BB4_165 Depth=1
	s_bcnt1_i32_b32 s5, s5
	s_wait_alu 0xfffe
	v_mov_b32_e32 v48, s5
	global_wb scope:SCOPE_SYS
	s_wait_loadcnt 0x0
	global_atomic_add_u64 v[0:1], v[48:49], off offset:8 scope:SCOPE_SYS
.LBB4_181:                              ;   in Loop: Header=BB4_165 Depth=1
	s_or_b32 exec_lo, exec_lo, s4
	s_wait_loadcnt 0x0
	global_load_b64 v[2:3], v[0:1], off offset:16
	s_wait_loadcnt 0x0
	v_cmp_eq_u64_e32 vcc_lo, 0, v[2:3]
	s_cbranch_vccnz .LBB4_183
; %bb.182:                              ;   in Loop: Header=BB4_165 Depth=1
	global_load_b32 v48, v[0:1], off offset:24
	s_wait_loadcnt 0x0
	v_and_b32_e32 v0, 0xffffff, v48
	global_wb scope:SCOPE_SYS
	s_wait_storecnt 0x0
	global_store_b64 v[2:3], v[48:49], off scope:SCOPE_SYS
	v_readfirstlane_b32 m0, v0
	s_sendmsg sendmsg(MSG_INTERRUPT)
.LBB4_183:                              ;   in Loop: Header=BB4_165 Depth=1
	s_wait_alu 0xfffe
	s_or_b32 exec_lo, exec_lo, s3
	v_add_co_u32 v0, vcc_lo, v8, v70
	s_wait_alu 0xfffd
	v_add_co_ci_u32_e32 v1, vcc_lo, 0, v9, vcc_lo
	s_branch .LBB4_187
.LBB4_184:                              ;   in Loop: Header=BB4_187 Depth=2
	s_wait_alu 0xfffe
	s_or_b32 exec_lo, exec_lo, s3
	s_delay_alu instid0(VALU_DEP_1) | instskip(NEXT) | instid1(VALU_DEP_1)
	v_readfirstlane_b32 s3, v2
	s_cmp_eq_u32 s3, 0
	s_cbranch_scc1 .LBB4_186
; %bb.185:                              ;   in Loop: Header=BB4_187 Depth=2
	s_sleep 1
	s_cbranch_execnz .LBB4_187
	s_branch .LBB4_189
.LBB4_186:                              ;   in Loop: Header=BB4_165 Depth=1
	s_branch .LBB4_189
.LBB4_187:                              ;   Parent Loop BB4_165 Depth=1
                                        ; =>  This Inner Loop Header: Depth=2
	v_mov_b32_e32 v2, 1
	s_and_saveexec_b32 s3, s0
	s_cbranch_execz .LBB4_184
; %bb.188:                              ;   in Loop: Header=BB4_187 Depth=2
	global_load_b32 v2, v[4:5], off offset:20 scope:SCOPE_SYS
	s_wait_loadcnt 0x0
	global_inv scope:SCOPE_SYS
	v_and_b32_e32 v2, 1, v2
	s_branch .LBB4_184
.LBB4_189:                              ;   in Loop: Header=BB4_165 Depth=1
	global_load_b64 v[0:1], v[0:1], off
	s_and_saveexec_b32 s3, s0
	s_cbranch_execz .LBB4_193
; %bb.190:                              ;   in Loop: Header=BB4_165 Depth=1
	s_clause 0x2
	global_load_b64 v[4:5], v49, s[24:25] offset:40
	global_load_b64 v[8:9], v49, s[24:25] offset:24 scope:SCOPE_SYS
	global_load_b64 v[6:7], v49, s[24:25]
	s_wait_loadcnt 0x2
	v_add_co_u32 v10, vcc_lo, v4, 1
	s_wait_alu 0xfffd
	v_add_co_ci_u32_e32 v11, vcc_lo, 0, v5, vcc_lo
	s_delay_alu instid0(VALU_DEP_2) | instskip(SKIP_1) | instid1(VALU_DEP_2)
	v_add_co_u32 v2, vcc_lo, v10, s2
	s_wait_alu 0xfffd
	v_add_co_ci_u32_e32 v3, vcc_lo, s1, v11, vcc_lo
	s_delay_alu instid0(VALU_DEP_1) | instskip(SKIP_2) | instid1(VALU_DEP_1)
	v_cmp_eq_u64_e32 vcc_lo, 0, v[2:3]
	s_wait_alu 0xfffd
	v_dual_cndmask_b32 v3, v3, v11 :: v_dual_cndmask_b32 v2, v2, v10
	v_and_b32_e32 v5, v3, v5
	s_delay_alu instid0(VALU_DEP_2) | instskip(NEXT) | instid1(VALU_DEP_1)
	v_and_b32_e32 v4, v2, v4
	v_mul_lo_u32 v10, 0, v4
	v_mul_hi_u32 v11, 24, v4
	v_mul_lo_u32 v4, 24, v4
	s_wait_loadcnt 0x0
	s_delay_alu instid0(VALU_DEP_1) | instskip(SKIP_2) | instid1(VALU_DEP_1)
	v_add_co_u32 v6, vcc_lo, v6, v4
	v_mov_b32_e32 v4, v8
	v_mul_lo_u32 v5, 24, v5
	v_add_nc_u32_e32 v5, v5, v10
	s_delay_alu instid0(VALU_DEP_1) | instskip(SKIP_1) | instid1(VALU_DEP_1)
	v_add_nc_u32_e32 v5, v5, v11
	s_wait_alu 0xfffd
	v_add_co_ci_u32_e32 v7, vcc_lo, v7, v5, vcc_lo
	v_mov_b32_e32 v5, v9
	global_store_b64 v[6:7], v[8:9], off
	global_wb scope:SCOPE_SYS
	s_wait_storecnt 0x0
	global_atomic_cmpswap_b64 v[4:5], v49, v[2:5], s[24:25] offset:24 th:TH_ATOMIC_RETURN scope:SCOPE_SYS
	s_wait_loadcnt 0x0
	v_cmp_ne_u64_e32 vcc_lo, v[4:5], v[8:9]
	s_and_b32 exec_lo, exec_lo, vcc_lo
	s_cbranch_execz .LBB4_193
; %bb.191:                              ;   in Loop: Header=BB4_165 Depth=1
	s_mov_b32 s0, 0
.LBB4_192:                              ;   Parent Loop BB4_165 Depth=1
                                        ; =>  This Inner Loop Header: Depth=2
	s_sleep 1
	global_store_b64 v[6:7], v[4:5], off
	global_wb scope:SCOPE_SYS
	s_wait_storecnt 0x0
	global_atomic_cmpswap_b64 v[8:9], v49, v[2:5], s[24:25] offset:24 th:TH_ATOMIC_RETURN scope:SCOPE_SYS
	s_wait_loadcnt 0x0
	v_cmp_eq_u64_e32 vcc_lo, v[8:9], v[4:5]
	v_dual_mov_b32 v4, v8 :: v_dual_mov_b32 v5, v9
	s_wait_alu 0xfffe
	s_or_b32 s0, vcc_lo, s0
	s_wait_alu 0xfffe
	s_and_not1_b32 exec_lo, exec_lo, s0
	s_cbranch_execnz .LBB4_192
.LBB4_193:                              ;   in Loop: Header=BB4_165 Depth=1
	s_wait_alu 0xfffe
	s_or_b32 exec_lo, exec_lo, s3
	s_delay_alu instid0(SALU_CYCLE_1)
	s_and_b32 vcc_lo, exec_lo, s28
	s_wait_alu 0xfffe
	s_cbranch_vccz .LBB4_272
; %bb.194:                              ;   in Loop: Header=BB4_165 Depth=1
	s_wait_loadcnt 0x0
	v_and_b32_e32 v27, 2, v0
	v_dual_mov_b32 v3, v1 :: v_dual_and_b32 v2, -3, v0
	s_mov_b64 s[4:5], 4
	s_getpc_b64 s[2:3]
	s_wait_alu 0xfffe
	s_sext_i32_i16 s3, s3
	s_add_co_u32 s2, s2, .str.9@rel32@lo+12
	s_wait_alu 0xfffe
	s_add_co_ci_u32 s3, s3, .str.9@rel32@hi+24
	s_branch .LBB4_196
.LBB4_195:                              ;   in Loop: Header=BB4_196 Depth=2
	s_wait_alu 0xfffe
	s_or_b32 exec_lo, exec_lo, s9
	s_sub_nc_u64 s[4:5], s[4:5], s[6:7]
	s_add_nc_u64 s[2:3], s[2:3], s[6:7]
	s_wait_alu 0xfffe
	s_cmp_lg_u64 s[4:5], 0
	s_cbranch_scc0 .LBB4_271
.LBB4_196:                              ;   Parent Loop BB4_165 Depth=1
                                        ; =>  This Loop Header: Depth=2
                                        ;       Child Loop BB4_199 Depth 3
                                        ;       Child Loop BB4_206 Depth 3
	;; [unrolled: 1-line block ×11, first 2 shown]
	v_cmp_lt_u64_e64 s0, s[4:5], 56
	v_cmp_gt_u64_e64 s1, s[4:5], 7
	s_delay_alu instid0(VALU_DEP_2) | instskip(SKIP_2) | instid1(VALU_DEP_1)
	s_and_b32 s0, s0, exec_lo
	s_cselect_b32 s7, s5, 0
	s_cselect_b32 s6, s4, 56
	s_and_b32 vcc_lo, exec_lo, s1
	s_wait_alu 0xfffe
	s_cbranch_vccnz .LBB4_201
; %bb.197:                              ;   in Loop: Header=BB4_196 Depth=2
	s_wait_loadcnt 0x0
	v_mov_b32_e32 v4, 0
	v_mov_b32_e32 v5, 0
	s_cmp_eq_u64 s[4:5], 0
	s_mov_b64 s[0:1], 0
	s_cbranch_scc1 .LBB4_200
; %bb.198:                              ;   in Loop: Header=BB4_196 Depth=2
	v_mov_b32_e32 v4, 0
	v_mov_b32_e32 v5, 0
	s_mov_b64 s[8:9], 0
.LBB4_199:                              ;   Parent Loop BB4_165 Depth=1
                                        ;     Parent Loop BB4_196 Depth=2
                                        ; =>    This Inner Loop Header: Depth=3
	s_wait_alu 0xfffe
	s_add_nc_u64 s[10:11], s[2:3], s[8:9]
	s_add_nc_u64 s[8:9], s[8:9], 1
	global_load_u8 v6, v49, s[10:11]
	s_wait_alu 0xfffe
	s_cmp_lg_u32 s6, s8
	s_wait_loadcnt 0x0
	v_and_b32_e32 v48, 0xffff, v6
	s_delay_alu instid0(VALU_DEP_1) | instskip(SKIP_1) | instid1(VALU_DEP_1)
	v_lshlrev_b64_e32 v[6:7], s0, v[48:49]
	s_add_nc_u64 s[0:1], s[0:1], 8
	v_or_b32_e32 v4, v6, v4
	s_delay_alu instid0(VALU_DEP_2)
	v_or_b32_e32 v5, v7, v5
	s_cbranch_scc1 .LBB4_199
.LBB4_200:                              ;   in Loop: Header=BB4_196 Depth=2
	s_mov_b32 s12, 0
	s_mov_b64 s[0:1], s[2:3]
	s_cbranch_execz .LBB4_202
	s_branch .LBB4_203
.LBB4_201:                              ;   in Loop: Header=BB4_196 Depth=2
                                        ; implicit-def: $vgpr4_vgpr5
                                        ; implicit-def: $sgpr12
	s_mov_b64 s[0:1], s[2:3]
.LBB4_202:                              ;   in Loop: Header=BB4_196 Depth=2
	global_load_b64 v[4:5], v49, s[2:3]
	s_add_co_i32 s12, s6, -8
	s_add_nc_u64 s[0:1], s[2:3], 8
.LBB4_203:                              ;   in Loop: Header=BB4_196 Depth=2
	s_wait_alu 0xfffe
	s_cmp_gt_u32 s12, 7
	s_cbranch_scc1 .LBB4_208
; %bb.204:                              ;   in Loop: Header=BB4_196 Depth=2
	v_mov_b32_e32 v6, 0
	v_mov_b32_e32 v7, 0
	s_cmp_eq_u32 s12, 0
	s_cbranch_scc1 .LBB4_207
; %bb.205:                              ;   in Loop: Header=BB4_196 Depth=2
	s_mov_b64 s[8:9], 0
	s_mov_b64 s[10:11], 0
.LBB4_206:                              ;   Parent Loop BB4_165 Depth=1
                                        ;     Parent Loop BB4_196 Depth=2
                                        ; =>    This Inner Loop Header: Depth=3
	s_wait_alu 0xfffe
	s_add_nc_u64 s[14:15], s[0:1], s[10:11]
	s_add_nc_u64 s[10:11], s[10:11], 1
	global_load_u8 v8, v49, s[14:15]
	s_wait_alu 0xfffe
	s_cmp_lg_u32 s12, s10
	s_wait_loadcnt 0x0
	v_and_b32_e32 v48, 0xffff, v8
	s_delay_alu instid0(VALU_DEP_1) | instskip(SKIP_1) | instid1(VALU_DEP_1)
	v_lshlrev_b64_e32 v[8:9], s8, v[48:49]
	s_add_nc_u64 s[8:9], s[8:9], 8
	v_or_b32_e32 v6, v8, v6
	s_delay_alu instid0(VALU_DEP_2)
	v_or_b32_e32 v7, v9, v7
	s_cbranch_scc1 .LBB4_206
.LBB4_207:                              ;   in Loop: Header=BB4_196 Depth=2
	s_mov_b32 s13, 0
	s_cbranch_execz .LBB4_209
	s_branch .LBB4_210
.LBB4_208:                              ;   in Loop: Header=BB4_196 Depth=2
                                        ; implicit-def: $vgpr6_vgpr7
                                        ; implicit-def: $sgpr13
.LBB4_209:                              ;   in Loop: Header=BB4_196 Depth=2
	global_load_b64 v[6:7], v49, s[0:1]
	s_add_co_i32 s13, s12, -8
	s_add_nc_u64 s[0:1], s[0:1], 8
.LBB4_210:                              ;   in Loop: Header=BB4_196 Depth=2
	s_wait_alu 0xfffe
	s_cmp_gt_u32 s13, 7
	s_cbranch_scc1 .LBB4_215
; %bb.211:                              ;   in Loop: Header=BB4_196 Depth=2
	v_mov_b32_e32 v8, 0
	v_mov_b32_e32 v9, 0
	s_cmp_eq_u32 s13, 0
	s_cbranch_scc1 .LBB4_214
; %bb.212:                              ;   in Loop: Header=BB4_196 Depth=2
	s_mov_b64 s[8:9], 0
	s_mov_b64 s[10:11], 0
.LBB4_213:                              ;   Parent Loop BB4_165 Depth=1
                                        ;     Parent Loop BB4_196 Depth=2
                                        ; =>    This Inner Loop Header: Depth=3
	s_wait_alu 0xfffe
	s_add_nc_u64 s[14:15], s[0:1], s[10:11]
	s_add_nc_u64 s[10:11], s[10:11], 1
	global_load_u8 v10, v49, s[14:15]
	s_wait_alu 0xfffe
	s_cmp_lg_u32 s13, s10
	s_wait_loadcnt 0x0
	v_and_b32_e32 v48, 0xffff, v10
	s_delay_alu instid0(VALU_DEP_1) | instskip(SKIP_1) | instid1(VALU_DEP_1)
	v_lshlrev_b64_e32 v[10:11], s8, v[48:49]
	s_add_nc_u64 s[8:9], s[8:9], 8
	v_or_b32_e32 v8, v10, v8
	s_delay_alu instid0(VALU_DEP_2)
	v_or_b32_e32 v9, v11, v9
	s_cbranch_scc1 .LBB4_213
.LBB4_214:                              ;   in Loop: Header=BB4_196 Depth=2
	s_mov_b32 s12, 0
	s_cbranch_execz .LBB4_216
	s_branch .LBB4_217
.LBB4_215:                              ;   in Loop: Header=BB4_196 Depth=2
                                        ; implicit-def: $sgpr12
.LBB4_216:                              ;   in Loop: Header=BB4_196 Depth=2
	global_load_b64 v[8:9], v49, s[0:1]
	s_add_co_i32 s12, s13, -8
	s_add_nc_u64 s[0:1], s[0:1], 8
.LBB4_217:                              ;   in Loop: Header=BB4_196 Depth=2
	s_wait_alu 0xfffe
	s_cmp_gt_u32 s12, 7
	s_cbranch_scc1 .LBB4_222
; %bb.218:                              ;   in Loop: Header=BB4_196 Depth=2
	v_mov_b32_e32 v10, 0
	v_mov_b32_e32 v11, 0
	s_cmp_eq_u32 s12, 0
	s_cbranch_scc1 .LBB4_221
; %bb.219:                              ;   in Loop: Header=BB4_196 Depth=2
	s_mov_b64 s[8:9], 0
	s_mov_b64 s[10:11], 0
.LBB4_220:                              ;   Parent Loop BB4_165 Depth=1
                                        ;     Parent Loop BB4_196 Depth=2
                                        ; =>    This Inner Loop Header: Depth=3
	s_wait_alu 0xfffe
	s_add_nc_u64 s[14:15], s[0:1], s[10:11]
	s_add_nc_u64 s[10:11], s[10:11], 1
	global_load_u8 v12, v49, s[14:15]
	s_wait_alu 0xfffe
	s_cmp_lg_u32 s12, s10
	s_wait_loadcnt 0x0
	v_and_b32_e32 v48, 0xffff, v12
	s_delay_alu instid0(VALU_DEP_1) | instskip(SKIP_1) | instid1(VALU_DEP_1)
	v_lshlrev_b64_e32 v[12:13], s8, v[48:49]
	s_add_nc_u64 s[8:9], s[8:9], 8
	v_or_b32_e32 v10, v12, v10
	s_delay_alu instid0(VALU_DEP_2)
	v_or_b32_e32 v11, v13, v11
	s_cbranch_scc1 .LBB4_220
.LBB4_221:                              ;   in Loop: Header=BB4_196 Depth=2
	s_mov_b32 s13, 0
	s_cbranch_execz .LBB4_223
	s_branch .LBB4_224
.LBB4_222:                              ;   in Loop: Header=BB4_196 Depth=2
                                        ; implicit-def: $vgpr10_vgpr11
                                        ; implicit-def: $sgpr13
.LBB4_223:                              ;   in Loop: Header=BB4_196 Depth=2
	global_load_b64 v[10:11], v49, s[0:1]
	s_add_co_i32 s13, s12, -8
	s_add_nc_u64 s[0:1], s[0:1], 8
.LBB4_224:                              ;   in Loop: Header=BB4_196 Depth=2
	s_wait_alu 0xfffe
	s_cmp_gt_u32 s13, 7
	s_cbranch_scc1 .LBB4_229
; %bb.225:                              ;   in Loop: Header=BB4_196 Depth=2
	v_mov_b32_e32 v12, 0
	v_mov_b32_e32 v13, 0
	s_cmp_eq_u32 s13, 0
	s_cbranch_scc1 .LBB4_228
; %bb.226:                              ;   in Loop: Header=BB4_196 Depth=2
	s_mov_b64 s[8:9], 0
	s_mov_b64 s[10:11], 0
.LBB4_227:                              ;   Parent Loop BB4_165 Depth=1
                                        ;     Parent Loop BB4_196 Depth=2
                                        ; =>    This Inner Loop Header: Depth=3
	s_wait_alu 0xfffe
	s_add_nc_u64 s[14:15], s[0:1], s[10:11]
	s_add_nc_u64 s[10:11], s[10:11], 1
	global_load_u8 v14, v49, s[14:15]
	s_wait_alu 0xfffe
	s_cmp_lg_u32 s13, s10
	s_wait_loadcnt 0x0
	v_and_b32_e32 v48, 0xffff, v14
	s_delay_alu instid0(VALU_DEP_1) | instskip(SKIP_1) | instid1(VALU_DEP_1)
	v_lshlrev_b64_e32 v[14:15], s8, v[48:49]
	s_add_nc_u64 s[8:9], s[8:9], 8
	v_or_b32_e32 v12, v14, v12
	s_delay_alu instid0(VALU_DEP_2)
	v_or_b32_e32 v13, v15, v13
	s_cbranch_scc1 .LBB4_227
.LBB4_228:                              ;   in Loop: Header=BB4_196 Depth=2
	s_mov_b32 s12, 0
	s_cbranch_execz .LBB4_230
	s_branch .LBB4_231
.LBB4_229:                              ;   in Loop: Header=BB4_196 Depth=2
                                        ; implicit-def: $sgpr12
.LBB4_230:                              ;   in Loop: Header=BB4_196 Depth=2
	global_load_b64 v[12:13], v49, s[0:1]
	s_add_co_i32 s12, s13, -8
	s_add_nc_u64 s[0:1], s[0:1], 8
.LBB4_231:                              ;   in Loop: Header=BB4_196 Depth=2
	s_wait_alu 0xfffe
	s_cmp_gt_u32 s12, 7
	s_cbranch_scc1 .LBB4_236
; %bb.232:                              ;   in Loop: Header=BB4_196 Depth=2
	v_mov_b32_e32 v14, 0
	v_mov_b32_e32 v15, 0
	s_cmp_eq_u32 s12, 0
	s_cbranch_scc1 .LBB4_235
; %bb.233:                              ;   in Loop: Header=BB4_196 Depth=2
	s_mov_b64 s[8:9], 0
	s_mov_b64 s[10:11], 0
.LBB4_234:                              ;   Parent Loop BB4_165 Depth=1
                                        ;     Parent Loop BB4_196 Depth=2
                                        ; =>    This Inner Loop Header: Depth=3
	s_wait_alu 0xfffe
	s_add_nc_u64 s[14:15], s[0:1], s[10:11]
	s_add_nc_u64 s[10:11], s[10:11], 1
	global_load_u8 v16, v49, s[14:15]
	s_wait_alu 0xfffe
	s_cmp_lg_u32 s12, s10
	s_wait_loadcnt 0x0
	v_and_b32_e32 v48, 0xffff, v16
	s_delay_alu instid0(VALU_DEP_1) | instskip(SKIP_1) | instid1(VALU_DEP_1)
	v_lshlrev_b64_e32 v[16:17], s8, v[48:49]
	s_add_nc_u64 s[8:9], s[8:9], 8
	v_or_b32_e32 v14, v16, v14
	s_delay_alu instid0(VALU_DEP_2)
	v_or_b32_e32 v15, v17, v15
	s_cbranch_scc1 .LBB4_234
.LBB4_235:                              ;   in Loop: Header=BB4_196 Depth=2
	s_mov_b32 s13, 0
	s_cbranch_execz .LBB4_237
	s_branch .LBB4_238
.LBB4_236:                              ;   in Loop: Header=BB4_196 Depth=2
                                        ; implicit-def: $vgpr14_vgpr15
                                        ; implicit-def: $sgpr13
.LBB4_237:                              ;   in Loop: Header=BB4_196 Depth=2
	global_load_b64 v[14:15], v49, s[0:1]
	s_add_co_i32 s13, s12, -8
	s_add_nc_u64 s[0:1], s[0:1], 8
.LBB4_238:                              ;   in Loop: Header=BB4_196 Depth=2
	s_wait_alu 0xfffe
	s_cmp_gt_u32 s13, 7
	s_cbranch_scc1 .LBB4_243
; %bb.239:                              ;   in Loop: Header=BB4_196 Depth=2
	v_mov_b32_e32 v16, 0
	v_mov_b32_e32 v17, 0
	s_cmp_eq_u32 s13, 0
	s_cbranch_scc1 .LBB4_242
; %bb.240:                              ;   in Loop: Header=BB4_196 Depth=2
	s_mov_b64 s[8:9], 0
	s_mov_b64 s[10:11], s[0:1]
.LBB4_241:                              ;   Parent Loop BB4_165 Depth=1
                                        ;     Parent Loop BB4_196 Depth=2
                                        ; =>    This Inner Loop Header: Depth=3
	global_load_u8 v18, v49, s[10:11]
	s_add_co_i32 s13, s13, -1
	s_wait_alu 0xfffe
	s_add_nc_u64 s[10:11], s[10:11], 1
	s_cmp_lg_u32 s13, 0
	s_wait_loadcnt 0x0
	v_and_b32_e32 v48, 0xffff, v18
	s_delay_alu instid0(VALU_DEP_1) | instskip(SKIP_1) | instid1(VALU_DEP_1)
	v_lshlrev_b64_e32 v[18:19], s8, v[48:49]
	s_add_nc_u64 s[8:9], s[8:9], 8
	v_or_b32_e32 v16, v18, v16
	s_delay_alu instid0(VALU_DEP_2)
	v_or_b32_e32 v17, v19, v17
	s_cbranch_scc1 .LBB4_241
.LBB4_242:                              ;   in Loop: Header=BB4_196 Depth=2
	s_cbranch_execz .LBB4_244
	s_branch .LBB4_245
.LBB4_243:                              ;   in Loop: Header=BB4_196 Depth=2
.LBB4_244:                              ;   in Loop: Header=BB4_196 Depth=2
	global_load_b64 v[16:17], v49, s[0:1]
.LBB4_245:                              ;   in Loop: Header=BB4_196 Depth=2
	v_readfirstlane_b32 s0, v39
	v_mov_b32_e32 v22, 0
	v_mov_b32_e32 v23, 0
	s_wait_alu 0xf1ff
	s_delay_alu instid0(VALU_DEP_3) | instskip(NEXT) | instid1(VALU_DEP_1)
	v_cmp_eq_u32_e64 s0, s0, v39
	s_and_saveexec_b32 s1, s0
	s_cbranch_execz .LBB4_251
; %bb.246:                              ;   in Loop: Header=BB4_196 Depth=2
	global_load_b64 v[20:21], v49, s[24:25] offset:24 scope:SCOPE_SYS
	s_wait_loadcnt 0x0
	global_inv scope:SCOPE_SYS
	s_clause 0x1
	global_load_b64 v[18:19], v49, s[24:25] offset:40
	global_load_b64 v[22:23], v49, s[24:25]
	s_mov_b32 s8, exec_lo
	s_wait_loadcnt 0x1
	v_and_b32_e32 v19, v19, v21
	v_and_b32_e32 v18, v18, v20
	s_delay_alu instid0(VALU_DEP_2) | instskip(NEXT) | instid1(VALU_DEP_2)
	v_mul_lo_u32 v19, 24, v19
	v_mul_lo_u32 v24, 0, v18
	v_mul_hi_u32 v25, 24, v18
	v_mul_lo_u32 v18, 24, v18
	s_delay_alu instid0(VALU_DEP_3) | instskip(SKIP_1) | instid1(VALU_DEP_2)
	v_add_nc_u32_e32 v19, v19, v24
	s_wait_loadcnt 0x0
	v_add_co_u32 v18, vcc_lo, v22, v18
	s_delay_alu instid0(VALU_DEP_2) | instskip(SKIP_1) | instid1(VALU_DEP_1)
	v_add_nc_u32_e32 v19, v19, v25
	s_wait_alu 0xfffd
	v_add_co_ci_u32_e32 v19, vcc_lo, v23, v19, vcc_lo
	global_load_b64 v[18:19], v[18:19], off scope:SCOPE_SYS
	s_wait_loadcnt 0x0
	global_atomic_cmpswap_b64 v[22:23], v49, v[18:21], s[24:25] offset:24 th:TH_ATOMIC_RETURN scope:SCOPE_SYS
	s_wait_loadcnt 0x0
	global_inv scope:SCOPE_SYS
	v_cmpx_ne_u64_e64 v[22:23], v[20:21]
	s_cbranch_execz .LBB4_250
; %bb.247:                              ;   in Loop: Header=BB4_196 Depth=2
	s_mov_b32 s9, 0
.LBB4_248:                              ;   Parent Loop BB4_165 Depth=1
                                        ;     Parent Loop BB4_196 Depth=2
                                        ; =>    This Inner Loop Header: Depth=3
	s_sleep 1
	s_clause 0x1
	global_load_b64 v[18:19], v49, s[24:25] offset:40
	global_load_b64 v[24:25], v49, s[24:25]
	v_dual_mov_b32 v20, v22 :: v_dual_mov_b32 v21, v23
	s_wait_loadcnt 0x1
	s_delay_alu instid0(VALU_DEP_1) | instskip(NEXT) | instid1(VALU_DEP_2)
	v_and_b32_e32 v18, v18, v20
	v_and_b32_e32 v19, v19, v21
	s_wait_loadcnt 0x0
	s_delay_alu instid0(VALU_DEP_2) | instskip(NEXT) | instid1(VALU_DEP_1)
	v_mad_co_u64_u32 v[22:23], null, v18, 24, v[24:25]
	v_mov_b32_e32 v18, v23
	s_delay_alu instid0(VALU_DEP_1) | instskip(NEXT) | instid1(VALU_DEP_1)
	v_mad_co_u64_u32 v[18:19], null, v19, 24, v[18:19]
	v_mov_b32_e32 v23, v18
	global_load_b64 v[18:19], v[22:23], off scope:SCOPE_SYS
	s_wait_loadcnt 0x0
	global_atomic_cmpswap_b64 v[22:23], v49, v[18:21], s[24:25] offset:24 th:TH_ATOMIC_RETURN scope:SCOPE_SYS
	s_wait_loadcnt 0x0
	global_inv scope:SCOPE_SYS
	v_cmp_eq_u64_e32 vcc_lo, v[22:23], v[20:21]
	s_wait_alu 0xfffe
	s_or_b32 s9, vcc_lo, s9
	s_wait_alu 0xfffe
	s_and_not1_b32 exec_lo, exec_lo, s9
	s_cbranch_execnz .LBB4_248
; %bb.249:                              ;   in Loop: Header=BB4_196 Depth=2
	s_or_b32 exec_lo, exec_lo, s9
.LBB4_250:                              ;   in Loop: Header=BB4_196 Depth=2
	s_wait_alu 0xfffe
	s_or_b32 exec_lo, exec_lo, s8
.LBB4_251:                              ;   in Loop: Header=BB4_196 Depth=2
	s_wait_alu 0xfffe
	s_or_b32 exec_lo, exec_lo, s1
	s_clause 0x1
	global_load_b64 v[24:25], v49, s[24:25] offset:40
	global_load_b128 v[18:21], v49, s[24:25]
	v_readfirstlane_b32 s1, v23
	v_readfirstlane_b32 s8, v22
	s_mov_b32 s9, exec_lo
	s_wait_loadcnt 0x1
	s_wait_alu 0xf1ff
	v_and_b32_e32 v25, s1, v25
	v_and_b32_e32 v24, s8, v24
	s_delay_alu instid0(VALU_DEP_2) | instskip(NEXT) | instid1(VALU_DEP_2)
	v_mul_lo_u32 v22, 24, v25
	v_mul_lo_u32 v23, 0, v24
	v_mul_hi_u32 v28, 24, v24
	v_mul_lo_u32 v29, 24, v24
	s_delay_alu instid0(VALU_DEP_3) | instskip(NEXT) | instid1(VALU_DEP_1)
	v_add_nc_u32_e32 v22, v22, v23
	v_add_nc_u32_e32 v23, v22, v28
	s_wait_loadcnt 0x0
	s_delay_alu instid0(VALU_DEP_3) | instskip(SKIP_1) | instid1(VALU_DEP_2)
	v_add_co_u32 v22, vcc_lo, v18, v29
	s_wait_alu 0xfffd
	v_add_co_ci_u32_e32 v23, vcc_lo, v19, v23, vcc_lo
	s_and_saveexec_b32 s10, s0
	s_cbranch_execz .LBB4_253
; %bb.252:                              ;   in Loop: Header=BB4_196 Depth=2
	s_wait_alu 0xfffe
	v_mov_b32_e32 v48, s9
	global_store_b128 v[22:23], v[48:51], off offset:8
.LBB4_253:                              ;   in Loop: Header=BB4_196 Depth=2
	s_wait_alu 0xfffe
	s_or_b32 exec_lo, exec_lo, s10
	v_cmp_gt_u64_e64 vcc_lo, s[4:5], 56
	v_lshlrev_b64_e32 v[24:25], 12, v[24:25]
	v_or_b32_e32 v28, 0, v3
	v_or_b32_e32 v29, v2, v27
	s_lshl_b32 s9, s6, 2
	s_wait_alu 0xfffe
	s_add_co_i32 s9, s9, 28
	s_wait_alu 0xfffd
	v_dual_cndmask_b32 v3, v28, v3 :: v_dual_cndmask_b32 v2, v29, v2
	v_add_co_u32 v20, vcc_lo, v20, v24
	s_wait_alu 0xfffd
	v_add_co_ci_u32_e32 v21, vcc_lo, v21, v25, vcc_lo
	s_wait_alu 0xfffe
	s_and_b32 s9, s9, 0x1e0
	v_readfirstlane_b32 s10, v20
	s_wait_alu 0xfffe
	v_and_or_b32 v2, 0xffffff1f, v2, s9
	v_readfirstlane_b32 s11, v21
	s_clause 0x3
	global_store_b128 v70, v[2:5], s[10:11]
	global_store_b128 v70, v[6:9], s[10:11] offset:16
	global_store_b128 v70, v[10:13], s[10:11] offset:32
	;; [unrolled: 1-line block ×3, first 2 shown]
	s_and_saveexec_b32 s9, s0
	s_cbranch_execz .LBB4_261
; %bb.254:                              ;   in Loop: Header=BB4_196 Depth=2
	s_clause 0x1
	global_load_b64 v[10:11], v49, s[24:25] offset:32 scope:SCOPE_SYS
	global_load_b64 v[2:3], v49, s[24:25] offset:40
	s_mov_b32 s10, exec_lo
	v_dual_mov_b32 v8, s8 :: v_dual_mov_b32 v9, s1
	s_wait_loadcnt 0x0
	v_and_b32_e32 v3, s1, v3
	v_and_b32_e32 v2, s8, v2
	s_delay_alu instid0(VALU_DEP_2) | instskip(NEXT) | instid1(VALU_DEP_2)
	v_mul_lo_u32 v3, 24, v3
	v_mul_lo_u32 v4, 0, v2
	v_mul_hi_u32 v5, 24, v2
	v_mul_lo_u32 v2, 24, v2
	s_delay_alu instid0(VALU_DEP_3) | instskip(NEXT) | instid1(VALU_DEP_2)
	v_add_nc_u32_e32 v3, v3, v4
	v_add_co_u32 v6, vcc_lo, v18, v2
	s_delay_alu instid0(VALU_DEP_2) | instskip(SKIP_1) | instid1(VALU_DEP_1)
	v_add_nc_u32_e32 v3, v3, v5
	s_wait_alu 0xfffd
	v_add_co_ci_u32_e32 v7, vcc_lo, v19, v3, vcc_lo
	global_store_b64 v[6:7], v[10:11], off
	global_wb scope:SCOPE_SYS
	s_wait_storecnt 0x0
	global_atomic_cmpswap_b64 v[4:5], v49, v[8:11], s[24:25] offset:32 th:TH_ATOMIC_RETURN scope:SCOPE_SYS
	s_wait_loadcnt 0x0
	v_cmpx_ne_u64_e64 v[4:5], v[10:11]
	s_cbranch_execz .LBB4_257
; %bb.255:                              ;   in Loop: Header=BB4_196 Depth=2
	s_mov_b32 s11, 0
.LBB4_256:                              ;   Parent Loop BB4_165 Depth=1
                                        ;     Parent Loop BB4_196 Depth=2
                                        ; =>    This Inner Loop Header: Depth=3
	v_dual_mov_b32 v2, s8 :: v_dual_mov_b32 v3, s1
	s_sleep 1
	global_store_b64 v[6:7], v[4:5], off
	global_wb scope:SCOPE_SYS
	s_wait_storecnt 0x0
	global_atomic_cmpswap_b64 v[2:3], v49, v[2:5], s[24:25] offset:32 th:TH_ATOMIC_RETURN scope:SCOPE_SYS
	s_wait_loadcnt 0x0
	v_cmp_eq_u64_e32 vcc_lo, v[2:3], v[4:5]
	v_dual_mov_b32 v5, v3 :: v_dual_mov_b32 v4, v2
	s_wait_alu 0xfffe
	s_or_b32 s11, vcc_lo, s11
	s_wait_alu 0xfffe
	s_and_not1_b32 exec_lo, exec_lo, s11
	s_cbranch_execnz .LBB4_256
.LBB4_257:                              ;   in Loop: Header=BB4_196 Depth=2
	s_wait_alu 0xfffe
	s_or_b32 exec_lo, exec_lo, s10
	global_load_b64 v[2:3], v49, s[24:25] offset:16
	s_mov_b32 s11, exec_lo
	s_mov_b32 s10, exec_lo
	s_wait_alu 0xfffe
	v_mbcnt_lo_u32_b32 v4, s11, 0
	s_delay_alu instid0(VALU_DEP_1)
	v_cmpx_eq_u32_e32 0, v4
	s_cbranch_execz .LBB4_259
; %bb.258:                              ;   in Loop: Header=BB4_196 Depth=2
	s_bcnt1_i32_b32 s11, s11
	s_wait_alu 0xfffe
	v_mov_b32_e32 v48, s11
	global_wb scope:SCOPE_SYS
	s_wait_loadcnt 0x0
	global_atomic_add_u64 v[2:3], v[48:49], off offset:8 scope:SCOPE_SYS
.LBB4_259:                              ;   in Loop: Header=BB4_196 Depth=2
	s_or_b32 exec_lo, exec_lo, s10
	s_wait_loadcnt 0x0
	global_load_b64 v[4:5], v[2:3], off offset:16
	s_wait_loadcnt 0x0
	v_cmp_eq_u64_e32 vcc_lo, 0, v[4:5]
	s_cbranch_vccnz .LBB4_261
; %bb.260:                              ;   in Loop: Header=BB4_196 Depth=2
	global_load_b32 v48, v[2:3], off offset:24
	s_wait_loadcnt 0x0
	v_and_b32_e32 v2, 0xffffff, v48
	global_wb scope:SCOPE_SYS
	s_wait_storecnt 0x0
	global_store_b64 v[4:5], v[48:49], off scope:SCOPE_SYS
	v_readfirstlane_b32 m0, v2
	s_sendmsg sendmsg(MSG_INTERRUPT)
.LBB4_261:                              ;   in Loop: Header=BB4_196 Depth=2
	s_wait_alu 0xfffe
	s_or_b32 exec_lo, exec_lo, s9
	v_add_co_u32 v2, vcc_lo, v20, v70
	s_wait_alu 0xfffd
	v_add_co_ci_u32_e32 v3, vcc_lo, 0, v21, vcc_lo
	s_branch .LBB4_265
.LBB4_262:                              ;   in Loop: Header=BB4_265 Depth=3
	s_wait_alu 0xfffe
	s_or_b32 exec_lo, exec_lo, s9
	s_delay_alu instid0(VALU_DEP_1) | instskip(NEXT) | instid1(VALU_DEP_1)
	v_readfirstlane_b32 s9, v4
	s_cmp_eq_u32 s9, 0
	s_cbranch_scc1 .LBB4_264
; %bb.263:                              ;   in Loop: Header=BB4_265 Depth=3
	s_sleep 1
	s_cbranch_execnz .LBB4_265
	s_branch .LBB4_267
.LBB4_264:                              ;   in Loop: Header=BB4_196 Depth=2
	s_branch .LBB4_267
.LBB4_265:                              ;   Parent Loop BB4_165 Depth=1
                                        ;     Parent Loop BB4_196 Depth=2
                                        ; =>    This Inner Loop Header: Depth=3
	v_mov_b32_e32 v4, 1
	s_and_saveexec_b32 s9, s0
	s_cbranch_execz .LBB4_262
; %bb.266:                              ;   in Loop: Header=BB4_265 Depth=3
	global_load_b32 v4, v[22:23], off offset:20 scope:SCOPE_SYS
	s_wait_loadcnt 0x0
	global_inv scope:SCOPE_SYS
	v_and_b32_e32 v4, 1, v4
	s_branch .LBB4_262
.LBB4_267:                              ;   in Loop: Header=BB4_196 Depth=2
	global_load_b128 v[2:5], v[2:3], off
	s_and_saveexec_b32 s9, s0
	s_cbranch_execz .LBB4_195
; %bb.268:                              ;   in Loop: Header=BB4_196 Depth=2
	s_clause 0x2
	global_load_b64 v[6:7], v49, s[24:25] offset:40
	global_load_b64 v[10:11], v49, s[24:25] offset:24 scope:SCOPE_SYS
	global_load_b64 v[8:9], v49, s[24:25]
	s_wait_loadcnt 0x2
	v_add_co_u32 v12, vcc_lo, v6, 1
	s_wait_alu 0xfffd
	v_add_co_ci_u32_e32 v13, vcc_lo, 0, v7, vcc_lo
	s_delay_alu instid0(VALU_DEP_2) | instskip(SKIP_1) | instid1(VALU_DEP_2)
	v_add_co_u32 v4, vcc_lo, v12, s8
	s_wait_alu 0xfffd
	v_add_co_ci_u32_e32 v5, vcc_lo, s1, v13, vcc_lo
	s_delay_alu instid0(VALU_DEP_1) | instskip(SKIP_2) | instid1(VALU_DEP_1)
	v_cmp_eq_u64_e32 vcc_lo, 0, v[4:5]
	s_wait_alu 0xfffd
	v_dual_cndmask_b32 v5, v5, v13 :: v_dual_cndmask_b32 v4, v4, v12
	v_and_b32_e32 v7, v5, v7
	s_delay_alu instid0(VALU_DEP_2) | instskip(NEXT) | instid1(VALU_DEP_1)
	v_and_b32_e32 v6, v4, v6
	v_mul_lo_u32 v12, 0, v6
	v_mul_hi_u32 v13, 24, v6
	v_mul_lo_u32 v6, 24, v6
	s_wait_loadcnt 0x0
	s_delay_alu instid0(VALU_DEP_1) | instskip(SKIP_2) | instid1(VALU_DEP_1)
	v_add_co_u32 v8, vcc_lo, v8, v6
	v_mov_b32_e32 v6, v10
	v_mul_lo_u32 v7, 24, v7
	v_add_nc_u32_e32 v7, v7, v12
	s_delay_alu instid0(VALU_DEP_1) | instskip(SKIP_1) | instid1(VALU_DEP_1)
	v_add_nc_u32_e32 v7, v7, v13
	s_wait_alu 0xfffd
	v_add_co_ci_u32_e32 v9, vcc_lo, v9, v7, vcc_lo
	v_mov_b32_e32 v7, v11
	global_store_b64 v[8:9], v[10:11], off
	global_wb scope:SCOPE_SYS
	s_wait_storecnt 0x0
	global_atomic_cmpswap_b64 v[6:7], v49, v[4:7], s[24:25] offset:24 th:TH_ATOMIC_RETURN scope:SCOPE_SYS
	s_wait_loadcnt 0x0
	v_cmp_ne_u64_e32 vcc_lo, v[6:7], v[10:11]
	s_and_b32 exec_lo, exec_lo, vcc_lo
	s_cbranch_execz .LBB4_195
; %bb.269:                              ;   in Loop: Header=BB4_196 Depth=2
	s_mov_b32 s0, 0
.LBB4_270:                              ;   Parent Loop BB4_165 Depth=1
                                        ;     Parent Loop BB4_196 Depth=2
                                        ; =>    This Inner Loop Header: Depth=3
	s_sleep 1
	global_store_b64 v[8:9], v[6:7], off
	global_wb scope:SCOPE_SYS
	s_wait_storecnt 0x0
	global_atomic_cmpswap_b64 v[10:11], v49, v[4:7], s[24:25] offset:24 th:TH_ATOMIC_RETURN scope:SCOPE_SYS
	s_wait_loadcnt 0x0
	v_cmp_eq_u64_e32 vcc_lo, v[10:11], v[6:7]
	v_dual_mov_b32 v6, v10 :: v_dual_mov_b32 v7, v11
	s_wait_alu 0xfffe
	s_or_b32 s0, vcc_lo, s0
	s_wait_alu 0xfffe
	s_and_not1_b32 exec_lo, exec_lo, s0
	s_cbranch_execnz .LBB4_270
	s_branch .LBB4_195
.LBB4_271:                              ;   in Loop: Header=BB4_165 Depth=1
	s_branch .LBB4_300
.LBB4_272:                              ;   in Loop: Header=BB4_165 Depth=1
                                        ; implicit-def: $vgpr2_vgpr3
	s_cbranch_execz .LBB4_300
; %bb.273:                              ;   in Loop: Header=BB4_165 Depth=1
	v_readfirstlane_b32 s0, v39
	s_wait_loadcnt 0x0
	v_mov_b32_e32 v2, 0
	v_mov_b32_e32 v3, 0
	s_wait_alu 0xf1ff
	v_cmp_eq_u32_e64 s0, s0, v39
	s_delay_alu instid0(VALU_DEP_1)
	s_and_saveexec_b32 s1, s0
	s_cbranch_execz .LBB4_279
; %bb.274:                              ;   in Loop: Header=BB4_165 Depth=1
	global_load_b64 v[4:5], v49, s[24:25] offset:24 scope:SCOPE_SYS
	s_wait_loadcnt 0x0
	global_inv scope:SCOPE_SYS
	s_clause 0x1
	global_load_b64 v[2:3], v49, s[24:25] offset:40
	global_load_b64 v[6:7], v49, s[24:25]
	s_mov_b32 s2, exec_lo
	s_wait_loadcnt 0x1
	v_and_b32_e32 v3, v3, v5
	v_and_b32_e32 v2, v2, v4
	s_delay_alu instid0(VALU_DEP_2) | instskip(NEXT) | instid1(VALU_DEP_2)
	v_mul_lo_u32 v3, 24, v3
	v_mul_lo_u32 v8, 0, v2
	v_mul_hi_u32 v9, 24, v2
	v_mul_lo_u32 v2, 24, v2
	s_delay_alu instid0(VALU_DEP_3) | instskip(SKIP_1) | instid1(VALU_DEP_2)
	v_add_nc_u32_e32 v3, v3, v8
	s_wait_loadcnt 0x0
	v_add_co_u32 v2, vcc_lo, v6, v2
	s_delay_alu instid0(VALU_DEP_2) | instskip(SKIP_1) | instid1(VALU_DEP_1)
	v_add_nc_u32_e32 v3, v3, v9
	s_wait_alu 0xfffd
	v_add_co_ci_u32_e32 v3, vcc_lo, v7, v3, vcc_lo
	global_load_b64 v[2:3], v[2:3], off scope:SCOPE_SYS
	s_wait_loadcnt 0x0
	global_atomic_cmpswap_b64 v[2:3], v49, v[2:5], s[24:25] offset:24 th:TH_ATOMIC_RETURN scope:SCOPE_SYS
	s_wait_loadcnt 0x0
	global_inv scope:SCOPE_SYS
	v_cmpx_ne_u64_e64 v[2:3], v[4:5]
	s_cbranch_execz .LBB4_278
; %bb.275:                              ;   in Loop: Header=BB4_165 Depth=1
	s_mov_b32 s3, 0
.LBB4_276:                              ;   Parent Loop BB4_165 Depth=1
                                        ; =>  This Inner Loop Header: Depth=2
	s_sleep 1
	s_clause 0x1
	global_load_b64 v[6:7], v49, s[24:25] offset:40
	global_load_b64 v[8:9], v49, s[24:25]
	v_dual_mov_b32 v5, v3 :: v_dual_mov_b32 v4, v2
	s_wait_loadcnt 0x1
	s_delay_alu instid0(VALU_DEP_1) | instskip(NEXT) | instid1(VALU_DEP_2)
	v_and_b32_e32 v2, v6, v4
	v_and_b32_e32 v6, v7, v5
	s_wait_loadcnt 0x0
	s_delay_alu instid0(VALU_DEP_2) | instskip(NEXT) | instid1(VALU_DEP_1)
	v_mad_co_u64_u32 v[2:3], null, v2, 24, v[8:9]
	v_mad_co_u64_u32 v[6:7], null, v6, 24, v[3:4]
	s_delay_alu instid0(VALU_DEP_1)
	v_mov_b32_e32 v3, v6
	global_load_b64 v[2:3], v[2:3], off scope:SCOPE_SYS
	s_wait_loadcnt 0x0
	global_atomic_cmpswap_b64 v[2:3], v49, v[2:5], s[24:25] offset:24 th:TH_ATOMIC_RETURN scope:SCOPE_SYS
	s_wait_loadcnt 0x0
	global_inv scope:SCOPE_SYS
	v_cmp_eq_u64_e32 vcc_lo, v[2:3], v[4:5]
	s_wait_alu 0xfffe
	s_or_b32 s3, vcc_lo, s3
	s_wait_alu 0xfffe
	s_and_not1_b32 exec_lo, exec_lo, s3
	s_cbranch_execnz .LBB4_276
; %bb.277:                              ;   in Loop: Header=BB4_165 Depth=1
	s_or_b32 exec_lo, exec_lo, s3
.LBB4_278:                              ;   in Loop: Header=BB4_165 Depth=1
	s_wait_alu 0xfffe
	s_or_b32 exec_lo, exec_lo, s2
.LBB4_279:                              ;   in Loop: Header=BB4_165 Depth=1
	s_wait_alu 0xfffe
	s_or_b32 exec_lo, exec_lo, s1
	s_clause 0x1
	global_load_b64 v[8:9], v49, s[24:25] offset:40
	global_load_b128 v[4:7], v49, s[24:25]
	v_readfirstlane_b32 s1, v3
	v_readfirstlane_b32 s2, v2
	s_mov_b32 s3, exec_lo
	s_wait_loadcnt 0x1
	s_wait_alu 0xf1ff
	v_and_b32_e32 v3, s1, v9
	v_and_b32_e32 v2, s2, v8
	s_delay_alu instid0(VALU_DEP_2) | instskip(NEXT) | instid1(VALU_DEP_2)
	v_mul_lo_u32 v8, 24, v3
	v_mul_lo_u32 v9, 0, v2
	v_mul_hi_u32 v10, 24, v2
	v_mul_lo_u32 v11, 24, v2
	s_delay_alu instid0(VALU_DEP_3) | instskip(NEXT) | instid1(VALU_DEP_1)
	v_add_nc_u32_e32 v8, v8, v9
	v_add_nc_u32_e32 v9, v8, v10
	s_wait_loadcnt 0x0
	s_delay_alu instid0(VALU_DEP_3) | instskip(SKIP_1) | instid1(VALU_DEP_2)
	v_add_co_u32 v8, vcc_lo, v4, v11
	s_wait_alu 0xfffd
	v_add_co_ci_u32_e32 v9, vcc_lo, v5, v9, vcc_lo
	s_and_saveexec_b32 s4, s0
	s_cbranch_execz .LBB4_281
; %bb.280:                              ;   in Loop: Header=BB4_165 Depth=1
	s_wait_alu 0xfffe
	v_mov_b32_e32 v48, s3
	global_store_b128 v[8:9], v[48:51], off offset:8
.LBB4_281:                              ;   in Loop: Header=BB4_165 Depth=1
	s_wait_alu 0xfffe
	s_or_b32 exec_lo, exec_lo, s4
	v_lshlrev_b64_e32 v[2:3], 12, v[2:3]
	v_and_or_b32 v0, 0xffffff1f, v0, 32
	v_dual_mov_b32 v10, s20 :: v_dual_mov_b32 v11, s21
	v_dual_mov_b32 v12, s22 :: v_dual_mov_b32 v13, s23
	s_delay_alu instid0(VALU_DEP_4) | instskip(SKIP_3) | instid1(VALU_DEP_3)
	v_add_co_u32 v6, vcc_lo, v6, v2
	s_wait_alu 0xfffd
	v_add_co_ci_u32_e32 v7, vcc_lo, v7, v3, vcc_lo
	v_dual_mov_b32 v2, v49 :: v_dual_mov_b32 v3, v49
	v_readfirstlane_b32 s4, v6
	s_delay_alu instid0(VALU_DEP_3)
	v_readfirstlane_b32 s5, v7
	s_clause 0x3
	global_store_b128 v70, v[0:3], s[4:5]
	global_store_b128 v70, v[10:13], s[4:5] offset:16
	global_store_b128 v70, v[10:13], s[4:5] offset:32
	;; [unrolled: 1-line block ×3, first 2 shown]
	s_and_saveexec_b32 s3, s0
	s_cbranch_execz .LBB4_289
; %bb.282:                              ;   in Loop: Header=BB4_165 Depth=1
	s_clause 0x1
	global_load_b64 v[12:13], v49, s[24:25] offset:32 scope:SCOPE_SYS
	global_load_b64 v[0:1], v49, s[24:25] offset:40
	s_mov_b32 s4, exec_lo
	v_dual_mov_b32 v10, s2 :: v_dual_mov_b32 v11, s1
	s_wait_loadcnt 0x0
	v_and_b32_e32 v1, s1, v1
	v_and_b32_e32 v0, s2, v0
	s_delay_alu instid0(VALU_DEP_2) | instskip(NEXT) | instid1(VALU_DEP_2)
	v_mul_lo_u32 v1, 24, v1
	v_mul_lo_u32 v2, 0, v0
	v_mul_hi_u32 v3, 24, v0
	v_mul_lo_u32 v0, 24, v0
	s_delay_alu instid0(VALU_DEP_3) | instskip(NEXT) | instid1(VALU_DEP_2)
	v_add_nc_u32_e32 v1, v1, v2
	v_add_co_u32 v4, vcc_lo, v4, v0
	s_delay_alu instid0(VALU_DEP_2) | instskip(SKIP_1) | instid1(VALU_DEP_1)
	v_add_nc_u32_e32 v1, v1, v3
	s_wait_alu 0xfffd
	v_add_co_ci_u32_e32 v5, vcc_lo, v5, v1, vcc_lo
	global_store_b64 v[4:5], v[12:13], off
	global_wb scope:SCOPE_SYS
	s_wait_storecnt 0x0
	global_atomic_cmpswap_b64 v[2:3], v49, v[10:13], s[24:25] offset:32 th:TH_ATOMIC_RETURN scope:SCOPE_SYS
	s_wait_loadcnt 0x0
	v_cmpx_ne_u64_e64 v[2:3], v[12:13]
	s_cbranch_execz .LBB4_285
; %bb.283:                              ;   in Loop: Header=BB4_165 Depth=1
	s_mov_b32 s5, 0
.LBB4_284:                              ;   Parent Loop BB4_165 Depth=1
                                        ; =>  This Inner Loop Header: Depth=2
	v_dual_mov_b32 v0, s2 :: v_dual_mov_b32 v1, s1
	s_sleep 1
	global_store_b64 v[4:5], v[2:3], off
	global_wb scope:SCOPE_SYS
	s_wait_storecnt 0x0
	global_atomic_cmpswap_b64 v[0:1], v49, v[0:3], s[24:25] offset:32 th:TH_ATOMIC_RETURN scope:SCOPE_SYS
	s_wait_loadcnt 0x0
	v_cmp_eq_u64_e32 vcc_lo, v[0:1], v[2:3]
	v_dual_mov_b32 v3, v1 :: v_dual_mov_b32 v2, v0
	s_wait_alu 0xfffe
	s_or_b32 s5, vcc_lo, s5
	s_wait_alu 0xfffe
	s_and_not1_b32 exec_lo, exec_lo, s5
	s_cbranch_execnz .LBB4_284
.LBB4_285:                              ;   in Loop: Header=BB4_165 Depth=1
	s_wait_alu 0xfffe
	s_or_b32 exec_lo, exec_lo, s4
	global_load_b64 v[0:1], v49, s[24:25] offset:16
	s_mov_b32 s5, exec_lo
	s_mov_b32 s4, exec_lo
	s_wait_alu 0xfffe
	v_mbcnt_lo_u32_b32 v2, s5, 0
	s_delay_alu instid0(VALU_DEP_1)
	v_cmpx_eq_u32_e32 0, v2
	s_cbranch_execz .LBB4_287
; %bb.286:                              ;   in Loop: Header=BB4_165 Depth=1
	s_bcnt1_i32_b32 s5, s5
	s_wait_alu 0xfffe
	v_mov_b32_e32 v48, s5
	global_wb scope:SCOPE_SYS
	s_wait_loadcnt 0x0
	global_atomic_add_u64 v[0:1], v[48:49], off offset:8 scope:SCOPE_SYS
.LBB4_287:                              ;   in Loop: Header=BB4_165 Depth=1
	s_or_b32 exec_lo, exec_lo, s4
	s_wait_loadcnt 0x0
	global_load_b64 v[2:3], v[0:1], off offset:16
	s_wait_loadcnt 0x0
	v_cmp_eq_u64_e32 vcc_lo, 0, v[2:3]
	s_cbranch_vccnz .LBB4_289
; %bb.288:                              ;   in Loop: Header=BB4_165 Depth=1
	global_load_b32 v48, v[0:1], off offset:24
	s_wait_loadcnt 0x0
	v_and_b32_e32 v0, 0xffffff, v48
	global_wb scope:SCOPE_SYS
	s_wait_storecnt 0x0
	global_store_b64 v[2:3], v[48:49], off scope:SCOPE_SYS
	v_readfirstlane_b32 m0, v0
	s_sendmsg sendmsg(MSG_INTERRUPT)
.LBB4_289:                              ;   in Loop: Header=BB4_165 Depth=1
	s_wait_alu 0xfffe
	s_or_b32 exec_lo, exec_lo, s3
	v_add_co_u32 v0, vcc_lo, v6, v70
	s_wait_alu 0xfffd
	v_add_co_ci_u32_e32 v1, vcc_lo, 0, v7, vcc_lo
	s_branch .LBB4_293
.LBB4_290:                              ;   in Loop: Header=BB4_293 Depth=2
	s_wait_alu 0xfffe
	s_or_b32 exec_lo, exec_lo, s3
	s_delay_alu instid0(VALU_DEP_1) | instskip(NEXT) | instid1(VALU_DEP_1)
	v_readfirstlane_b32 s3, v2
	s_cmp_eq_u32 s3, 0
	s_cbranch_scc1 .LBB4_292
; %bb.291:                              ;   in Loop: Header=BB4_293 Depth=2
	s_sleep 1
	s_cbranch_execnz .LBB4_293
	s_branch .LBB4_295
.LBB4_292:                              ;   in Loop: Header=BB4_165 Depth=1
	s_branch .LBB4_295
.LBB4_293:                              ;   Parent Loop BB4_165 Depth=1
                                        ; =>  This Inner Loop Header: Depth=2
	v_mov_b32_e32 v2, 1
	s_and_saveexec_b32 s3, s0
	s_cbranch_execz .LBB4_290
; %bb.294:                              ;   in Loop: Header=BB4_293 Depth=2
	global_load_b32 v2, v[8:9], off offset:20 scope:SCOPE_SYS
	s_wait_loadcnt 0x0
	global_inv scope:SCOPE_SYS
	v_and_b32_e32 v2, 1, v2
	s_branch .LBB4_290
.LBB4_295:                              ;   in Loop: Header=BB4_165 Depth=1
	global_load_b64 v[2:3], v[0:1], off
	s_and_saveexec_b32 s3, s0
	s_cbranch_execz .LBB4_299
; %bb.296:                              ;   in Loop: Header=BB4_165 Depth=1
	s_clause 0x2
	global_load_b64 v[0:1], v49, s[24:25] offset:40
	global_load_b64 v[8:9], v49, s[24:25] offset:24 scope:SCOPE_SYS
	global_load_b64 v[6:7], v49, s[24:25]
	s_wait_loadcnt 0x2
	v_add_co_u32 v10, vcc_lo, v0, 1
	s_wait_alu 0xfffd
	v_add_co_ci_u32_e32 v11, vcc_lo, 0, v1, vcc_lo
	s_delay_alu instid0(VALU_DEP_2) | instskip(SKIP_1) | instid1(VALU_DEP_2)
	v_add_co_u32 v4, vcc_lo, v10, s2
	s_wait_alu 0xfffd
	v_add_co_ci_u32_e32 v5, vcc_lo, s1, v11, vcc_lo
	s_delay_alu instid0(VALU_DEP_1) | instskip(SKIP_2) | instid1(VALU_DEP_1)
	v_cmp_eq_u64_e32 vcc_lo, 0, v[4:5]
	s_wait_alu 0xfffd
	v_dual_cndmask_b32 v5, v5, v11 :: v_dual_cndmask_b32 v4, v4, v10
	v_and_b32_e32 v1, v5, v1
	s_delay_alu instid0(VALU_DEP_2) | instskip(NEXT) | instid1(VALU_DEP_1)
	v_and_b32_e32 v0, v4, v0
	v_mul_lo_u32 v10, 0, v0
	v_mul_hi_u32 v11, 24, v0
	v_mul_lo_u32 v0, 24, v0
	s_wait_loadcnt 0x0
	s_delay_alu instid0(VALU_DEP_1) | instskip(SKIP_2) | instid1(VALU_DEP_1)
	v_add_co_u32 v0, vcc_lo, v6, v0
	v_mov_b32_e32 v6, v8
	v_mul_lo_u32 v1, 24, v1
	v_add_nc_u32_e32 v1, v1, v10
	s_delay_alu instid0(VALU_DEP_1) | instskip(SKIP_1) | instid1(VALU_DEP_1)
	v_add_nc_u32_e32 v1, v1, v11
	s_wait_alu 0xfffd
	v_add_co_ci_u32_e32 v1, vcc_lo, v7, v1, vcc_lo
	v_mov_b32_e32 v7, v9
	global_store_b64 v[0:1], v[8:9], off
	global_wb scope:SCOPE_SYS
	s_wait_storecnt 0x0
	global_atomic_cmpswap_b64 v[6:7], v49, v[4:7], s[24:25] offset:24 th:TH_ATOMIC_RETURN scope:SCOPE_SYS
	s_wait_loadcnt 0x0
	v_cmp_ne_u64_e32 vcc_lo, v[6:7], v[8:9]
	s_and_b32 exec_lo, exec_lo, vcc_lo
	s_cbranch_execz .LBB4_299
; %bb.297:                              ;   in Loop: Header=BB4_165 Depth=1
	s_mov_b32 s0, 0
.LBB4_298:                              ;   Parent Loop BB4_165 Depth=1
                                        ; =>  This Inner Loop Header: Depth=2
	s_sleep 1
	global_store_b64 v[0:1], v[6:7], off
	global_wb scope:SCOPE_SYS
	s_wait_storecnt 0x0
	global_atomic_cmpswap_b64 v[8:9], v49, v[4:7], s[24:25] offset:24 th:TH_ATOMIC_RETURN scope:SCOPE_SYS
	s_wait_loadcnt 0x0
	v_cmp_eq_u64_e32 vcc_lo, v[8:9], v[6:7]
	v_dual_mov_b32 v6, v8 :: v_dual_mov_b32 v7, v9
	s_wait_alu 0xfffe
	s_or_b32 s0, vcc_lo, s0
	s_wait_alu 0xfffe
	s_and_not1_b32 exec_lo, exec_lo, s0
	s_cbranch_execnz .LBB4_298
.LBB4_299:                              ;   in Loop: Header=BB4_165 Depth=1
	s_wait_alu 0xfffe
	s_or_b32 exec_lo, exec_lo, s3
.LBB4_300:                              ;   in Loop: Header=BB4_165 Depth=1
	v_readfirstlane_b32 s0, v39
	s_wait_loadcnt 0x0
	v_mov_b32_e32 v0, 0
	v_mov_b32_e32 v1, 0
	s_wait_alu 0xf1ff
	v_cmp_eq_u32_e64 s0, s0, v39
	s_delay_alu instid0(VALU_DEP_1)
	s_and_saveexec_b32 s1, s0
	s_cbranch_execz .LBB4_306
; %bb.301:                              ;   in Loop: Header=BB4_165 Depth=1
	global_load_b64 v[6:7], v49, s[24:25] offset:24 scope:SCOPE_SYS
	s_wait_loadcnt 0x0
	global_inv scope:SCOPE_SYS
	s_clause 0x1
	global_load_b64 v[0:1], v49, s[24:25] offset:40
	global_load_b64 v[4:5], v49, s[24:25]
	s_mov_b32 s2, exec_lo
	s_wait_loadcnt 0x1
	v_and_b32_e32 v1, v1, v7
	v_and_b32_e32 v0, v0, v6
	s_delay_alu instid0(VALU_DEP_2) | instskip(NEXT) | instid1(VALU_DEP_2)
	v_mul_lo_u32 v1, 24, v1
	v_mul_lo_u32 v8, 0, v0
	v_mul_hi_u32 v9, 24, v0
	v_mul_lo_u32 v0, 24, v0
	s_delay_alu instid0(VALU_DEP_3) | instskip(SKIP_1) | instid1(VALU_DEP_2)
	v_add_nc_u32_e32 v1, v1, v8
	s_wait_loadcnt 0x0
	v_add_co_u32 v0, vcc_lo, v4, v0
	s_delay_alu instid0(VALU_DEP_2) | instskip(SKIP_1) | instid1(VALU_DEP_1)
	v_add_nc_u32_e32 v1, v1, v9
	s_wait_alu 0xfffd
	v_add_co_ci_u32_e32 v1, vcc_lo, v5, v1, vcc_lo
	global_load_b64 v[4:5], v[0:1], off scope:SCOPE_SYS
	s_wait_loadcnt 0x0
	global_atomic_cmpswap_b64 v[0:1], v49, v[4:7], s[24:25] offset:24 th:TH_ATOMIC_RETURN scope:SCOPE_SYS
	s_wait_loadcnt 0x0
	global_inv scope:SCOPE_SYS
	v_cmpx_ne_u64_e64 v[0:1], v[6:7]
	s_cbranch_execz .LBB4_305
; %bb.302:                              ;   in Loop: Header=BB4_165 Depth=1
	s_mov_b32 s3, 0
.LBB4_303:                              ;   Parent Loop BB4_165 Depth=1
                                        ; =>  This Inner Loop Header: Depth=2
	s_sleep 1
	s_clause 0x1
	global_load_b64 v[4:5], v49, s[24:25] offset:40
	global_load_b64 v[8:9], v49, s[24:25]
	v_dual_mov_b32 v7, v1 :: v_dual_mov_b32 v6, v0
	s_wait_loadcnt 0x1
	s_delay_alu instid0(VALU_DEP_1) | instskip(NEXT) | instid1(VALU_DEP_2)
	v_and_b32_e32 v0, v4, v6
	v_and_b32_e32 v4, v5, v7
	s_wait_loadcnt 0x0
	s_delay_alu instid0(VALU_DEP_2) | instskip(NEXT) | instid1(VALU_DEP_1)
	v_mad_co_u64_u32 v[0:1], null, v0, 24, v[8:9]
	v_mad_co_u64_u32 v[4:5], null, v4, 24, v[1:2]
	s_delay_alu instid0(VALU_DEP_1)
	v_mov_b32_e32 v1, v4
	global_load_b64 v[4:5], v[0:1], off scope:SCOPE_SYS
	s_wait_loadcnt 0x0
	global_atomic_cmpswap_b64 v[0:1], v49, v[4:7], s[24:25] offset:24 th:TH_ATOMIC_RETURN scope:SCOPE_SYS
	s_wait_loadcnt 0x0
	global_inv scope:SCOPE_SYS
	v_cmp_eq_u64_e32 vcc_lo, v[0:1], v[6:7]
	s_wait_alu 0xfffe
	s_or_b32 s3, vcc_lo, s3
	s_wait_alu 0xfffe
	s_and_not1_b32 exec_lo, exec_lo, s3
	s_cbranch_execnz .LBB4_303
; %bb.304:                              ;   in Loop: Header=BB4_165 Depth=1
	s_or_b32 exec_lo, exec_lo, s3
.LBB4_305:                              ;   in Loop: Header=BB4_165 Depth=1
	s_wait_alu 0xfffe
	s_or_b32 exec_lo, exec_lo, s2
.LBB4_306:                              ;   in Loop: Header=BB4_165 Depth=1
	s_wait_alu 0xfffe
	s_or_b32 exec_lo, exec_lo, s1
	s_clause 0x1
	global_load_b64 v[4:5], v49, s[24:25] offset:40
	global_load_b128 v[6:9], v49, s[24:25]
	v_readfirstlane_b32 s1, v1
	v_readfirstlane_b32 s2, v0
	s_mov_b32 s3, exec_lo
	s_wait_loadcnt 0x1
	s_wait_alu 0xf1ff
	v_and_b32_e32 v1, s1, v5
	v_and_b32_e32 v0, s2, v4
	s_delay_alu instid0(VALU_DEP_2) | instskip(NEXT) | instid1(VALU_DEP_2)
	v_mul_lo_u32 v4, 24, v1
	v_mul_lo_u32 v5, 0, v0
	v_mul_hi_u32 v10, 24, v0
	v_mul_lo_u32 v11, 24, v0
	s_delay_alu instid0(VALU_DEP_3) | instskip(NEXT) | instid1(VALU_DEP_1)
	v_add_nc_u32_e32 v4, v4, v5
	v_add_nc_u32_e32 v4, v4, v10
	s_wait_loadcnt 0x0
	s_delay_alu instid0(VALU_DEP_3) | instskip(SKIP_1) | instid1(VALU_DEP_2)
	v_add_co_u32 v10, vcc_lo, v6, v11
	s_wait_alu 0xfffd
	v_add_co_ci_u32_e32 v11, vcc_lo, v7, v4, vcc_lo
	s_and_saveexec_b32 s4, s0
	s_cbranch_execz .LBB4_308
; %bb.307:                              ;   in Loop: Header=BB4_165 Depth=1
	s_wait_alu 0xfffe
	v_mov_b32_e32 v48, s3
	global_store_b128 v[10:11], v[48:51], off offset:8
.LBB4_308:                              ;   in Loop: Header=BB4_165 Depth=1
	s_wait_alu 0xfffe
	s_or_b32 exec_lo, exec_lo, s4
	v_lshlrev_b64_e32 v[0:1], 12, v[0:1]
	v_and_or_b32 v2, 0xffffff1d, v2, 34
	s_wait_dscnt 0x0
	v_ashrrev_i32_e32 v5, 31, v26
	v_mov_b32_e32 v4, v26
	v_dual_mov_b32 v12, s20 :: v_dual_mov_b32 v15, s23
	v_add_co_u32 v0, vcc_lo, v8, v0
	s_wait_alu 0xfffd
	v_add_co_ci_u32_e32 v1, vcc_lo, v9, v1, vcc_lo
	v_mov_b32_e32 v13, s21
	s_delay_alu instid0(VALU_DEP_3) | instskip(SKIP_1) | instid1(VALU_DEP_4)
	v_readfirstlane_b32 s4, v0
	v_mov_b32_e32 v14, s22
	v_readfirstlane_b32 s5, v1
	s_clause 0x3
	global_store_b128 v70, v[2:5], s[4:5]
	global_store_b128 v70, v[12:15], s[4:5] offset:16
	global_store_b128 v70, v[12:15], s[4:5] offset:32
	;; [unrolled: 1-line block ×3, first 2 shown]
	s_and_saveexec_b32 s3, s0
	s_cbranch_execz .LBB4_316
; %bb.309:                              ;   in Loop: Header=BB4_165 Depth=1
	s_clause 0x1
	global_load_b64 v[8:9], v49, s[24:25] offset:32 scope:SCOPE_SYS
	global_load_b64 v[0:1], v49, s[24:25] offset:40
	s_mov_b32 s4, exec_lo
	s_wait_loadcnt 0x0
	v_and_b32_e32 v0, s2, v0
	v_and_b32_e32 v1, s1, v1
	s_delay_alu instid0(VALU_DEP_2) | instskip(SKIP_2) | instid1(VALU_DEP_1)
	v_mul_lo_u32 v2, 0, v0
	v_mul_hi_u32 v3, 24, v0
	v_mul_lo_u32 v0, 24, v0
	v_add_co_u32 v4, vcc_lo, v6, v0
	v_mov_b32_e32 v6, s2
	v_mul_lo_u32 v1, 24, v1
	s_delay_alu instid0(VALU_DEP_1) | instskip(NEXT) | instid1(VALU_DEP_1)
	v_add_nc_u32_e32 v1, v1, v2
	v_add_nc_u32_e32 v1, v1, v3
	s_wait_alu 0xfffd
	s_delay_alu instid0(VALU_DEP_1)
	v_add_co_ci_u32_e32 v5, vcc_lo, v7, v1, vcc_lo
	v_mov_b32_e32 v7, s1
	global_store_b64 v[4:5], v[8:9], off
	global_wb scope:SCOPE_SYS
	s_wait_storecnt 0x0
	global_atomic_cmpswap_b64 v[2:3], v49, v[6:9], s[24:25] offset:32 th:TH_ATOMIC_RETURN scope:SCOPE_SYS
	s_wait_loadcnt 0x0
	v_cmpx_ne_u64_e64 v[2:3], v[8:9]
	s_cbranch_execz .LBB4_312
; %bb.310:                              ;   in Loop: Header=BB4_165 Depth=1
	s_mov_b32 s5, 0
.LBB4_311:                              ;   Parent Loop BB4_165 Depth=1
                                        ; =>  This Inner Loop Header: Depth=2
	v_dual_mov_b32 v0, s2 :: v_dual_mov_b32 v1, s1
	s_sleep 1
	global_store_b64 v[4:5], v[2:3], off
	global_wb scope:SCOPE_SYS
	s_wait_storecnt 0x0
	global_atomic_cmpswap_b64 v[0:1], v49, v[0:3], s[24:25] offset:32 th:TH_ATOMIC_RETURN scope:SCOPE_SYS
	s_wait_loadcnt 0x0
	v_cmp_eq_u64_e32 vcc_lo, v[0:1], v[2:3]
	v_dual_mov_b32 v3, v1 :: v_dual_mov_b32 v2, v0
	s_wait_alu 0xfffe
	s_or_b32 s5, vcc_lo, s5
	s_wait_alu 0xfffe
	s_and_not1_b32 exec_lo, exec_lo, s5
	s_cbranch_execnz .LBB4_311
.LBB4_312:                              ;   in Loop: Header=BB4_165 Depth=1
	s_wait_alu 0xfffe
	s_or_b32 exec_lo, exec_lo, s4
	global_load_b64 v[0:1], v49, s[24:25] offset:16
	s_mov_b32 s5, exec_lo
	s_mov_b32 s4, exec_lo
	s_wait_alu 0xfffe
	v_mbcnt_lo_u32_b32 v2, s5, 0
	s_delay_alu instid0(VALU_DEP_1)
	v_cmpx_eq_u32_e32 0, v2
	s_cbranch_execz .LBB4_314
; %bb.313:                              ;   in Loop: Header=BB4_165 Depth=1
	s_bcnt1_i32_b32 s5, s5
	s_wait_alu 0xfffe
	v_mov_b32_e32 v48, s5
	global_wb scope:SCOPE_SYS
	s_wait_loadcnt 0x0
	global_atomic_add_u64 v[0:1], v[48:49], off offset:8 scope:SCOPE_SYS
.LBB4_314:                              ;   in Loop: Header=BB4_165 Depth=1
	s_or_b32 exec_lo, exec_lo, s4
	s_wait_loadcnt 0x0
	global_load_b64 v[2:3], v[0:1], off offset:16
	s_wait_loadcnt 0x0
	v_cmp_eq_u64_e32 vcc_lo, 0, v[2:3]
	s_cbranch_vccnz .LBB4_316
; %bb.315:                              ;   in Loop: Header=BB4_165 Depth=1
	global_load_b32 v48, v[0:1], off offset:24
	s_wait_loadcnt 0x0
	v_and_b32_e32 v0, 0xffffff, v48
	global_wb scope:SCOPE_SYS
	s_wait_storecnt 0x0
	global_store_b64 v[2:3], v[48:49], off scope:SCOPE_SYS
	v_readfirstlane_b32 m0, v0
	s_sendmsg sendmsg(MSG_INTERRUPT)
.LBB4_316:                              ;   in Loop: Header=BB4_165 Depth=1
	s_wait_alu 0xfffe
	s_or_b32 exec_lo, exec_lo, s3
	s_branch .LBB4_320
.LBB4_317:                              ;   in Loop: Header=BB4_320 Depth=2
	s_wait_alu 0xfffe
	s_or_b32 exec_lo, exec_lo, s3
	s_delay_alu instid0(VALU_DEP_1) | instskip(NEXT) | instid1(VALU_DEP_1)
	v_readfirstlane_b32 s3, v0
	s_cmp_eq_u32 s3, 0
	s_cbranch_scc1 .LBB4_319
; %bb.318:                              ;   in Loop: Header=BB4_320 Depth=2
	s_sleep 1
	s_cbranch_execnz .LBB4_320
	s_branch .LBB4_322
.LBB4_319:                              ;   in Loop: Header=BB4_165 Depth=1
	s_branch .LBB4_322
.LBB4_320:                              ;   Parent Loop BB4_165 Depth=1
                                        ; =>  This Inner Loop Header: Depth=2
	v_mov_b32_e32 v0, 1
	s_and_saveexec_b32 s3, s0
	s_cbranch_execz .LBB4_317
; %bb.321:                              ;   in Loop: Header=BB4_320 Depth=2
	global_load_b32 v0, v[10:11], off offset:20 scope:SCOPE_SYS
	s_wait_loadcnt 0x0
	global_inv scope:SCOPE_SYS
	v_and_b32_e32 v0, 1, v0
	s_branch .LBB4_317
.LBB4_322:                              ;   in Loop: Header=BB4_165 Depth=1
	s_and_saveexec_b32 s3, s0
	s_cbranch_execz .LBB4_164
; %bb.323:                              ;   in Loop: Header=BB4_165 Depth=1
	s_clause 0x2
	global_load_b64 v[2:3], v49, s[24:25] offset:40
	global_load_b64 v[6:7], v49, s[24:25] offset:24 scope:SCOPE_SYS
	global_load_b64 v[4:5], v49, s[24:25]
	s_wait_loadcnt 0x2
	v_add_co_u32 v8, vcc_lo, v2, 1
	s_wait_alu 0xfffd
	v_add_co_ci_u32_e32 v9, vcc_lo, 0, v3, vcc_lo
	s_delay_alu instid0(VALU_DEP_2) | instskip(SKIP_1) | instid1(VALU_DEP_2)
	v_add_co_u32 v0, vcc_lo, v8, s2
	s_wait_alu 0xfffd
	v_add_co_ci_u32_e32 v1, vcc_lo, s1, v9, vcc_lo
	s_delay_alu instid0(VALU_DEP_1) | instskip(SKIP_2) | instid1(VALU_DEP_1)
	v_cmp_eq_u64_e32 vcc_lo, 0, v[0:1]
	s_wait_alu 0xfffd
	v_dual_cndmask_b32 v1, v1, v9 :: v_dual_cndmask_b32 v0, v0, v8
	v_and_b32_e32 v3, v1, v3
	s_delay_alu instid0(VALU_DEP_2) | instskip(NEXT) | instid1(VALU_DEP_1)
	v_and_b32_e32 v2, v0, v2
	v_mul_lo_u32 v8, 0, v2
	v_mul_hi_u32 v9, 24, v2
	v_mul_lo_u32 v2, 24, v2
	s_wait_loadcnt 0x0
	s_delay_alu instid0(VALU_DEP_1) | instskip(SKIP_2) | instid1(VALU_DEP_1)
	v_add_co_u32 v4, vcc_lo, v4, v2
	v_mov_b32_e32 v2, v6
	v_mul_lo_u32 v3, 24, v3
	v_add_nc_u32_e32 v3, v3, v8
	s_delay_alu instid0(VALU_DEP_1) | instskip(SKIP_1) | instid1(VALU_DEP_1)
	v_add_nc_u32_e32 v3, v3, v9
	s_wait_alu 0xfffd
	v_add_co_ci_u32_e32 v5, vcc_lo, v5, v3, vcc_lo
	v_mov_b32_e32 v3, v7
	global_store_b64 v[4:5], v[6:7], off
	global_wb scope:SCOPE_SYS
	s_wait_storecnt 0x0
	global_atomic_cmpswap_b64 v[2:3], v49, v[0:3], s[24:25] offset:24 th:TH_ATOMIC_RETURN scope:SCOPE_SYS
	s_wait_loadcnt 0x0
	v_cmp_ne_u64_e32 vcc_lo, v[2:3], v[6:7]
	s_and_b32 exec_lo, exec_lo, vcc_lo
	s_cbranch_execz .LBB4_164
; %bb.324:                              ;   in Loop: Header=BB4_165 Depth=1
	s_mov_b32 s0, 0
.LBB4_325:                              ;   Parent Loop BB4_165 Depth=1
                                        ; =>  This Inner Loop Header: Depth=2
	s_sleep 1
	global_store_b64 v[4:5], v[2:3], off
	global_wb scope:SCOPE_SYS
	s_wait_storecnt 0x0
	global_atomic_cmpswap_b64 v[6:7], v49, v[0:3], s[24:25] offset:24 th:TH_ATOMIC_RETURN scope:SCOPE_SYS
	s_wait_loadcnt 0x0
	v_cmp_eq_u64_e32 vcc_lo, v[6:7], v[2:3]
	v_dual_mov_b32 v2, v6 :: v_dual_mov_b32 v3, v7
	s_wait_alu 0xfffe
	s_or_b32 s0, vcc_lo, s0
	s_wait_alu 0xfffe
	s_and_not1_b32 exec_lo, exec_lo, s0
	s_cbranch_execnz .LBB4_325
	s_branch .LBB4_164
.LBB4_326:
	v_readlane_b32 s30, v40, 0
	v_readlane_b32 s31, v40, 1
	s_or_saveexec_b32 s0, -1
	scratch_load_b32 v40, off, s33          ; 4-byte Folded Reload
	s_wait_alu 0xfffe
	s_mov_b32 exec_lo, s0
	s_add_co_i32 s32, s32, -16
	s_mov_b32 s33, s29
	s_wait_loadcnt 0x0
	s_wait_kmcnt 0x0
	s_wait_alu 0xfffc
	s_setpc_b64 s[30:31]
.Lfunc_end4:
	.size	_ZN8migraphx4testlsIKNS_13basic_printerIZNS_4coutEvEUlT_E_EEEERS3_S7_RKNS0_10expressionINS0_14lhs_expressionIRNS_5arrayIiLj3EEENS0_3nopEEESC_NS0_18greater_than_equalEEE, .Lfunc_end4-_ZN8migraphx4testlsIKNS_13basic_printerIZNS_4coutEvEUlT_E_EEEERS3_S7_RKNS0_10expressionINS0_14lhs_expressionIRNS_5arrayIiLj3EEENS0_3nopEEESC_NS0_18greater_than_equalEEE
                                        ; -- End function
	.section	.AMDGPU.csdata,"",@progbits
; Function info:
; codeLenInByte = 16168
; NumSgprs: 36
; NumVgprs: 71
; ScratchSize: 16
; MemoryBound: 0
	.text
	.p2align	2                               ; -- Begin function _ZNK8migraphx13basic_printerIZNS_4coutEvEUlT_E_ElsEc
	.type	_ZNK8migraphx13basic_printerIZNS_4coutEvEUlT_E_ElsEc,@function
_ZNK8migraphx13basic_printerIZNS_4coutEvEUlT_E_ElsEc: ; @_ZNK8migraphx13basic_printerIZNS_4coutEvEUlT_E_ElsEc
; %bb.0:
	s_wait_loadcnt_dscnt 0x0
	s_wait_expcnt 0x0
	s_wait_samplecnt 0x0
	s_wait_bvhcnt 0x0
	s_wait_kmcnt 0x0
	s_load_b64 s[2:3], s[8:9], 0x50
	v_mbcnt_lo_u32_b32 v33, -1, 0
	v_mov_b32_e32 v7, 0
	v_mov_b32_e32 v8, 0
	s_delay_alu instid0(VALU_DEP_3) | instskip(SKIP_1) | instid1(VALU_DEP_1)
	v_readfirstlane_b32 s0, v33
	s_wait_alu 0xf1ff
	v_cmp_eq_u32_e64 s0, s0, v33
	s_delay_alu instid0(VALU_DEP_1)
	s_and_saveexec_b32 s1, s0
	s_cbranch_execz .LBB5_6
; %bb.1:
	v_mov_b32_e32 v1, 0
	s_mov_b32 s4, exec_lo
	s_wait_kmcnt 0x0
	global_load_b64 v[4:5], v1, s[2:3] offset:24 scope:SCOPE_SYS
	s_wait_loadcnt 0x0
	global_inv scope:SCOPE_SYS
	s_clause 0x1
	global_load_b64 v[2:3], v1, s[2:3] offset:40
	global_load_b64 v[6:7], v1, s[2:3]
	s_wait_loadcnt 0x1
	v_and_b32_e32 v2, v2, v4
	v_and_b32_e32 v3, v3, v5
	s_delay_alu instid0(VALU_DEP_2) | instskip(NEXT) | instid1(VALU_DEP_2)
	v_mul_lo_u32 v8, 0, v2
	v_mul_lo_u32 v3, 24, v3
	v_mul_hi_u32 v9, 24, v2
	v_mul_lo_u32 v2, 24, v2
	s_delay_alu instid0(VALU_DEP_3) | instskip(SKIP_1) | instid1(VALU_DEP_2)
	v_add_nc_u32_e32 v3, v3, v8
	s_wait_loadcnt 0x0
	v_add_co_u32 v2, vcc_lo, v6, v2
	s_delay_alu instid0(VALU_DEP_2) | instskip(SKIP_1) | instid1(VALU_DEP_1)
	v_add_nc_u32_e32 v3, v3, v9
	s_wait_alu 0xfffd
	v_add_co_ci_u32_e32 v3, vcc_lo, v7, v3, vcc_lo
	global_load_b64 v[2:3], v[2:3], off scope:SCOPE_SYS
	s_wait_loadcnt 0x0
	global_atomic_cmpswap_b64 v[7:8], v1, v[2:5], s[2:3] offset:24 th:TH_ATOMIC_RETURN scope:SCOPE_SYS
	s_wait_loadcnt 0x0
	global_inv scope:SCOPE_SYS
	v_cmpx_ne_u64_e64 v[7:8], v[4:5]
	s_cbranch_execz .LBB5_5
; %bb.2:
	s_mov_b32 s5, 0
.LBB5_3:                                ; =>This Inner Loop Header: Depth=1
	s_sleep 1
	s_clause 0x1
	global_load_b64 v[2:3], v1, s[2:3] offset:40
	global_load_b64 v[9:10], v1, s[2:3]
	v_dual_mov_b32 v4, v7 :: v_dual_mov_b32 v5, v8
	s_wait_loadcnt 0x1
	s_delay_alu instid0(VALU_DEP_1) | instskip(NEXT) | instid1(VALU_DEP_2)
	v_and_b32_e32 v2, v2, v4
	v_and_b32_e32 v3, v3, v5
	s_wait_loadcnt 0x0
	s_delay_alu instid0(VALU_DEP_2) | instskip(NEXT) | instid1(VALU_DEP_1)
	v_mad_co_u64_u32 v[6:7], null, v2, 24, v[9:10]
	v_mov_b32_e32 v2, v7
	s_delay_alu instid0(VALU_DEP_1) | instskip(NEXT) | instid1(VALU_DEP_1)
	v_mad_co_u64_u32 v[2:3], null, v3, 24, v[2:3]
	v_mov_b32_e32 v7, v2
	global_load_b64 v[2:3], v[6:7], off scope:SCOPE_SYS
	s_wait_loadcnt 0x0
	global_atomic_cmpswap_b64 v[7:8], v1, v[2:5], s[2:3] offset:24 th:TH_ATOMIC_RETURN scope:SCOPE_SYS
	s_wait_loadcnt 0x0
	global_inv scope:SCOPE_SYS
	v_cmp_eq_u64_e32 vcc_lo, v[7:8], v[4:5]
	s_wait_alu 0xfffe
	s_or_b32 s5, vcc_lo, s5
	s_wait_alu 0xfffe
	s_and_not1_b32 exec_lo, exec_lo, s5
	s_cbranch_execnz .LBB5_3
; %bb.4:
	s_or_b32 exec_lo, exec_lo, s5
.LBB5_5:
	s_wait_alu 0xfffe
	s_or_b32 exec_lo, exec_lo, s4
.LBB5_6:
	s_wait_alu 0xfffe
	s_or_b32 exec_lo, exec_lo, s1
	v_readfirstlane_b32 s4, v7
	v_mov_b32_e32 v6, 0
	v_readfirstlane_b32 s1, v8
	s_mov_b32 s5, exec_lo
	s_wait_kmcnt 0x0
	s_clause 0x1
	global_load_b64 v[9:10], v6, s[2:3] offset:40
	global_load_b128 v[1:4], v6, s[2:3]
	s_wait_loadcnt 0x1
	s_wait_alu 0xf1ff
	v_and_b32_e32 v11, s4, v9
	v_and_b32_e32 v12, s1, v10
	s_delay_alu instid0(VALU_DEP_2) | instskip(NEXT) | instid1(VALU_DEP_2)
	v_mul_lo_u32 v7, 0, v11
	v_mul_lo_u32 v5, 24, v12
	v_mul_hi_u32 v8, 24, v11
	v_mul_lo_u32 v9, 24, v11
	s_delay_alu instid0(VALU_DEP_3) | instskip(SKIP_1) | instid1(VALU_DEP_2)
	v_add_nc_u32_e32 v5, v5, v7
	s_wait_loadcnt 0x0
	v_add_co_u32 v9, vcc_lo, v1, v9
	s_delay_alu instid0(VALU_DEP_2) | instskip(SKIP_1) | instid1(VALU_DEP_1)
	v_add_nc_u32_e32 v5, v5, v8
	s_wait_alu 0xfffd
	v_add_co_ci_u32_e32 v10, vcc_lo, v2, v5, vcc_lo
	s_and_saveexec_b32 s6, s0
	s_cbranch_execz .LBB5_8
; %bb.7:
	s_wait_alu 0xfffe
	v_dual_mov_b32 v5, s5 :: v_dual_mov_b32 v8, 1
	v_mov_b32_e32 v7, 2
	global_store_b128 v[9:10], v[5:8], off offset:8
.LBB5_8:
	s_wait_alu 0xfffe
	s_or_b32 exec_lo, exec_lo, s6
	v_lshlrev_b64_e32 v[11:12], 12, v[11:12]
	v_dual_mov_b32 v5, 33 :: v_dual_lshlrev_b32 v32, 6, v33
	s_mov_b32 s8, 0
	v_dual_mov_b32 v7, v6 :: v_dual_mov_b32 v8, v6
	s_delay_alu instid0(VALU_DEP_3)
	v_add_co_u32 v3, vcc_lo, v3, v11
	s_wait_alu 0xfffd
	v_add_co_ci_u32_e32 v4, vcc_lo, v4, v12, vcc_lo
	s_wait_alu 0xfffe
	s_mov_b32 s11, s8
	v_add_co_u32 v11, vcc_lo, v3, v32
	s_mov_b32 s9, s8
	s_mov_b32 s10, s8
	v_readfirstlane_b32 s6, v3
	v_readfirstlane_b32 s7, v4
	s_wait_alu 0xfffe
	v_dual_mov_b32 v16, s11 :: v_dual_mov_b32 v15, s10
	s_wait_alu 0xfffd
	v_add_co_ci_u32_e32 v12, vcc_lo, 0, v4, vcc_lo
	v_dual_mov_b32 v14, s9 :: v_dual_mov_b32 v13, s8
	s_clause 0x3
	global_store_b128 v32, v[5:8], s[6:7]
	global_store_b128 v32, v[13:16], s[6:7] offset:16
	global_store_b128 v32, v[13:16], s[6:7] offset:32
	;; [unrolled: 1-line block ×3, first 2 shown]
	s_and_saveexec_b32 s5, s0
	s_cbranch_execz .LBB5_16
; %bb.9:
	v_mov_b32_e32 v7, 0
	s_mov_b32 s6, exec_lo
	s_clause 0x1
	global_load_b64 v[15:16], v7, s[2:3] offset:32 scope:SCOPE_SYS
	global_load_b64 v[3:4], v7, s[2:3] offset:40
	v_dual_mov_b32 v14, s1 :: v_dual_mov_b32 v13, s4
	s_wait_loadcnt 0x0
	v_and_b32_e32 v4, s1, v4
	v_and_b32_e32 v3, s4, v3
	s_delay_alu instid0(VALU_DEP_2) | instskip(NEXT) | instid1(VALU_DEP_2)
	v_mul_lo_u32 v4, 24, v4
	v_mul_lo_u32 v5, 0, v3
	v_mul_hi_u32 v6, 24, v3
	v_mul_lo_u32 v3, 24, v3
	s_delay_alu instid0(VALU_DEP_3) | instskip(NEXT) | instid1(VALU_DEP_2)
	v_add_nc_u32_e32 v4, v4, v5
	v_add_co_u32 v5, vcc_lo, v1, v3
	s_delay_alu instid0(VALU_DEP_2) | instskip(SKIP_1) | instid1(VALU_DEP_1)
	v_add_nc_u32_e32 v4, v4, v6
	s_wait_alu 0xfffd
	v_add_co_ci_u32_e32 v6, vcc_lo, v2, v4, vcc_lo
	global_store_b64 v[5:6], v[15:16], off
	global_wb scope:SCOPE_SYS
	s_wait_storecnt 0x0
	global_atomic_cmpswap_b64 v[3:4], v7, v[13:16], s[2:3] offset:32 th:TH_ATOMIC_RETURN scope:SCOPE_SYS
	s_wait_loadcnt 0x0
	v_cmpx_ne_u64_e64 v[3:4], v[15:16]
	s_cbranch_execz .LBB5_12
; %bb.10:
	s_mov_b32 s7, 0
.LBB5_11:                               ; =>This Inner Loop Header: Depth=1
	v_dual_mov_b32 v1, s4 :: v_dual_mov_b32 v2, s1
	s_sleep 1
	global_store_b64 v[5:6], v[3:4], off
	global_wb scope:SCOPE_SYS
	s_wait_storecnt 0x0
	global_atomic_cmpswap_b64 v[1:2], v7, v[1:4], s[2:3] offset:32 th:TH_ATOMIC_RETURN scope:SCOPE_SYS
	s_wait_loadcnt 0x0
	v_cmp_eq_u64_e32 vcc_lo, v[1:2], v[3:4]
	v_dual_mov_b32 v4, v2 :: v_dual_mov_b32 v3, v1
	s_wait_alu 0xfffe
	s_or_b32 s7, vcc_lo, s7
	s_wait_alu 0xfffe
	s_and_not1_b32 exec_lo, exec_lo, s7
	s_cbranch_execnz .LBB5_11
.LBB5_12:
	s_wait_alu 0xfffe
	s_or_b32 exec_lo, exec_lo, s6
	v_mov_b32_e32 v4, 0
	s_mov_b32 s7, exec_lo
	s_mov_b32 s6, exec_lo
	s_wait_alu 0xfffe
	v_mbcnt_lo_u32_b32 v3, s7, 0
	global_load_b64 v[1:2], v4, s[2:3] offset:16
	v_cmpx_eq_u32_e32 0, v3
	s_cbranch_execz .LBB5_14
; %bb.13:
	s_bcnt1_i32_b32 s7, s7
	s_wait_alu 0xfffe
	v_mov_b32_e32 v3, s7
	global_wb scope:SCOPE_SYS
	s_wait_loadcnt 0x0
	global_atomic_add_u64 v[1:2], v[3:4], off offset:8 scope:SCOPE_SYS
.LBB5_14:
	s_or_b32 exec_lo, exec_lo, s6
	s_wait_loadcnt 0x0
	global_load_b64 v[3:4], v[1:2], off offset:16
	s_wait_loadcnt 0x0
	v_cmp_eq_u64_e32 vcc_lo, 0, v[3:4]
	s_cbranch_vccnz .LBB5_16
; %bb.15:
	global_load_b32 v1, v[1:2], off offset:24
	s_wait_loadcnt 0x0
	v_dual_mov_b32 v2, 0 :: v_dual_and_b32 v5, 0xffffff, v1
	global_wb scope:SCOPE_SYS
	s_wait_storecnt 0x0
	global_store_b64 v[3:4], v[1:2], off scope:SCOPE_SYS
	v_readfirstlane_b32 m0, v5
	s_sendmsg sendmsg(MSG_INTERRUPT)
.LBB5_16:
	s_wait_alu 0xfffe
	s_or_b32 exec_lo, exec_lo, s5
	s_branch .LBB5_20
.LBB5_17:                               ;   in Loop: Header=BB5_20 Depth=1
	s_wait_alu 0xfffe
	s_or_b32 exec_lo, exec_lo, s5
	s_delay_alu instid0(VALU_DEP_1) | instskip(NEXT) | instid1(VALU_DEP_1)
	v_readfirstlane_b32 s5, v1
	s_cmp_eq_u32 s5, 0
	s_cbranch_scc1 .LBB5_19
; %bb.18:                               ;   in Loop: Header=BB5_20 Depth=1
	s_sleep 1
	s_cbranch_execnz .LBB5_20
	s_branch .LBB5_22
.LBB5_19:
	s_branch .LBB5_22
.LBB5_20:                               ; =>This Inner Loop Header: Depth=1
	v_mov_b32_e32 v1, 1
	s_and_saveexec_b32 s5, s0
	s_cbranch_execz .LBB5_17
; %bb.21:                               ;   in Loop: Header=BB5_20 Depth=1
	global_load_b32 v1, v[9:10], off offset:20 scope:SCOPE_SYS
	s_wait_loadcnt 0x0
	global_inv scope:SCOPE_SYS
	v_and_b32_e32 v1, 1, v1
	s_branch .LBB5_17
.LBB5_22:
	global_load_b64 v[1:2], v[11:12], off
	s_and_saveexec_b32 s5, s0
	s_cbranch_execz .LBB5_26
; %bb.23:
	v_mov_b32_e32 v9, 0
	s_clause 0x2
	global_load_b64 v[5:6], v9, s[2:3] offset:40
	global_load_b64 v[10:11], v9, s[2:3] offset:24 scope:SCOPE_SYS
	global_load_b64 v[7:8], v9, s[2:3]
	s_wait_loadcnt 0x2
	v_add_co_u32 v12, vcc_lo, v5, 1
	s_wait_alu 0xfffd
	v_add_co_ci_u32_e32 v13, vcc_lo, 0, v6, vcc_lo
	s_delay_alu instid0(VALU_DEP_2) | instskip(SKIP_1) | instid1(VALU_DEP_2)
	v_add_co_u32 v3, vcc_lo, v12, s4
	s_wait_alu 0xfffd
	v_add_co_ci_u32_e32 v4, vcc_lo, s1, v13, vcc_lo
	s_delay_alu instid0(VALU_DEP_1) | instskip(SKIP_2) | instid1(VALU_DEP_1)
	v_cmp_eq_u64_e32 vcc_lo, 0, v[3:4]
	s_wait_alu 0xfffd
	v_dual_cndmask_b32 v4, v4, v13 :: v_dual_cndmask_b32 v3, v3, v12
	v_and_b32_e32 v6, v4, v6
	s_delay_alu instid0(VALU_DEP_2) | instskip(NEXT) | instid1(VALU_DEP_2)
	v_and_b32_e32 v5, v3, v5
	v_mul_lo_u32 v6, 24, v6
	s_delay_alu instid0(VALU_DEP_2) | instskip(SKIP_2) | instid1(VALU_DEP_3)
	v_mul_lo_u32 v12, 0, v5
	v_mul_hi_u32 v13, 24, v5
	v_mul_lo_u32 v5, 24, v5
	v_add_nc_u32_e32 v6, v6, v12
	s_wait_loadcnt 0x0
	s_delay_alu instid0(VALU_DEP_2) | instskip(SKIP_1) | instid1(VALU_DEP_3)
	v_add_co_u32 v7, vcc_lo, v7, v5
	v_mov_b32_e32 v5, v10
	v_add_nc_u32_e32 v6, v6, v13
	s_wait_alu 0xfffd
	s_delay_alu instid0(VALU_DEP_1)
	v_add_co_ci_u32_e32 v8, vcc_lo, v8, v6, vcc_lo
	v_mov_b32_e32 v6, v11
	global_store_b64 v[7:8], v[10:11], off
	global_wb scope:SCOPE_SYS
	s_wait_storecnt 0x0
	global_atomic_cmpswap_b64 v[5:6], v9, v[3:6], s[2:3] offset:24 th:TH_ATOMIC_RETURN scope:SCOPE_SYS
	s_wait_loadcnt 0x0
	v_cmp_ne_u64_e32 vcc_lo, v[5:6], v[10:11]
	s_and_b32 exec_lo, exec_lo, vcc_lo
	s_cbranch_execz .LBB5_26
; %bb.24:
	s_mov_b32 s0, 0
.LBB5_25:                               ; =>This Inner Loop Header: Depth=1
	s_sleep 1
	global_store_b64 v[7:8], v[5:6], off
	global_wb scope:SCOPE_SYS
	s_wait_storecnt 0x0
	global_atomic_cmpswap_b64 v[10:11], v9, v[3:6], s[2:3] offset:24 th:TH_ATOMIC_RETURN scope:SCOPE_SYS
	s_wait_loadcnt 0x0
	v_cmp_eq_u64_e32 vcc_lo, v[10:11], v[5:6]
	v_dual_mov_b32 v5, v10 :: v_dual_mov_b32 v6, v11
	s_wait_alu 0xfffe
	s_or_b32 s0, vcc_lo, s0
	s_wait_alu 0xfffe
	s_and_not1_b32 exec_lo, exec_lo, s0
	s_cbranch_execnz .LBB5_25
.LBB5_26:
	s_wait_alu 0xfffe
	s_or_b32 exec_lo, exec_lo, s5
	s_getpc_b64 s[4:5]
	s_wait_alu 0xfffe
	s_sext_i32_i16 s5, s5
	s_add_co_u32 s4, s4, .str.8@rel32@lo+12
	s_wait_alu 0xfffe
	s_add_co_ci_u32 s5, s5, .str.8@rel32@hi+24
	s_wait_alu 0xfffe
	s_cmp_lg_u64 s[4:5], 0
	s_cbranch_scc0 .LBB5_105
; %bb.27:
	s_wait_loadcnt 0x0
	v_dual_mov_b32 v7, 0 :: v_dual_and_b32 v34, 2, v1
	v_dual_mov_b32 v4, v2 :: v_dual_and_b32 v3, -3, v1
	v_dual_mov_b32 v8, 2 :: v_dual_mov_b32 v9, 1
	s_mov_b64 s[6:7], 3
	s_branch .LBB5_29
.LBB5_28:                               ;   in Loop: Header=BB5_29 Depth=1
	s_wait_alu 0xfffe
	s_or_b32 exec_lo, exec_lo, s11
	s_sub_nc_u64 s[6:7], s[6:7], s[8:9]
	s_add_nc_u64 s[4:5], s[4:5], s[8:9]
	s_wait_alu 0xfffe
	s_cmp_lg_u64 s[6:7], 0
	s_cbranch_scc0 .LBB5_104
.LBB5_29:                               ; =>This Loop Header: Depth=1
                                        ;     Child Loop BB5_38 Depth 2
                                        ;     Child Loop BB5_34 Depth 2
                                        ;     Child Loop BB5_46 Depth 2
                                        ;     Child Loop BB5_53 Depth 2
                                        ;     Child Loop BB5_60 Depth 2
                                        ;     Child Loop BB5_67 Depth 2
                                        ;     Child Loop BB5_74 Depth 2
                                        ;     Child Loop BB5_81 Depth 2
                                        ;     Child Loop BB5_89 Depth 2
                                        ;     Child Loop BB5_98 Depth 2
                                        ;     Child Loop BB5_103 Depth 2
	s_wait_alu 0xfffe
	v_cmp_lt_u64_e64 s0, s[6:7], 56
	v_cmp_gt_u64_e64 s1, s[6:7], 7
                                        ; implicit-def: $vgpr12_vgpr13
                                        ; implicit-def: $sgpr14
	s_delay_alu instid0(VALU_DEP_2) | instskip(SKIP_2) | instid1(VALU_DEP_1)
	s_and_b32 s0, s0, exec_lo
	s_cselect_b32 s9, s7, 0
	s_cselect_b32 s8, s6, 56
	s_and_b32 vcc_lo, exec_lo, s1
	s_mov_b32 s0, -1
	s_wait_alu 0xfffe
	s_cbranch_vccz .LBB5_36
; %bb.30:                               ;   in Loop: Header=BB5_29 Depth=1
	s_and_not1_b32 vcc_lo, exec_lo, s0
	s_mov_b64 s[0:1], s[4:5]
	s_wait_alu 0xfffe
	s_cbranch_vccz .LBB5_40
.LBB5_31:                               ;   in Loop: Header=BB5_29 Depth=1
	s_wait_alu 0xfffe
	s_cmp_gt_u32 s14, 7
	s_cbranch_scc1 .LBB5_41
.LBB5_32:                               ;   in Loop: Header=BB5_29 Depth=1
	v_mov_b32_e32 v14, 0
	v_mov_b32_e32 v15, 0
	s_cmp_eq_u32 s14, 0
	s_cbranch_scc1 .LBB5_35
; %bb.33:                               ;   in Loop: Header=BB5_29 Depth=1
	s_mov_b64 s[10:11], 0
	s_mov_b64 s[12:13], 0
.LBB5_34:                               ;   Parent Loop BB5_29 Depth=1
                                        ; =>  This Inner Loop Header: Depth=2
	s_wait_alu 0xfffe
	s_add_nc_u64 s[16:17], s[0:1], s[12:13]
	s_add_nc_u64 s[12:13], s[12:13], 1
	global_load_u8 v5, v7, s[16:17]
	s_wait_alu 0xfffe
	s_cmp_lg_u32 s14, s12
	s_wait_loadcnt 0x0
	v_and_b32_e32 v6, 0xffff, v5
	s_delay_alu instid0(VALU_DEP_1) | instskip(SKIP_1) | instid1(VALU_DEP_1)
	v_lshlrev_b64_e32 v[5:6], s10, v[6:7]
	s_add_nc_u64 s[10:11], s[10:11], 8
	v_or_b32_e32 v14, v5, v14
	s_delay_alu instid0(VALU_DEP_2)
	v_or_b32_e32 v15, v6, v15
	s_cbranch_scc1 .LBB5_34
.LBB5_35:                               ;   in Loop: Header=BB5_29 Depth=1
	s_mov_b32 s15, 0
	s_cbranch_execz .LBB5_42
	s_branch .LBB5_43
.LBB5_36:                               ;   in Loop: Header=BB5_29 Depth=1
	v_mov_b32_e32 v12, 0
	v_mov_b32_e32 v13, 0
	s_cmp_eq_u64 s[6:7], 0
	s_mov_b64 s[0:1], 0
	s_cbranch_scc1 .LBB5_39
; %bb.37:                               ;   in Loop: Header=BB5_29 Depth=1
	v_mov_b32_e32 v12, 0
	v_mov_b32_e32 v13, 0
	s_mov_b64 s[10:11], 0
.LBB5_38:                               ;   Parent Loop BB5_29 Depth=1
                                        ; =>  This Inner Loop Header: Depth=2
	s_wait_alu 0xfffe
	s_add_nc_u64 s[12:13], s[4:5], s[10:11]
	s_add_nc_u64 s[10:11], s[10:11], 1
	global_load_u8 v5, v7, s[12:13]
	s_wait_alu 0xfffe
	s_cmp_lg_u32 s8, s10
	s_wait_loadcnt 0x0
	v_and_b32_e32 v6, 0xffff, v5
	s_delay_alu instid0(VALU_DEP_1) | instskip(SKIP_1) | instid1(VALU_DEP_1)
	v_lshlrev_b64_e32 v[5:6], s0, v[6:7]
	s_add_nc_u64 s[0:1], s[0:1], 8
	v_or_b32_e32 v12, v5, v12
	s_delay_alu instid0(VALU_DEP_2)
	v_or_b32_e32 v13, v6, v13
	s_cbranch_scc1 .LBB5_38
.LBB5_39:                               ;   in Loop: Header=BB5_29 Depth=1
	s_mov_b32 s14, 0
	s_mov_b64 s[0:1], s[4:5]
	s_cbranch_execnz .LBB5_31
.LBB5_40:                               ;   in Loop: Header=BB5_29 Depth=1
	global_load_b64 v[12:13], v7, s[4:5]
	s_add_co_i32 s14, s8, -8
	s_add_nc_u64 s[0:1], s[4:5], 8
	s_wait_alu 0xfffe
	s_cmp_gt_u32 s14, 7
	s_cbranch_scc0 .LBB5_32
.LBB5_41:                               ;   in Loop: Header=BB5_29 Depth=1
                                        ; implicit-def: $vgpr14_vgpr15
                                        ; implicit-def: $sgpr15
.LBB5_42:                               ;   in Loop: Header=BB5_29 Depth=1
	global_load_b64 v[14:15], v7, s[0:1]
	s_add_co_i32 s15, s14, -8
	s_add_nc_u64 s[0:1], s[0:1], 8
.LBB5_43:                               ;   in Loop: Header=BB5_29 Depth=1
	s_wait_alu 0xfffe
	s_cmp_gt_u32 s15, 7
	s_cbranch_scc1 .LBB5_48
; %bb.44:                               ;   in Loop: Header=BB5_29 Depth=1
	v_mov_b32_e32 v16, 0
	v_mov_b32_e32 v17, 0
	s_cmp_eq_u32 s15, 0
	s_cbranch_scc1 .LBB5_47
; %bb.45:                               ;   in Loop: Header=BB5_29 Depth=1
	s_mov_b64 s[10:11], 0
	s_mov_b64 s[12:13], 0
.LBB5_46:                               ;   Parent Loop BB5_29 Depth=1
                                        ; =>  This Inner Loop Header: Depth=2
	s_wait_alu 0xfffe
	s_add_nc_u64 s[16:17], s[0:1], s[12:13]
	s_add_nc_u64 s[12:13], s[12:13], 1
	global_load_u8 v5, v7, s[16:17]
	s_wait_alu 0xfffe
	s_cmp_lg_u32 s15, s12
	s_wait_loadcnt 0x0
	v_and_b32_e32 v6, 0xffff, v5
	s_delay_alu instid0(VALU_DEP_1) | instskip(SKIP_1) | instid1(VALU_DEP_1)
	v_lshlrev_b64_e32 v[5:6], s10, v[6:7]
	s_add_nc_u64 s[10:11], s[10:11], 8
	v_or_b32_e32 v16, v5, v16
	s_delay_alu instid0(VALU_DEP_2)
	v_or_b32_e32 v17, v6, v17
	s_cbranch_scc1 .LBB5_46
.LBB5_47:                               ;   in Loop: Header=BB5_29 Depth=1
	s_mov_b32 s14, 0
	s_cbranch_execz .LBB5_49
	s_branch .LBB5_50
.LBB5_48:                               ;   in Loop: Header=BB5_29 Depth=1
                                        ; implicit-def: $sgpr14
.LBB5_49:                               ;   in Loop: Header=BB5_29 Depth=1
	global_load_b64 v[16:17], v7, s[0:1]
	s_add_co_i32 s14, s15, -8
	s_add_nc_u64 s[0:1], s[0:1], 8
.LBB5_50:                               ;   in Loop: Header=BB5_29 Depth=1
	s_wait_alu 0xfffe
	s_cmp_gt_u32 s14, 7
	s_cbranch_scc1 .LBB5_55
; %bb.51:                               ;   in Loop: Header=BB5_29 Depth=1
	v_mov_b32_e32 v18, 0
	v_mov_b32_e32 v19, 0
	s_cmp_eq_u32 s14, 0
	s_cbranch_scc1 .LBB5_54
; %bb.52:                               ;   in Loop: Header=BB5_29 Depth=1
	s_mov_b64 s[10:11], 0
	s_mov_b64 s[12:13], 0
.LBB5_53:                               ;   Parent Loop BB5_29 Depth=1
                                        ; =>  This Inner Loop Header: Depth=2
	s_wait_alu 0xfffe
	s_add_nc_u64 s[16:17], s[0:1], s[12:13]
	s_add_nc_u64 s[12:13], s[12:13], 1
	global_load_u8 v5, v7, s[16:17]
	s_wait_alu 0xfffe
	s_cmp_lg_u32 s14, s12
	s_wait_loadcnt 0x0
	v_and_b32_e32 v6, 0xffff, v5
	s_delay_alu instid0(VALU_DEP_1) | instskip(SKIP_1) | instid1(VALU_DEP_1)
	v_lshlrev_b64_e32 v[5:6], s10, v[6:7]
	s_add_nc_u64 s[10:11], s[10:11], 8
	v_or_b32_e32 v18, v5, v18
	s_delay_alu instid0(VALU_DEP_2)
	v_or_b32_e32 v19, v6, v19
	s_cbranch_scc1 .LBB5_53
.LBB5_54:                               ;   in Loop: Header=BB5_29 Depth=1
	s_mov_b32 s15, 0
	s_cbranch_execz .LBB5_56
	s_branch .LBB5_57
.LBB5_55:                               ;   in Loop: Header=BB5_29 Depth=1
                                        ; implicit-def: $vgpr18_vgpr19
                                        ; implicit-def: $sgpr15
.LBB5_56:                               ;   in Loop: Header=BB5_29 Depth=1
	global_load_b64 v[18:19], v7, s[0:1]
	s_add_co_i32 s15, s14, -8
	s_add_nc_u64 s[0:1], s[0:1], 8
.LBB5_57:                               ;   in Loop: Header=BB5_29 Depth=1
	s_wait_alu 0xfffe
	s_cmp_gt_u32 s15, 7
	s_cbranch_scc1 .LBB5_62
; %bb.58:                               ;   in Loop: Header=BB5_29 Depth=1
	v_mov_b32_e32 v20, 0
	v_mov_b32_e32 v21, 0
	s_cmp_eq_u32 s15, 0
	s_cbranch_scc1 .LBB5_61
; %bb.59:                               ;   in Loop: Header=BB5_29 Depth=1
	s_mov_b64 s[10:11], 0
	s_mov_b64 s[12:13], 0
.LBB5_60:                               ;   Parent Loop BB5_29 Depth=1
                                        ; =>  This Inner Loop Header: Depth=2
	s_wait_alu 0xfffe
	s_add_nc_u64 s[16:17], s[0:1], s[12:13]
	s_add_nc_u64 s[12:13], s[12:13], 1
	global_load_u8 v5, v7, s[16:17]
	s_wait_alu 0xfffe
	s_cmp_lg_u32 s15, s12
	s_wait_loadcnt 0x0
	v_and_b32_e32 v6, 0xffff, v5
	s_delay_alu instid0(VALU_DEP_1) | instskip(SKIP_1) | instid1(VALU_DEP_1)
	v_lshlrev_b64_e32 v[5:6], s10, v[6:7]
	s_add_nc_u64 s[10:11], s[10:11], 8
	v_or_b32_e32 v20, v5, v20
	s_delay_alu instid0(VALU_DEP_2)
	v_or_b32_e32 v21, v6, v21
	s_cbranch_scc1 .LBB5_60
.LBB5_61:                               ;   in Loop: Header=BB5_29 Depth=1
	s_mov_b32 s14, 0
	s_cbranch_execz .LBB5_63
	s_branch .LBB5_64
.LBB5_62:                               ;   in Loop: Header=BB5_29 Depth=1
                                        ; implicit-def: $sgpr14
.LBB5_63:                               ;   in Loop: Header=BB5_29 Depth=1
	global_load_b64 v[20:21], v7, s[0:1]
	s_add_co_i32 s14, s15, -8
	s_add_nc_u64 s[0:1], s[0:1], 8
.LBB5_64:                               ;   in Loop: Header=BB5_29 Depth=1
	s_wait_alu 0xfffe
	s_cmp_gt_u32 s14, 7
	s_cbranch_scc1 .LBB5_69
; %bb.65:                               ;   in Loop: Header=BB5_29 Depth=1
	v_mov_b32_e32 v22, 0
	v_mov_b32_e32 v23, 0
	s_cmp_eq_u32 s14, 0
	s_cbranch_scc1 .LBB5_68
; %bb.66:                               ;   in Loop: Header=BB5_29 Depth=1
	s_mov_b64 s[10:11], 0
	s_mov_b64 s[12:13], 0
.LBB5_67:                               ;   Parent Loop BB5_29 Depth=1
                                        ; =>  This Inner Loop Header: Depth=2
	s_wait_alu 0xfffe
	s_add_nc_u64 s[16:17], s[0:1], s[12:13]
	s_add_nc_u64 s[12:13], s[12:13], 1
	global_load_u8 v5, v7, s[16:17]
	s_wait_alu 0xfffe
	s_cmp_lg_u32 s14, s12
	s_wait_loadcnt 0x0
	v_and_b32_e32 v6, 0xffff, v5
	s_delay_alu instid0(VALU_DEP_1) | instskip(SKIP_1) | instid1(VALU_DEP_1)
	v_lshlrev_b64_e32 v[5:6], s10, v[6:7]
	s_add_nc_u64 s[10:11], s[10:11], 8
	v_or_b32_e32 v22, v5, v22
	s_delay_alu instid0(VALU_DEP_2)
	v_or_b32_e32 v23, v6, v23
	s_cbranch_scc1 .LBB5_67
.LBB5_68:                               ;   in Loop: Header=BB5_29 Depth=1
	s_mov_b32 s15, 0
	s_cbranch_execz .LBB5_70
	s_branch .LBB5_71
.LBB5_69:                               ;   in Loop: Header=BB5_29 Depth=1
                                        ; implicit-def: $vgpr22_vgpr23
                                        ; implicit-def: $sgpr15
.LBB5_70:                               ;   in Loop: Header=BB5_29 Depth=1
	global_load_b64 v[22:23], v7, s[0:1]
	s_add_co_i32 s15, s14, -8
	s_add_nc_u64 s[0:1], s[0:1], 8
.LBB5_71:                               ;   in Loop: Header=BB5_29 Depth=1
	s_wait_alu 0xfffe
	s_cmp_gt_u32 s15, 7
	s_cbranch_scc1 .LBB5_76
; %bb.72:                               ;   in Loop: Header=BB5_29 Depth=1
	v_mov_b32_e32 v24, 0
	v_mov_b32_e32 v25, 0
	s_cmp_eq_u32 s15, 0
	s_cbranch_scc1 .LBB5_75
; %bb.73:                               ;   in Loop: Header=BB5_29 Depth=1
	s_mov_b64 s[10:11], 0
	s_mov_b64 s[12:13], s[0:1]
.LBB5_74:                               ;   Parent Loop BB5_29 Depth=1
                                        ; =>  This Inner Loop Header: Depth=2
	global_load_u8 v5, v7, s[12:13]
	s_add_co_i32 s15, s15, -1
	s_wait_alu 0xfffe
	s_add_nc_u64 s[12:13], s[12:13], 1
	s_cmp_lg_u32 s15, 0
	s_wait_loadcnt 0x0
	v_and_b32_e32 v6, 0xffff, v5
	s_delay_alu instid0(VALU_DEP_1) | instskip(SKIP_1) | instid1(VALU_DEP_1)
	v_lshlrev_b64_e32 v[5:6], s10, v[6:7]
	s_add_nc_u64 s[10:11], s[10:11], 8
	v_or_b32_e32 v24, v5, v24
	s_delay_alu instid0(VALU_DEP_2)
	v_or_b32_e32 v25, v6, v25
	s_cbranch_scc1 .LBB5_74
.LBB5_75:                               ;   in Loop: Header=BB5_29 Depth=1
	s_cbranch_execz .LBB5_77
	s_branch .LBB5_78
.LBB5_76:                               ;   in Loop: Header=BB5_29 Depth=1
.LBB5_77:                               ;   in Loop: Header=BB5_29 Depth=1
	global_load_b64 v[24:25], v7, s[0:1]
.LBB5_78:                               ;   in Loop: Header=BB5_29 Depth=1
	v_readfirstlane_b32 s0, v33
	s_wait_loadcnt 0x0
	v_mov_b32_e32 v5, 0
	v_mov_b32_e32 v6, 0
	s_wait_alu 0xf1ff
	v_cmp_eq_u32_e64 s0, s0, v33
	s_delay_alu instid0(VALU_DEP_1)
	s_and_saveexec_b32 s1, s0
	s_cbranch_execz .LBB5_84
; %bb.79:                               ;   in Loop: Header=BB5_29 Depth=1
	global_load_b64 v[28:29], v7, s[2:3] offset:24 scope:SCOPE_SYS
	s_wait_loadcnt 0x0
	global_inv scope:SCOPE_SYS
	s_clause 0x1
	global_load_b64 v[5:6], v7, s[2:3] offset:40
	global_load_b64 v[10:11], v7, s[2:3]
	s_mov_b32 s10, exec_lo
	s_wait_loadcnt 0x1
	v_and_b32_e32 v6, v6, v29
	v_and_b32_e32 v5, v5, v28
	s_delay_alu instid0(VALU_DEP_2) | instskip(NEXT) | instid1(VALU_DEP_2)
	v_mul_lo_u32 v6, 24, v6
	v_mul_lo_u32 v26, 0, v5
	v_mul_hi_u32 v27, 24, v5
	v_mul_lo_u32 v5, 24, v5
	s_delay_alu instid0(VALU_DEP_3) | instskip(SKIP_1) | instid1(VALU_DEP_2)
	v_add_nc_u32_e32 v6, v6, v26
	s_wait_loadcnt 0x0
	v_add_co_u32 v5, vcc_lo, v10, v5
	s_delay_alu instid0(VALU_DEP_2) | instskip(SKIP_1) | instid1(VALU_DEP_1)
	v_add_nc_u32_e32 v6, v6, v27
	s_wait_alu 0xfffd
	v_add_co_ci_u32_e32 v6, vcc_lo, v11, v6, vcc_lo
	global_load_b64 v[26:27], v[5:6], off scope:SCOPE_SYS
	s_wait_loadcnt 0x0
	global_atomic_cmpswap_b64 v[5:6], v7, v[26:29], s[2:3] offset:24 th:TH_ATOMIC_RETURN scope:SCOPE_SYS
	s_wait_loadcnt 0x0
	global_inv scope:SCOPE_SYS
	v_cmpx_ne_u64_e64 v[5:6], v[28:29]
	s_cbranch_execz .LBB5_83
; %bb.80:                               ;   in Loop: Header=BB5_29 Depth=1
	s_mov_b32 s11, 0
.LBB5_81:                               ;   Parent Loop BB5_29 Depth=1
                                        ; =>  This Inner Loop Header: Depth=2
	s_sleep 1
	s_clause 0x1
	global_load_b64 v[10:11], v7, s[2:3] offset:40
	global_load_b64 v[26:27], v7, s[2:3]
	v_dual_mov_b32 v29, v6 :: v_dual_mov_b32 v28, v5
	s_wait_loadcnt 0x1
	s_delay_alu instid0(VALU_DEP_1) | instskip(NEXT) | instid1(VALU_DEP_2)
	v_and_b32_e32 v5, v10, v28
	v_and_b32_e32 v10, v11, v29
	s_wait_loadcnt 0x0
	s_delay_alu instid0(VALU_DEP_2) | instskip(NEXT) | instid1(VALU_DEP_1)
	v_mad_co_u64_u32 v[5:6], null, v5, 24, v[26:27]
	v_mad_co_u64_u32 v[10:11], null, v10, 24, v[6:7]
	s_delay_alu instid0(VALU_DEP_1)
	v_mov_b32_e32 v6, v10
	global_load_b64 v[26:27], v[5:6], off scope:SCOPE_SYS
	s_wait_loadcnt 0x0
	global_atomic_cmpswap_b64 v[5:6], v7, v[26:29], s[2:3] offset:24 th:TH_ATOMIC_RETURN scope:SCOPE_SYS
	s_wait_loadcnt 0x0
	global_inv scope:SCOPE_SYS
	v_cmp_eq_u64_e32 vcc_lo, v[5:6], v[28:29]
	s_wait_alu 0xfffe
	s_or_b32 s11, vcc_lo, s11
	s_wait_alu 0xfffe
	s_and_not1_b32 exec_lo, exec_lo, s11
	s_cbranch_execnz .LBB5_81
; %bb.82:                               ;   in Loop: Header=BB5_29 Depth=1
	s_or_b32 exec_lo, exec_lo, s11
.LBB5_83:                               ;   in Loop: Header=BB5_29 Depth=1
	s_wait_alu 0xfffe
	s_or_b32 exec_lo, exec_lo, s10
.LBB5_84:                               ;   in Loop: Header=BB5_29 Depth=1
	s_wait_alu 0xfffe
	s_or_b32 exec_lo, exec_lo, s1
	s_clause 0x1
	global_load_b64 v[10:11], v7, s[2:3] offset:40
	global_load_b128 v[26:29], v7, s[2:3]
	v_readfirstlane_b32 s1, v6
	v_readfirstlane_b32 s10, v5
	s_mov_b32 s11, exec_lo
	s_wait_loadcnt 0x1
	s_wait_alu 0xf1ff
	v_and_b32_e32 v11, s1, v11
	v_and_b32_e32 v10, s10, v10
	s_delay_alu instid0(VALU_DEP_2) | instskip(NEXT) | instid1(VALU_DEP_2)
	v_mul_lo_u32 v5, 24, v11
	v_mul_lo_u32 v6, 0, v10
	v_mul_hi_u32 v30, 24, v10
	v_mul_lo_u32 v31, 24, v10
	s_delay_alu instid0(VALU_DEP_3) | instskip(NEXT) | instid1(VALU_DEP_1)
	v_add_nc_u32_e32 v5, v5, v6
	v_add_nc_u32_e32 v5, v5, v30
	s_wait_loadcnt 0x0
	s_delay_alu instid0(VALU_DEP_3) | instskip(SKIP_1) | instid1(VALU_DEP_2)
	v_add_co_u32 v30, vcc_lo, v26, v31
	s_wait_alu 0xfffd
	v_add_co_ci_u32_e32 v31, vcc_lo, v27, v5, vcc_lo
	s_and_saveexec_b32 s12, s0
	s_cbranch_execz .LBB5_86
; %bb.85:                               ;   in Loop: Header=BB5_29 Depth=1
	s_wait_alu 0xfffe
	v_mov_b32_e32 v6, s11
	global_store_b128 v[30:31], v[6:9], off offset:8
.LBB5_86:                               ;   in Loop: Header=BB5_29 Depth=1
	s_wait_alu 0xfffe
	s_or_b32 exec_lo, exec_lo, s12
	v_cmp_gt_u64_e64 vcc_lo, s[6:7], 56
	v_lshlrev_b64_e32 v[5:6], 12, v[10:11]
	v_or_b32_e32 v35, 0, v4
	v_or_b32_e32 v36, v3, v34
	s_lshl_b32 s11, s8, 2
	s_wait_alu 0xfffe
	s_add_co_i32 s11, s11, 28
	s_wait_alu 0xfffd
	v_cndmask_b32_e32 v11, v35, v4, vcc_lo
	v_cndmask_b32_e32 v3, v36, v3, vcc_lo
	v_add_co_u32 v28, vcc_lo, v28, v5
	s_wait_alu 0xfffd
	v_add_co_ci_u32_e32 v29, vcc_lo, v29, v6, vcc_lo
	s_wait_alu 0xfffe
	s_and_b32 s11, s11, 0x1e0
	v_readfirstlane_b32 s12, v28
	s_wait_alu 0xfffe
	v_and_or_b32 v10, 0xffffff1f, v3, s11
	v_readfirstlane_b32 s13, v29
	s_clause 0x3
	global_store_b128 v32, v[10:13], s[12:13]
	global_store_b128 v32, v[14:17], s[12:13] offset:16
	global_store_b128 v32, v[18:21], s[12:13] offset:32
	;; [unrolled: 1-line block ×3, first 2 shown]
	s_and_saveexec_b32 s11, s0
	s_cbranch_execz .LBB5_94
; %bb.87:                               ;   in Loop: Header=BB5_29 Depth=1
	s_clause 0x1
	global_load_b64 v[14:15], v7, s[2:3] offset:32 scope:SCOPE_SYS
	global_load_b64 v[3:4], v7, s[2:3] offset:40
	s_mov_b32 s12, exec_lo
	v_dual_mov_b32 v12, s10 :: v_dual_mov_b32 v13, s1
	s_wait_loadcnt 0x0
	v_and_b32_e32 v4, s1, v4
	v_and_b32_e32 v3, s10, v3
	s_delay_alu instid0(VALU_DEP_2) | instskip(NEXT) | instid1(VALU_DEP_2)
	v_mul_lo_u32 v4, 24, v4
	v_mul_lo_u32 v5, 0, v3
	v_mul_hi_u32 v6, 24, v3
	v_mul_lo_u32 v3, 24, v3
	s_delay_alu instid0(VALU_DEP_3) | instskip(NEXT) | instid1(VALU_DEP_2)
	v_add_nc_u32_e32 v4, v4, v5
	v_add_co_u32 v10, vcc_lo, v26, v3
	s_delay_alu instid0(VALU_DEP_2) | instskip(SKIP_1) | instid1(VALU_DEP_1)
	v_add_nc_u32_e32 v4, v4, v6
	s_wait_alu 0xfffd
	v_add_co_ci_u32_e32 v11, vcc_lo, v27, v4, vcc_lo
	global_store_b64 v[10:11], v[14:15], off
	global_wb scope:SCOPE_SYS
	s_wait_storecnt 0x0
	global_atomic_cmpswap_b64 v[5:6], v7, v[12:15], s[2:3] offset:32 th:TH_ATOMIC_RETURN scope:SCOPE_SYS
	s_wait_loadcnt 0x0
	v_cmpx_ne_u64_e64 v[5:6], v[14:15]
	s_cbranch_execz .LBB5_90
; %bb.88:                               ;   in Loop: Header=BB5_29 Depth=1
	s_mov_b32 s13, 0
.LBB5_89:                               ;   Parent Loop BB5_29 Depth=1
                                        ; =>  This Inner Loop Header: Depth=2
	v_dual_mov_b32 v3, s10 :: v_dual_mov_b32 v4, s1
	s_sleep 1
	global_store_b64 v[10:11], v[5:6], off
	global_wb scope:SCOPE_SYS
	s_wait_storecnt 0x0
	global_atomic_cmpswap_b64 v[3:4], v7, v[3:6], s[2:3] offset:32 th:TH_ATOMIC_RETURN scope:SCOPE_SYS
	s_wait_loadcnt 0x0
	v_cmp_eq_u64_e32 vcc_lo, v[3:4], v[5:6]
	v_dual_mov_b32 v6, v4 :: v_dual_mov_b32 v5, v3
	s_wait_alu 0xfffe
	s_or_b32 s13, vcc_lo, s13
	s_wait_alu 0xfffe
	s_and_not1_b32 exec_lo, exec_lo, s13
	s_cbranch_execnz .LBB5_89
.LBB5_90:                               ;   in Loop: Header=BB5_29 Depth=1
	s_wait_alu 0xfffe
	s_or_b32 exec_lo, exec_lo, s12
	global_load_b64 v[3:4], v7, s[2:3] offset:16
	s_mov_b32 s13, exec_lo
	s_mov_b32 s12, exec_lo
	s_wait_alu 0xfffe
	v_mbcnt_lo_u32_b32 v5, s13, 0
	s_delay_alu instid0(VALU_DEP_1)
	v_cmpx_eq_u32_e32 0, v5
	s_cbranch_execz .LBB5_92
; %bb.91:                               ;   in Loop: Header=BB5_29 Depth=1
	s_bcnt1_i32_b32 s13, s13
	s_wait_alu 0xfffe
	v_mov_b32_e32 v6, s13
	global_wb scope:SCOPE_SYS
	s_wait_loadcnt 0x0
	global_atomic_add_u64 v[3:4], v[6:7], off offset:8 scope:SCOPE_SYS
.LBB5_92:                               ;   in Loop: Header=BB5_29 Depth=1
	s_or_b32 exec_lo, exec_lo, s12
	s_wait_loadcnt 0x0
	global_load_b64 v[10:11], v[3:4], off offset:16
	s_wait_loadcnt 0x0
	v_cmp_eq_u64_e32 vcc_lo, 0, v[10:11]
	s_cbranch_vccnz .LBB5_94
; %bb.93:                               ;   in Loop: Header=BB5_29 Depth=1
	global_load_b32 v6, v[3:4], off offset:24
	s_wait_loadcnt 0x0
	v_and_b32_e32 v3, 0xffffff, v6
	global_wb scope:SCOPE_SYS
	s_wait_storecnt 0x0
	global_store_b64 v[10:11], v[6:7], off scope:SCOPE_SYS
	v_readfirstlane_b32 m0, v3
	s_sendmsg sendmsg(MSG_INTERRUPT)
.LBB5_94:                               ;   in Loop: Header=BB5_29 Depth=1
	s_wait_alu 0xfffe
	s_or_b32 exec_lo, exec_lo, s11
	v_add_co_u32 v3, vcc_lo, v28, v32
	s_wait_alu 0xfffd
	v_add_co_ci_u32_e32 v4, vcc_lo, 0, v29, vcc_lo
	s_branch .LBB5_98
.LBB5_95:                               ;   in Loop: Header=BB5_98 Depth=2
	s_wait_alu 0xfffe
	s_or_b32 exec_lo, exec_lo, s11
	s_delay_alu instid0(VALU_DEP_1) | instskip(NEXT) | instid1(VALU_DEP_1)
	v_readfirstlane_b32 s11, v5
	s_cmp_eq_u32 s11, 0
	s_cbranch_scc1 .LBB5_97
; %bb.96:                               ;   in Loop: Header=BB5_98 Depth=2
	s_sleep 1
	s_cbranch_execnz .LBB5_98
	s_branch .LBB5_100
.LBB5_97:                               ;   in Loop: Header=BB5_29 Depth=1
	s_branch .LBB5_100
.LBB5_98:                               ;   Parent Loop BB5_29 Depth=1
                                        ; =>  This Inner Loop Header: Depth=2
	v_mov_b32_e32 v5, 1
	s_and_saveexec_b32 s11, s0
	s_cbranch_execz .LBB5_95
; %bb.99:                               ;   in Loop: Header=BB5_98 Depth=2
	global_load_b32 v5, v[30:31], off offset:20 scope:SCOPE_SYS
	s_wait_loadcnt 0x0
	global_inv scope:SCOPE_SYS
	v_and_b32_e32 v5, 1, v5
	s_branch .LBB5_95
.LBB5_100:                              ;   in Loop: Header=BB5_29 Depth=1
	global_load_b128 v[3:6], v[3:4], off
	s_and_saveexec_b32 s11, s0
	s_cbranch_execz .LBB5_28
; %bb.101:                              ;   in Loop: Header=BB5_29 Depth=1
	s_clause 0x2
	global_load_b64 v[5:6], v7, s[2:3] offset:40
	global_load_b64 v[14:15], v7, s[2:3] offset:24 scope:SCOPE_SYS
	global_load_b64 v[12:13], v7, s[2:3]
	s_wait_loadcnt 0x2
	v_add_co_u32 v16, vcc_lo, v5, 1
	s_wait_alu 0xfffd
	v_add_co_ci_u32_e32 v17, vcc_lo, 0, v6, vcc_lo
	s_delay_alu instid0(VALU_DEP_2) | instskip(SKIP_1) | instid1(VALU_DEP_2)
	v_add_co_u32 v10, vcc_lo, v16, s10
	s_wait_alu 0xfffd
	v_add_co_ci_u32_e32 v11, vcc_lo, s1, v17, vcc_lo
	s_delay_alu instid0(VALU_DEP_1) | instskip(SKIP_2) | instid1(VALU_DEP_1)
	v_cmp_eq_u64_e32 vcc_lo, 0, v[10:11]
	s_wait_alu 0xfffd
	v_dual_cndmask_b32 v11, v11, v17 :: v_dual_cndmask_b32 v10, v10, v16
	v_and_b32_e32 v6, v11, v6
	s_delay_alu instid0(VALU_DEP_2) | instskip(NEXT) | instid1(VALU_DEP_2)
	v_and_b32_e32 v5, v10, v5
	v_mul_lo_u32 v6, 24, v6
	s_delay_alu instid0(VALU_DEP_2) | instskip(SKIP_2) | instid1(VALU_DEP_3)
	v_mul_lo_u32 v16, 0, v5
	v_mul_hi_u32 v17, 24, v5
	v_mul_lo_u32 v5, 24, v5
	v_add_nc_u32_e32 v6, v6, v16
	s_wait_loadcnt 0x0
	s_delay_alu instid0(VALU_DEP_2) | instskip(SKIP_1) | instid1(VALU_DEP_3)
	v_add_co_u32 v5, vcc_lo, v12, v5
	v_mov_b32_e32 v12, v14
	v_add_nc_u32_e32 v6, v6, v17
	s_wait_alu 0xfffd
	s_delay_alu instid0(VALU_DEP_1)
	v_add_co_ci_u32_e32 v6, vcc_lo, v13, v6, vcc_lo
	v_mov_b32_e32 v13, v15
	global_store_b64 v[5:6], v[14:15], off
	global_wb scope:SCOPE_SYS
	s_wait_storecnt 0x0
	global_atomic_cmpswap_b64 v[12:13], v7, v[10:13], s[2:3] offset:24 th:TH_ATOMIC_RETURN scope:SCOPE_SYS
	s_wait_loadcnt 0x0
	v_cmp_ne_u64_e32 vcc_lo, v[12:13], v[14:15]
	s_and_b32 exec_lo, exec_lo, vcc_lo
	s_cbranch_execz .LBB5_28
; %bb.102:                              ;   in Loop: Header=BB5_29 Depth=1
	s_mov_b32 s0, 0
.LBB5_103:                              ;   Parent Loop BB5_29 Depth=1
                                        ; =>  This Inner Loop Header: Depth=2
	s_sleep 1
	global_store_b64 v[5:6], v[12:13], off
	global_wb scope:SCOPE_SYS
	s_wait_storecnt 0x0
	global_atomic_cmpswap_b64 v[14:15], v7, v[10:13], s[2:3] offset:24 th:TH_ATOMIC_RETURN scope:SCOPE_SYS
	s_wait_loadcnt 0x0
	v_cmp_eq_u64_e32 vcc_lo, v[14:15], v[12:13]
	v_dual_mov_b32 v12, v14 :: v_dual_mov_b32 v13, v15
	s_wait_alu 0xfffe
	s_or_b32 s0, vcc_lo, s0
	s_wait_alu 0xfffe
	s_and_not1_b32 exec_lo, exec_lo, s0
	s_cbranch_execnz .LBB5_103
	s_branch .LBB5_28
.LBB5_104:
	s_branch .LBB5_133
.LBB5_105:
                                        ; implicit-def: $vgpr3_vgpr4
	s_cbranch_execz .LBB5_133
; %bb.106:
	v_readfirstlane_b32 s0, v33
	v_mov_b32_e32 v9, 0
	v_mov_b32_e32 v10, 0
	s_wait_alu 0xf1ff
	s_delay_alu instid0(VALU_DEP_3) | instskip(NEXT) | instid1(VALU_DEP_1)
	v_cmp_eq_u32_e64 s0, s0, v33
	s_and_saveexec_b32 s1, s0
	s_cbranch_execz .LBB5_112
; %bb.107:
	s_wait_loadcnt 0x0
	v_mov_b32_e32 v3, 0
	s_mov_b32 s4, exec_lo
	global_load_b64 v[6:7], v3, s[2:3] offset:24 scope:SCOPE_SYS
	s_wait_loadcnt 0x0
	global_inv scope:SCOPE_SYS
	s_clause 0x1
	global_load_b64 v[4:5], v3, s[2:3] offset:40
	global_load_b64 v[8:9], v3, s[2:3]
	s_wait_loadcnt 0x1
	v_and_b32_e32 v4, v4, v6
	v_and_b32_e32 v5, v5, v7
	s_delay_alu instid0(VALU_DEP_2) | instskip(NEXT) | instid1(VALU_DEP_2)
	v_mul_lo_u32 v10, 0, v4
	v_mul_lo_u32 v5, 24, v5
	v_mul_hi_u32 v11, 24, v4
	v_mul_lo_u32 v4, 24, v4
	s_delay_alu instid0(VALU_DEP_3) | instskip(SKIP_1) | instid1(VALU_DEP_2)
	v_add_nc_u32_e32 v5, v5, v10
	s_wait_loadcnt 0x0
	v_add_co_u32 v4, vcc_lo, v8, v4
	s_delay_alu instid0(VALU_DEP_2) | instskip(SKIP_1) | instid1(VALU_DEP_1)
	v_add_nc_u32_e32 v5, v5, v11
	s_wait_alu 0xfffd
	v_add_co_ci_u32_e32 v5, vcc_lo, v9, v5, vcc_lo
	global_load_b64 v[4:5], v[4:5], off scope:SCOPE_SYS
	s_wait_loadcnt 0x0
	global_atomic_cmpswap_b64 v[9:10], v3, v[4:7], s[2:3] offset:24 th:TH_ATOMIC_RETURN scope:SCOPE_SYS
	s_wait_loadcnt 0x0
	global_inv scope:SCOPE_SYS
	v_cmpx_ne_u64_e64 v[9:10], v[6:7]
	s_cbranch_execz .LBB5_111
; %bb.108:
	s_mov_b32 s5, 0
.LBB5_109:                              ; =>This Inner Loop Header: Depth=1
	s_sleep 1
	s_clause 0x1
	global_load_b64 v[4:5], v3, s[2:3] offset:40
	global_load_b64 v[11:12], v3, s[2:3]
	v_dual_mov_b32 v6, v9 :: v_dual_mov_b32 v7, v10
	s_wait_loadcnt 0x1
	s_delay_alu instid0(VALU_DEP_1) | instskip(NEXT) | instid1(VALU_DEP_2)
	v_and_b32_e32 v4, v4, v6
	v_and_b32_e32 v5, v5, v7
	s_wait_loadcnt 0x0
	s_delay_alu instid0(VALU_DEP_2) | instskip(NEXT) | instid1(VALU_DEP_1)
	v_mad_co_u64_u32 v[8:9], null, v4, 24, v[11:12]
	v_mov_b32_e32 v4, v9
	s_delay_alu instid0(VALU_DEP_1) | instskip(NEXT) | instid1(VALU_DEP_1)
	v_mad_co_u64_u32 v[4:5], null, v5, 24, v[4:5]
	v_mov_b32_e32 v9, v4
	global_load_b64 v[4:5], v[8:9], off scope:SCOPE_SYS
	s_wait_loadcnt 0x0
	global_atomic_cmpswap_b64 v[9:10], v3, v[4:7], s[2:3] offset:24 th:TH_ATOMIC_RETURN scope:SCOPE_SYS
	s_wait_loadcnt 0x0
	global_inv scope:SCOPE_SYS
	v_cmp_eq_u64_e32 vcc_lo, v[9:10], v[6:7]
	s_wait_alu 0xfffe
	s_or_b32 s5, vcc_lo, s5
	s_wait_alu 0xfffe
	s_and_not1_b32 exec_lo, exec_lo, s5
	s_cbranch_execnz .LBB5_109
; %bb.110:
	s_or_b32 exec_lo, exec_lo, s5
.LBB5_111:
	s_wait_alu 0xfffe
	s_or_b32 exec_lo, exec_lo, s4
.LBB5_112:
	s_wait_alu 0xfffe
	s_or_b32 exec_lo, exec_lo, s1
	v_readfirstlane_b32 s1, v10
	s_wait_loadcnt 0x0
	v_mov_b32_e32 v3, 0
	v_readfirstlane_b32 s4, v9
	s_mov_b32 s5, exec_lo
	s_clause 0x1
	global_load_b64 v[11:12], v3, s[2:3] offset:40
	global_load_b128 v[5:8], v3, s[2:3]
	s_wait_loadcnt 0x1
	s_wait_alu 0xf1ff
	v_and_b32_e32 v12, s1, v12
	v_and_b32_e32 v11, s4, v11
	s_delay_alu instid0(VALU_DEP_2) | instskip(NEXT) | instid1(VALU_DEP_2)
	v_mul_lo_u32 v4, 24, v12
	v_mul_lo_u32 v9, 0, v11
	v_mul_hi_u32 v10, 24, v11
	v_mul_lo_u32 v13, 24, v11
	s_delay_alu instid0(VALU_DEP_3) | instskip(SKIP_1) | instid1(VALU_DEP_2)
	v_add_nc_u32_e32 v4, v4, v9
	s_wait_loadcnt 0x0
	v_add_co_u32 v9, vcc_lo, v5, v13
	s_delay_alu instid0(VALU_DEP_2) | instskip(SKIP_1) | instid1(VALU_DEP_1)
	v_add_nc_u32_e32 v4, v4, v10
	s_wait_alu 0xfffd
	v_add_co_ci_u32_e32 v10, vcc_lo, v6, v4, vcc_lo
	s_and_saveexec_b32 s6, s0
	s_cbranch_execz .LBB5_114
; %bb.113:
	s_wait_alu 0xfffe
	v_dual_mov_b32 v13, s5 :: v_dual_mov_b32 v14, v3
	v_dual_mov_b32 v15, 2 :: v_dual_mov_b32 v16, 1
	global_store_b128 v[9:10], v[13:16], off offset:8
.LBB5_114:
	s_wait_alu 0xfffe
	s_or_b32 exec_lo, exec_lo, s6
	v_lshlrev_b64_e32 v[11:12], 12, v[11:12]
	s_mov_b32 s8, 0
	v_and_or_b32 v1, 0xffffff1f, v1, 32
	s_wait_alu 0xfffe
	s_mov_b32 s11, s8
	s_mov_b32 s9, s8
	;; [unrolled: 1-line block ×3, first 2 shown]
	v_add_co_u32 v7, vcc_lo, v7, v11
	s_wait_alu 0xfffd
	v_add_co_ci_u32_e32 v8, vcc_lo, v8, v12, vcc_lo
	v_mov_b32_e32 v4, v3
	s_delay_alu instid0(VALU_DEP_3) | instskip(SKIP_1) | instid1(VALU_DEP_4)
	v_readfirstlane_b32 s6, v7
	v_add_co_u32 v7, vcc_lo, v7, v32
	v_readfirstlane_b32 s7, v8
	s_wait_alu 0xfffe
	v_dual_mov_b32 v14, s11 :: v_dual_mov_b32 v11, s8
	s_wait_alu 0xfffd
	v_add_co_ci_u32_e32 v8, vcc_lo, 0, v8, vcc_lo
	v_dual_mov_b32 v13, s10 :: v_dual_mov_b32 v12, s9
	s_clause 0x3
	global_store_b128 v32, v[1:4], s[6:7]
	global_store_b128 v32, v[11:14], s[6:7] offset:16
	global_store_b128 v32, v[11:14], s[6:7] offset:32
	;; [unrolled: 1-line block ×3, first 2 shown]
	s_and_saveexec_b32 s5, s0
	s_cbranch_execz .LBB5_122
; %bb.115:
	v_mov_b32_e32 v11, 0
	s_mov_b32 s6, exec_lo
	s_clause 0x1
	global_load_b64 v[14:15], v11, s[2:3] offset:32 scope:SCOPE_SYS
	global_load_b64 v[1:2], v11, s[2:3] offset:40
	v_dual_mov_b32 v12, s4 :: v_dual_mov_b32 v13, s1
	s_wait_loadcnt 0x0
	v_and_b32_e32 v2, s1, v2
	v_and_b32_e32 v1, s4, v1
	s_delay_alu instid0(VALU_DEP_2) | instskip(NEXT) | instid1(VALU_DEP_2)
	v_mul_lo_u32 v2, 24, v2
	v_mul_lo_u32 v3, 0, v1
	v_mul_hi_u32 v4, 24, v1
	v_mul_lo_u32 v1, 24, v1
	s_delay_alu instid0(VALU_DEP_3) | instskip(NEXT) | instid1(VALU_DEP_2)
	v_add_nc_u32_e32 v2, v2, v3
	v_add_co_u32 v5, vcc_lo, v5, v1
	s_delay_alu instid0(VALU_DEP_2) | instskip(SKIP_1) | instid1(VALU_DEP_1)
	v_add_nc_u32_e32 v2, v2, v4
	s_wait_alu 0xfffd
	v_add_co_ci_u32_e32 v6, vcc_lo, v6, v2, vcc_lo
	global_store_b64 v[5:6], v[14:15], off
	global_wb scope:SCOPE_SYS
	s_wait_storecnt 0x0
	global_atomic_cmpswap_b64 v[3:4], v11, v[12:15], s[2:3] offset:32 th:TH_ATOMIC_RETURN scope:SCOPE_SYS
	s_wait_loadcnt 0x0
	v_cmpx_ne_u64_e64 v[3:4], v[14:15]
	s_cbranch_execz .LBB5_118
; %bb.116:
	s_mov_b32 s7, 0
.LBB5_117:                              ; =>This Inner Loop Header: Depth=1
	v_dual_mov_b32 v1, s4 :: v_dual_mov_b32 v2, s1
	s_sleep 1
	global_store_b64 v[5:6], v[3:4], off
	global_wb scope:SCOPE_SYS
	s_wait_storecnt 0x0
	global_atomic_cmpswap_b64 v[1:2], v11, v[1:4], s[2:3] offset:32 th:TH_ATOMIC_RETURN scope:SCOPE_SYS
	s_wait_loadcnt 0x0
	v_cmp_eq_u64_e32 vcc_lo, v[1:2], v[3:4]
	v_dual_mov_b32 v4, v2 :: v_dual_mov_b32 v3, v1
	s_wait_alu 0xfffe
	s_or_b32 s7, vcc_lo, s7
	s_wait_alu 0xfffe
	s_and_not1_b32 exec_lo, exec_lo, s7
	s_cbranch_execnz .LBB5_117
.LBB5_118:
	s_wait_alu 0xfffe
	s_or_b32 exec_lo, exec_lo, s6
	v_mov_b32_e32 v4, 0
	s_mov_b32 s7, exec_lo
	s_mov_b32 s6, exec_lo
	s_wait_alu 0xfffe
	v_mbcnt_lo_u32_b32 v3, s7, 0
	global_load_b64 v[1:2], v4, s[2:3] offset:16
	v_cmpx_eq_u32_e32 0, v3
	s_cbranch_execz .LBB5_120
; %bb.119:
	s_bcnt1_i32_b32 s7, s7
	s_wait_alu 0xfffe
	v_mov_b32_e32 v3, s7
	global_wb scope:SCOPE_SYS
	s_wait_loadcnt 0x0
	global_atomic_add_u64 v[1:2], v[3:4], off offset:8 scope:SCOPE_SYS
.LBB5_120:
	s_or_b32 exec_lo, exec_lo, s6
	s_wait_loadcnt 0x0
	global_load_b64 v[3:4], v[1:2], off offset:16
	s_wait_loadcnt 0x0
	v_cmp_eq_u64_e32 vcc_lo, 0, v[3:4]
	s_cbranch_vccnz .LBB5_122
; %bb.121:
	global_load_b32 v1, v[1:2], off offset:24
	s_wait_loadcnt 0x0
	v_dual_mov_b32 v2, 0 :: v_dual_and_b32 v5, 0xffffff, v1
	global_wb scope:SCOPE_SYS
	s_wait_storecnt 0x0
	global_store_b64 v[3:4], v[1:2], off scope:SCOPE_SYS
	v_readfirstlane_b32 m0, v5
	s_sendmsg sendmsg(MSG_INTERRUPT)
.LBB5_122:
	s_wait_alu 0xfffe
	s_or_b32 exec_lo, exec_lo, s5
	s_branch .LBB5_126
.LBB5_123:                              ;   in Loop: Header=BB5_126 Depth=1
	s_wait_alu 0xfffe
	s_or_b32 exec_lo, exec_lo, s5
	s_delay_alu instid0(VALU_DEP_1) | instskip(NEXT) | instid1(VALU_DEP_1)
	v_readfirstlane_b32 s5, v1
	s_cmp_eq_u32 s5, 0
	s_cbranch_scc1 .LBB5_125
; %bb.124:                              ;   in Loop: Header=BB5_126 Depth=1
	s_sleep 1
	s_cbranch_execnz .LBB5_126
	s_branch .LBB5_128
.LBB5_125:
	s_branch .LBB5_128
.LBB5_126:                              ; =>This Inner Loop Header: Depth=1
	v_mov_b32_e32 v1, 1
	s_and_saveexec_b32 s5, s0
	s_cbranch_execz .LBB5_123
; %bb.127:                              ;   in Loop: Header=BB5_126 Depth=1
	global_load_b32 v1, v[9:10], off offset:20 scope:SCOPE_SYS
	s_wait_loadcnt 0x0
	global_inv scope:SCOPE_SYS
	v_and_b32_e32 v1, 1, v1
	s_branch .LBB5_123
.LBB5_128:
	global_load_b64 v[3:4], v[7:8], off
	s_and_saveexec_b32 s5, s0
	s_cbranch_execz .LBB5_132
; %bb.129:
	v_mov_b32_e32 v9, 0
	s_clause 0x2
	global_load_b64 v[1:2], v9, s[2:3] offset:40
	global_load_b64 v[10:11], v9, s[2:3] offset:24 scope:SCOPE_SYS
	global_load_b64 v[7:8], v9, s[2:3]
	s_wait_loadcnt 0x2
	v_add_co_u32 v12, vcc_lo, v1, 1
	s_wait_alu 0xfffd
	v_add_co_ci_u32_e32 v13, vcc_lo, 0, v2, vcc_lo
	s_delay_alu instid0(VALU_DEP_2) | instskip(SKIP_1) | instid1(VALU_DEP_2)
	v_add_co_u32 v5, vcc_lo, v12, s4
	s_wait_alu 0xfffd
	v_add_co_ci_u32_e32 v6, vcc_lo, s1, v13, vcc_lo
	s_delay_alu instid0(VALU_DEP_1) | instskip(SKIP_2) | instid1(VALU_DEP_1)
	v_cmp_eq_u64_e32 vcc_lo, 0, v[5:6]
	s_wait_alu 0xfffd
	v_dual_cndmask_b32 v6, v6, v13 :: v_dual_cndmask_b32 v5, v5, v12
	v_and_b32_e32 v2, v6, v2
	s_delay_alu instid0(VALU_DEP_2) | instskip(NEXT) | instid1(VALU_DEP_2)
	v_and_b32_e32 v1, v5, v1
	v_mul_lo_u32 v2, 24, v2
	s_delay_alu instid0(VALU_DEP_2) | instskip(SKIP_2) | instid1(VALU_DEP_3)
	v_mul_lo_u32 v12, 0, v1
	v_mul_hi_u32 v13, 24, v1
	v_mul_lo_u32 v1, 24, v1
	v_add_nc_u32_e32 v2, v2, v12
	s_wait_loadcnt 0x0
	s_delay_alu instid0(VALU_DEP_2) | instskip(SKIP_1) | instid1(VALU_DEP_3)
	v_add_co_u32 v1, vcc_lo, v7, v1
	v_mov_b32_e32 v7, v10
	v_add_nc_u32_e32 v2, v2, v13
	s_wait_alu 0xfffd
	s_delay_alu instid0(VALU_DEP_1)
	v_add_co_ci_u32_e32 v2, vcc_lo, v8, v2, vcc_lo
	v_mov_b32_e32 v8, v11
	global_store_b64 v[1:2], v[10:11], off
	global_wb scope:SCOPE_SYS
	s_wait_storecnt 0x0
	global_atomic_cmpswap_b64 v[7:8], v9, v[5:8], s[2:3] offset:24 th:TH_ATOMIC_RETURN scope:SCOPE_SYS
	s_wait_loadcnt 0x0
	v_cmp_ne_u64_e32 vcc_lo, v[7:8], v[10:11]
	s_and_b32 exec_lo, exec_lo, vcc_lo
	s_cbranch_execz .LBB5_132
; %bb.130:
	s_mov_b32 s0, 0
.LBB5_131:                              ; =>This Inner Loop Header: Depth=1
	s_sleep 1
	global_store_b64 v[1:2], v[7:8], off
	global_wb scope:SCOPE_SYS
	s_wait_storecnt 0x0
	global_atomic_cmpswap_b64 v[10:11], v9, v[5:8], s[2:3] offset:24 th:TH_ATOMIC_RETURN scope:SCOPE_SYS
	s_wait_loadcnt 0x0
	v_cmp_eq_u64_e32 vcc_lo, v[10:11], v[7:8]
	v_dual_mov_b32 v7, v10 :: v_dual_mov_b32 v8, v11
	s_wait_alu 0xfffe
	s_or_b32 s0, vcc_lo, s0
	s_wait_alu 0xfffe
	s_and_not1_b32 exec_lo, exec_lo, s0
	s_cbranch_execnz .LBB5_131
.LBB5_132:
	s_wait_alu 0xfffe
	s_or_b32 exec_lo, exec_lo, s5
.LBB5_133:
	v_readfirstlane_b32 s0, v33
	s_wait_loadcnt 0x0
	v_mov_b32_e32 v1, 0
	v_mov_b32_e32 v2, 0
	s_wait_alu 0xf1ff
	v_cmp_eq_u32_e64 s0, s0, v33
	s_delay_alu instid0(VALU_DEP_1)
	s_and_saveexec_b32 s1, s0
	s_cbranch_execz .LBB5_139
; %bb.134:
	v_mov_b32_e32 v5, 0
	s_mov_b32 s4, exec_lo
	global_load_b64 v[8:9], v5, s[2:3] offset:24 scope:SCOPE_SYS
	s_wait_loadcnt 0x0
	global_inv scope:SCOPE_SYS
	s_clause 0x1
	global_load_b64 v[1:2], v5, s[2:3] offset:40
	global_load_b64 v[6:7], v5, s[2:3]
	s_wait_loadcnt 0x1
	v_and_b32_e32 v2, v2, v9
	v_and_b32_e32 v1, v1, v8
	s_delay_alu instid0(VALU_DEP_2) | instskip(NEXT) | instid1(VALU_DEP_2)
	v_mul_lo_u32 v2, 24, v2
	v_mul_lo_u32 v10, 0, v1
	v_mul_hi_u32 v11, 24, v1
	v_mul_lo_u32 v1, 24, v1
	s_delay_alu instid0(VALU_DEP_3) | instskip(SKIP_1) | instid1(VALU_DEP_2)
	v_add_nc_u32_e32 v2, v2, v10
	s_wait_loadcnt 0x0
	v_add_co_u32 v1, vcc_lo, v6, v1
	s_delay_alu instid0(VALU_DEP_2) | instskip(SKIP_1) | instid1(VALU_DEP_1)
	v_add_nc_u32_e32 v2, v2, v11
	s_wait_alu 0xfffd
	v_add_co_ci_u32_e32 v2, vcc_lo, v7, v2, vcc_lo
	global_load_b64 v[6:7], v[1:2], off scope:SCOPE_SYS
	s_wait_loadcnt 0x0
	global_atomic_cmpswap_b64 v[1:2], v5, v[6:9], s[2:3] offset:24 th:TH_ATOMIC_RETURN scope:SCOPE_SYS
	s_wait_loadcnt 0x0
	global_inv scope:SCOPE_SYS
	v_cmpx_ne_u64_e64 v[1:2], v[8:9]
	s_cbranch_execz .LBB5_138
; %bb.135:
	s_mov_b32 s5, 0
.LBB5_136:                              ; =>This Inner Loop Header: Depth=1
	s_sleep 1
	s_clause 0x1
	global_load_b64 v[6:7], v5, s[2:3] offset:40
	global_load_b64 v[10:11], v5, s[2:3]
	v_dual_mov_b32 v9, v2 :: v_dual_mov_b32 v8, v1
	s_wait_loadcnt 0x1
	s_delay_alu instid0(VALU_DEP_1) | instskip(NEXT) | instid1(VALU_DEP_2)
	v_and_b32_e32 v1, v6, v8
	v_and_b32_e32 v6, v7, v9
	s_wait_loadcnt 0x0
	s_delay_alu instid0(VALU_DEP_2) | instskip(NEXT) | instid1(VALU_DEP_1)
	v_mad_co_u64_u32 v[1:2], null, v1, 24, v[10:11]
	v_mad_co_u64_u32 v[6:7], null, v6, 24, v[2:3]
	s_delay_alu instid0(VALU_DEP_1)
	v_mov_b32_e32 v2, v6
	global_load_b64 v[6:7], v[1:2], off scope:SCOPE_SYS
	s_wait_loadcnt 0x0
	global_atomic_cmpswap_b64 v[1:2], v5, v[6:9], s[2:3] offset:24 th:TH_ATOMIC_RETURN scope:SCOPE_SYS
	s_wait_loadcnt 0x0
	global_inv scope:SCOPE_SYS
	v_cmp_eq_u64_e32 vcc_lo, v[1:2], v[8:9]
	s_wait_alu 0xfffe
	s_or_b32 s5, vcc_lo, s5
	s_wait_alu 0xfffe
	s_and_not1_b32 exec_lo, exec_lo, s5
	s_cbranch_execnz .LBB5_136
; %bb.137:
	s_or_b32 exec_lo, exec_lo, s5
.LBB5_138:
	s_wait_alu 0xfffe
	s_or_b32 exec_lo, exec_lo, s4
.LBB5_139:
	s_wait_alu 0xfffe
	s_or_b32 exec_lo, exec_lo, s1
	v_readfirstlane_b32 s4, v1
	v_mov_b32_e32 v6, 0
	v_readfirstlane_b32 s1, v2
	s_mov_b32 s5, exec_lo
	s_clause 0x1
	global_load_b64 v[11:12], v6, s[2:3] offset:40
	global_load_b128 v[7:10], v6, s[2:3]
	s_wait_loadcnt 0x1
	s_wait_alu 0xf1ff
	v_and_b32_e32 v1, s4, v11
	v_and_b32_e32 v2, s1, v12
	s_delay_alu instid0(VALU_DEP_2) | instskip(NEXT) | instid1(VALU_DEP_2)
	v_mul_lo_u32 v11, 0, v1
	v_mul_lo_u32 v5, 24, v2
	v_mul_hi_u32 v12, 24, v1
	v_mul_lo_u32 v13, 24, v1
	s_delay_alu instid0(VALU_DEP_3) | instskip(SKIP_1) | instid1(VALU_DEP_2)
	v_add_nc_u32_e32 v5, v5, v11
	s_wait_loadcnt 0x0
	v_add_co_u32 v11, vcc_lo, v7, v13
	s_delay_alu instid0(VALU_DEP_2) | instskip(SKIP_1) | instid1(VALU_DEP_1)
	v_add_nc_u32_e32 v5, v5, v12
	s_wait_alu 0xfffd
	v_add_co_ci_u32_e32 v12, vcc_lo, v8, v5, vcc_lo
	s_and_saveexec_b32 s6, s0
	s_cbranch_execz .LBB5_141
; %bb.140:
	s_wait_alu 0xfffe
	v_dual_mov_b32 v5, s5 :: v_dual_mov_b32 v16, 1
	v_dual_mov_b32 v15, 2 :: v_dual_mov_b32 v14, v6
	s_delay_alu instid0(VALU_DEP_2)
	v_mov_b32_e32 v13, v5
	global_store_b128 v[11:12], v[13:16], off offset:8
.LBB5_141:
	s_wait_alu 0xfffe
	s_or_b32 exec_lo, exec_lo, s6
	v_lshlrev_b64_e32 v[1:2], 12, v[1:2]
	v_bfe_i32 v5, v0, 0, 16
	s_mov_b32 s8, 0
	v_and_or_b32 v3, 0xffffff1d, v3, 34
	s_wait_alu 0xfffe
	s_mov_b32 s11, s8
	s_mov_b32 s9, s8
	v_add_co_u32 v0, vcc_lo, v9, v1
	s_wait_alu 0xfffd
	v_add_co_ci_u32_e32 v1, vcc_lo, v10, v2, vcc_lo
	s_mov_b32 s10, s8
	s_delay_alu instid0(VALU_DEP_2)
	v_readfirstlane_b32 s6, v0
	s_wait_alu 0xfffe
	v_dual_mov_b32 v16, s11 :: v_dual_mov_b32 v15, s10
	v_readfirstlane_b32 s7, v1
	v_dual_mov_b32 v14, s9 :: v_dual_mov_b32 v13, s8
	s_clause 0x3
	global_store_b128 v32, v[3:6], s[6:7]
	global_store_b128 v32, v[13:16], s[6:7] offset:16
	global_store_b128 v32, v[13:16], s[6:7] offset:32
	;; [unrolled: 1-line block ×3, first 2 shown]
	s_and_saveexec_b32 s5, s0
	s_cbranch_execz .LBB5_149
; %bb.142:
	v_mov_b32_e32 v6, 0
	s_mov_b32 s6, exec_lo
	s_clause 0x1
	global_load_b64 v[9:10], v6, s[2:3] offset:32 scope:SCOPE_SYS
	global_load_b64 v[0:1], v6, s[2:3] offset:40
	s_wait_loadcnt 0x0
	v_and_b32_e32 v1, s1, v1
	v_and_b32_e32 v0, s4, v0
	s_delay_alu instid0(VALU_DEP_2) | instskip(NEXT) | instid1(VALU_DEP_2)
	v_mul_lo_u32 v1, 24, v1
	v_mul_lo_u32 v2, 0, v0
	v_mul_hi_u32 v3, 24, v0
	v_mul_lo_u32 v0, 24, v0
	s_delay_alu instid0(VALU_DEP_3) | instskip(NEXT) | instid1(VALU_DEP_2)
	v_add_nc_u32_e32 v1, v1, v2
	v_add_co_u32 v4, vcc_lo, v7, v0
	v_mov_b32_e32 v7, s4
	s_delay_alu instid0(VALU_DEP_3) | instskip(SKIP_1) | instid1(VALU_DEP_1)
	v_add_nc_u32_e32 v1, v1, v3
	s_wait_alu 0xfffd
	v_add_co_ci_u32_e32 v5, vcc_lo, v8, v1, vcc_lo
	v_mov_b32_e32 v8, s1
	global_store_b64 v[4:5], v[9:10], off
	global_wb scope:SCOPE_SYS
	s_wait_storecnt 0x0
	global_atomic_cmpswap_b64 v[2:3], v6, v[7:10], s[2:3] offset:32 th:TH_ATOMIC_RETURN scope:SCOPE_SYS
	s_wait_loadcnt 0x0
	v_cmpx_ne_u64_e64 v[2:3], v[9:10]
	s_cbranch_execz .LBB5_145
; %bb.143:
	s_mov_b32 s7, 0
.LBB5_144:                              ; =>This Inner Loop Header: Depth=1
	v_dual_mov_b32 v0, s4 :: v_dual_mov_b32 v1, s1
	s_sleep 1
	global_store_b64 v[4:5], v[2:3], off
	global_wb scope:SCOPE_SYS
	s_wait_storecnt 0x0
	global_atomic_cmpswap_b64 v[0:1], v6, v[0:3], s[2:3] offset:32 th:TH_ATOMIC_RETURN scope:SCOPE_SYS
	s_wait_loadcnt 0x0
	v_cmp_eq_u64_e32 vcc_lo, v[0:1], v[2:3]
	v_dual_mov_b32 v3, v1 :: v_dual_mov_b32 v2, v0
	s_wait_alu 0xfffe
	s_or_b32 s7, vcc_lo, s7
	s_wait_alu 0xfffe
	s_and_not1_b32 exec_lo, exec_lo, s7
	s_cbranch_execnz .LBB5_144
.LBB5_145:
	s_wait_alu 0xfffe
	s_or_b32 exec_lo, exec_lo, s6
	v_mov_b32_e32 v3, 0
	s_mov_b32 s7, exec_lo
	s_mov_b32 s6, exec_lo
	s_wait_alu 0xfffe
	v_mbcnt_lo_u32_b32 v2, s7, 0
	global_load_b64 v[0:1], v3, s[2:3] offset:16
	v_cmpx_eq_u32_e32 0, v2
	s_cbranch_execz .LBB5_147
; %bb.146:
	s_bcnt1_i32_b32 s7, s7
	s_wait_alu 0xfffe
	v_mov_b32_e32 v2, s7
	global_wb scope:SCOPE_SYS
	s_wait_loadcnt 0x0
	global_atomic_add_u64 v[0:1], v[2:3], off offset:8 scope:SCOPE_SYS
.LBB5_147:
	s_or_b32 exec_lo, exec_lo, s6
	s_wait_loadcnt 0x0
	global_load_b64 v[2:3], v[0:1], off offset:16
	s_wait_loadcnt 0x0
	v_cmp_eq_u64_e32 vcc_lo, 0, v[2:3]
	s_cbranch_vccnz .LBB5_149
; %bb.148:
	global_load_b32 v0, v[0:1], off offset:24
	s_wait_loadcnt 0x0
	v_dual_mov_b32 v1, 0 :: v_dual_and_b32 v4, 0xffffff, v0
	global_wb scope:SCOPE_SYS
	s_wait_storecnt 0x0
	global_store_b64 v[2:3], v[0:1], off scope:SCOPE_SYS
	v_readfirstlane_b32 m0, v4
	s_sendmsg sendmsg(MSG_INTERRUPT)
.LBB5_149:
	s_wait_alu 0xfffe
	s_or_b32 exec_lo, exec_lo, s5
	s_branch .LBB5_153
.LBB5_150:                              ;   in Loop: Header=BB5_153 Depth=1
	s_wait_alu 0xfffe
	s_or_b32 exec_lo, exec_lo, s5
	s_delay_alu instid0(VALU_DEP_1) | instskip(NEXT) | instid1(VALU_DEP_1)
	v_readfirstlane_b32 s5, v0
	s_cmp_eq_u32 s5, 0
	s_cbranch_scc1 .LBB5_152
; %bb.151:                              ;   in Loop: Header=BB5_153 Depth=1
	s_sleep 1
	s_cbranch_execnz .LBB5_153
	s_branch .LBB5_155
.LBB5_152:
	s_branch .LBB5_155
.LBB5_153:                              ; =>This Inner Loop Header: Depth=1
	v_mov_b32_e32 v0, 1
	s_and_saveexec_b32 s5, s0
	s_cbranch_execz .LBB5_150
; %bb.154:                              ;   in Loop: Header=BB5_153 Depth=1
	global_load_b32 v0, v[11:12], off offset:20 scope:SCOPE_SYS
	s_wait_loadcnt 0x0
	global_inv scope:SCOPE_SYS
	v_and_b32_e32 v0, 1, v0
	s_branch .LBB5_150
.LBB5_155:
	s_and_saveexec_b32 s5, s0
	s_cbranch_execz .LBB5_159
; %bb.156:
	v_mov_b32_e32 v6, 0
	s_clause 0x2
	global_load_b64 v[2:3], v6, s[2:3] offset:40
	global_load_b64 v[7:8], v6, s[2:3] offset:24 scope:SCOPE_SYS
	global_load_b64 v[4:5], v6, s[2:3]
	s_wait_loadcnt 0x2
	v_add_co_u32 v9, vcc_lo, v2, 1
	s_wait_alu 0xfffd
	v_add_co_ci_u32_e32 v10, vcc_lo, 0, v3, vcc_lo
	s_delay_alu instid0(VALU_DEP_2) | instskip(SKIP_1) | instid1(VALU_DEP_2)
	v_add_co_u32 v0, vcc_lo, v9, s4
	s_wait_alu 0xfffd
	v_add_co_ci_u32_e32 v1, vcc_lo, s1, v10, vcc_lo
	s_delay_alu instid0(VALU_DEP_1) | instskip(SKIP_2) | instid1(VALU_DEP_1)
	v_cmp_eq_u64_e32 vcc_lo, 0, v[0:1]
	s_wait_alu 0xfffd
	v_dual_cndmask_b32 v1, v1, v10 :: v_dual_cndmask_b32 v0, v0, v9
	v_and_b32_e32 v3, v1, v3
	s_delay_alu instid0(VALU_DEP_2) | instskip(NEXT) | instid1(VALU_DEP_2)
	v_and_b32_e32 v2, v0, v2
	v_mul_lo_u32 v3, 24, v3
	s_delay_alu instid0(VALU_DEP_2) | instskip(SKIP_2) | instid1(VALU_DEP_3)
	v_mul_lo_u32 v9, 0, v2
	v_mul_hi_u32 v10, 24, v2
	v_mul_lo_u32 v2, 24, v2
	v_add_nc_u32_e32 v3, v3, v9
	s_wait_loadcnt 0x0
	s_delay_alu instid0(VALU_DEP_2) | instskip(SKIP_1) | instid1(VALU_DEP_3)
	v_add_co_u32 v4, vcc_lo, v4, v2
	v_mov_b32_e32 v2, v7
	v_add_nc_u32_e32 v3, v3, v10
	s_wait_alu 0xfffd
	s_delay_alu instid0(VALU_DEP_1)
	v_add_co_ci_u32_e32 v5, vcc_lo, v5, v3, vcc_lo
	v_mov_b32_e32 v3, v8
	global_store_b64 v[4:5], v[7:8], off
	global_wb scope:SCOPE_SYS
	s_wait_storecnt 0x0
	global_atomic_cmpswap_b64 v[2:3], v6, v[0:3], s[2:3] offset:24 th:TH_ATOMIC_RETURN scope:SCOPE_SYS
	s_wait_loadcnt 0x0
	v_cmp_ne_u64_e32 vcc_lo, v[2:3], v[7:8]
	s_and_b32 exec_lo, exec_lo, vcc_lo
	s_cbranch_execz .LBB5_159
; %bb.157:
	s_mov_b32 s0, 0
.LBB5_158:                              ; =>This Inner Loop Header: Depth=1
	s_sleep 1
	global_store_b64 v[4:5], v[2:3], off
	global_wb scope:SCOPE_SYS
	s_wait_storecnt 0x0
	global_atomic_cmpswap_b64 v[7:8], v6, v[0:3], s[2:3] offset:24 th:TH_ATOMIC_RETURN scope:SCOPE_SYS
	s_wait_loadcnt 0x0
	v_cmp_eq_u64_e32 vcc_lo, v[7:8], v[2:3]
	v_dual_mov_b32 v2, v7 :: v_dual_mov_b32 v3, v8
	s_wait_alu 0xfffe
	s_or_b32 s0, vcc_lo, s0
	s_wait_alu 0xfffe
	s_and_not1_b32 exec_lo, exec_lo, s0
	s_cbranch_execnz .LBB5_158
.LBB5_159:
	s_wait_alu 0xfffe
	s_or_b32 exec_lo, exec_lo, s5
	s_wait_kmcnt 0x0
	s_wait_alu 0xfffd
	s_setpc_b64 s[30:31]
.Lfunc_end5:
	.size	_ZNK8migraphx13basic_printerIZNS_4coutEvEUlT_E_ElsEc, .Lfunc_end5-_ZNK8migraphx13basic_printerIZNS_4coutEvEUlT_E_ElsEc
                                        ; -- End function
	.section	.AMDGPU.csdata,"",@progbits
; Function info:
; codeLenInByte = 7944
; NumSgprs: 34
; NumVgprs: 37
; ScratchSize: 0
; MemoryBound: 0
	.text
	.p2align	2                               ; -- Begin function _ZN8migraphx4test12test_manager6failedINS0_10expressionINS0_14lhs_expressionIRNS_5arrayIiLj3EEENS0_3nopEEES7_NS0_18greater_than_equalEEEPFvvEEEvRKT_PKcSI_SI_iT0_
	.type	_ZN8migraphx4test12test_manager6failedINS0_10expressionINS0_14lhs_expressionIRNS_5arrayIiLj3EEENS0_3nopEEES7_NS0_18greater_than_equalEEEPFvvEEEvRKT_PKcSI_SI_iT0_,@function
_ZN8migraphx4test12test_manager6failedINS0_10expressionINS0_14lhs_expressionIRNS_5arrayIiLj3EEENS0_3nopEEES7_NS0_18greater_than_equalEEEPFvvEEEvRKT_PKcSI_SI_iT0_: ; @_ZN8migraphx4test12test_manager6failedINS0_10expressionINS0_14lhs_expressionIRNS_5arrayIiLj3EEENS0_3nopEEES7_NS0_18greater_than_equalEEEPFvvEEEvRKT_PKcSI_SI_iT0_
; %bb.0:
	s_wait_loadcnt_dscnt 0x0
	s_wait_expcnt 0x0
	s_wait_samplecnt 0x0
	s_wait_bvhcnt 0x0
	s_wait_kmcnt 0x0
	s_mov_b32 s0, s33
	s_mov_b32 s33, s32
	s_or_saveexec_b32 s1, -1
	scratch_store_b32 off, v41, s33         ; 4-byte Folded Spill
	s_wait_alu 0xfffe
	s_mov_b32 exec_lo, s1
	v_writelane_b32 v41, s0, 2
	v_writelane_b32 v41, s30, 0
	s_add_co_i32 s32, s32, 16
	v_writelane_b32 v41, s31, 1
	v_dual_mov_b32 v38, v3 :: v_dual_mov_b32 v37, v2
	v_dual_mov_b32 v81, v1 :: v_dual_mov_b32 v80, v0
	s_mov_b32 s1, exec_lo
	flat_load_b128 v[0:3], v[37:38]
	s_wait_loadcnt_dscnt 0x0
	flat_load_b32 v7, v[2:3]
	flat_load_b32 v8, v[0:1]
	s_wait_loadcnt_dscnt 0x0
	v_cmp_ge_i32_e64 s0, v7, v8
	v_cmpx_lt_i32_e64 v7, v8
	s_cbranch_execz .LBB6_4
; %bb.1:
	flat_load_b32 v9, v[2:3] offset:4
	flat_load_b32 v10, v[0:1] offset:4
	s_mov_b32 s3, exec_lo
	s_wait_loadcnt_dscnt 0x0
	v_cmp_ge_i32_e64 s2, v9, v10
	v_cmpx_lt_i32_e64 v9, v10
	s_cbranch_execz .LBB6_3
; %bb.2:
	flat_load_b32 v9, v[2:3] offset:8
	flat_load_b32 v10, v[0:1] offset:8
	s_and_not1_b32 s2, s2, exec_lo
	s_wait_loadcnt_dscnt 0x0
	v_cmp_ge_i32_e32 vcc_lo, v9, v10
	s_and_b32 s4, vcc_lo, exec_lo
	s_wait_alu 0xfffe
	s_or_b32 s2, s2, s4
.LBB6_3:
	s_wait_alu 0xfffe
	s_or_b32 exec_lo, exec_lo, s3
	s_delay_alu instid0(SALU_CYCLE_1)
	s_and_not1_b32 s0, s0, exec_lo
	s_and_b32 s2, s2, exec_lo
	s_wait_alu 0xfffe
	s_or_b32 s0, s0, s2
.LBB6_4:
	s_wait_alu 0xfffe
	s_or_b32 exec_lo, exec_lo, s1
	s_and_saveexec_b32 s36, s0
	s_cbranch_execz .LBB6_1529
; %bb.5:
	s_mov_b32 s1, -1
	s_mov_b32 s0, exec_lo
	v_cmpx_eq_u32_e64 v8, v7
	s_cbranch_execz .LBB6_9
; %bb.6:
	flat_load_b32 v7, v[0:1] offset:4
	flat_load_b32 v8, v[2:3] offset:4
	s_mov_b32 s2, exec_lo
	s_wait_loadcnt_dscnt 0x0
	v_cmp_ne_u32_e64 s1, v7, v8
	v_cmpx_eq_u32_e64 v7, v8
	s_cbranch_execz .LBB6_8
; %bb.7:
	flat_load_b32 v0, v[0:1] offset:8
	flat_load_b32 v1, v[2:3] offset:8
	s_wait_alu 0xfffe
	s_and_not1_b32 s1, s1, exec_lo
	s_wait_loadcnt_dscnt 0x0
	v_cmp_ne_u32_e32 vcc_lo, v0, v1
	s_and_b32 s3, vcc_lo, exec_lo
	s_wait_alu 0xfffe
	s_or_b32 s1, s1, s3
.LBB6_8:
	s_wait_alu 0xfffe
	s_or_b32 exec_lo, exec_lo, s2
	s_delay_alu instid0(SALU_CYCLE_1)
	s_or_not1_b32 s1, s1, exec_lo
.LBB6_9:
	s_wait_alu 0xfffe
	s_or_b32 exec_lo, exec_lo, s0
	s_delay_alu instid0(SALU_CYCLE_1)
	s_and_b32 exec_lo, exec_lo, s1
	s_cbranch_execz .LBB6_1529
; %bb.10:
	v_and_b32_e32 v0, 0x3ff, v31
	s_mov_b32 s37, exec_lo
	s_delay_alu instid0(VALU_DEP_1)
	v_cmpx_eq_u32_e32 0, v0
	s_cbranch_execz .LBB6_1528
; %bb.11:
	s_load_b64 s[2:3], s[8:9], 0x50
	v_mbcnt_lo_u32_b32 v35, -1, 0
	v_mov_b32_e32 v9, 0
	v_mov_b32_e32 v10, 0
	s_delay_alu instid0(VALU_DEP_3) | instskip(SKIP_1) | instid1(VALU_DEP_1)
	v_readfirstlane_b32 s0, v35
	s_wait_alu 0xf1ff
	v_cmp_eq_u32_e64 s0, s0, v35
	s_delay_alu instid0(VALU_DEP_1)
	s_and_saveexec_b32 s1, s0
	s_cbranch_execz .LBB6_17
; %bb.12:
	v_mov_b32_e32 v0, 0
	s_mov_b32 s4, exec_lo
	s_wait_kmcnt 0x0
	global_load_b64 v[11:12], v0, s[2:3] offset:24 scope:SCOPE_SYS
	s_wait_loadcnt 0x0
	global_inv scope:SCOPE_SYS
	s_clause 0x1
	global_load_b64 v[1:2], v0, s[2:3] offset:40
	global_load_b64 v[7:8], v0, s[2:3]
	s_wait_loadcnt 0x1
	v_and_b32_e32 v1, v1, v11
	v_and_b32_e32 v2, v2, v12
	s_delay_alu instid0(VALU_DEP_2) | instskip(NEXT) | instid1(VALU_DEP_2)
	v_mul_lo_u32 v3, 0, v1
	v_mul_lo_u32 v2, 24, v2
	v_mul_hi_u32 v9, 24, v1
	v_mul_lo_u32 v1, 24, v1
	s_delay_alu instid0(VALU_DEP_3) | instskip(SKIP_1) | instid1(VALU_DEP_2)
	v_add_nc_u32_e32 v2, v2, v3
	s_wait_loadcnt 0x0
	v_add_co_u32 v1, vcc_lo, v7, v1
	s_delay_alu instid0(VALU_DEP_2) | instskip(SKIP_1) | instid1(VALU_DEP_1)
	v_add_nc_u32_e32 v2, v2, v9
	s_wait_alu 0xfffd
	v_add_co_ci_u32_e32 v2, vcc_lo, v8, v2, vcc_lo
	global_load_b64 v[9:10], v[1:2], off scope:SCOPE_SYS
	s_wait_loadcnt 0x0
	global_atomic_cmpswap_b64 v[9:10], v0, v[9:12], s[2:3] offset:24 th:TH_ATOMIC_RETURN scope:SCOPE_SYS
	s_wait_loadcnt 0x0
	global_inv scope:SCOPE_SYS
	v_cmpx_ne_u64_e64 v[9:10], v[11:12]
	s_cbranch_execz .LBB6_16
; %bb.13:
	s_mov_b32 s5, 0
.LBB6_14:                               ; =>This Inner Loop Header: Depth=1
	s_sleep 1
	s_clause 0x1
	global_load_b64 v[1:2], v0, s[2:3] offset:40
	global_load_b64 v[7:8], v0, s[2:3]
	v_dual_mov_b32 v12, v10 :: v_dual_mov_b32 v11, v9
	s_wait_loadcnt 0x1
	s_delay_alu instid0(VALU_DEP_1) | instskip(SKIP_1) | instid1(VALU_DEP_1)
	v_and_b32_e32 v1, v1, v11
	s_wait_loadcnt 0x0
	v_mad_co_u64_u32 v[7:8], null, v1, 24, v[7:8]
	s_delay_alu instid0(VALU_DEP_1) | instskip(NEXT) | instid1(VALU_DEP_1)
	v_dual_mov_b32 v1, v8 :: v_dual_and_b32 v2, v2, v12
	v_mad_co_u64_u32 v[1:2], null, v2, 24, v[1:2]
	s_delay_alu instid0(VALU_DEP_1)
	v_mov_b32_e32 v8, v1
	global_load_b64 v[9:10], v[7:8], off scope:SCOPE_SYS
	s_wait_loadcnt 0x0
	global_atomic_cmpswap_b64 v[9:10], v0, v[9:12], s[2:3] offset:24 th:TH_ATOMIC_RETURN scope:SCOPE_SYS
	s_wait_loadcnt 0x0
	global_inv scope:SCOPE_SYS
	v_cmp_eq_u64_e32 vcc_lo, v[9:10], v[11:12]
	s_wait_alu 0xfffe
	s_or_b32 s5, vcc_lo, s5
	s_wait_alu 0xfffe
	s_and_not1_b32 exec_lo, exec_lo, s5
	s_cbranch_execnz .LBB6_14
; %bb.15:
	s_or_b32 exec_lo, exec_lo, s5
.LBB6_16:
	s_wait_alu 0xfffe
	s_or_b32 exec_lo, exec_lo, s4
.LBB6_17:
	s_wait_alu 0xfffe
	s_or_b32 exec_lo, exec_lo, s1
	v_readfirstlane_b32 s4, v9
	v_mov_b32_e32 v8, 0
	v_readfirstlane_b32 s1, v10
	s_mov_b32 s5, exec_lo
	s_wait_kmcnt 0x0
	s_clause 0x1
	global_load_b64 v[11:12], v8, s[2:3] offset:40
	global_load_b128 v[0:3], v8, s[2:3]
	s_wait_loadcnt 0x1
	s_wait_alu 0xf1ff
	v_and_b32_e32 v13, s4, v11
	v_and_b32_e32 v14, s1, v12
	s_delay_alu instid0(VALU_DEP_2) | instskip(NEXT) | instid1(VALU_DEP_2)
	v_mul_lo_u32 v9, 0, v13
	v_mul_lo_u32 v7, 24, v14
	v_mul_hi_u32 v10, 24, v13
	v_mul_lo_u32 v11, 24, v13
	s_delay_alu instid0(VALU_DEP_3) | instskip(SKIP_1) | instid1(VALU_DEP_2)
	v_add_nc_u32_e32 v7, v7, v9
	s_wait_loadcnt 0x0
	v_add_co_u32 v11, vcc_lo, v0, v11
	s_delay_alu instid0(VALU_DEP_2) | instskip(SKIP_1) | instid1(VALU_DEP_1)
	v_add_nc_u32_e32 v7, v7, v10
	s_wait_alu 0xfffd
	v_add_co_ci_u32_e32 v12, vcc_lo, v1, v7, vcc_lo
	s_and_saveexec_b32 s6, s0
	s_cbranch_execz .LBB6_19
; %bb.18:
	s_wait_alu 0xfffe
	v_dual_mov_b32 v7, s5 :: v_dual_mov_b32 v10, 1
	v_mov_b32_e32 v9, 2
	global_store_b128 v[11:12], v[7:10], off offset:8
.LBB6_19:
	s_wait_alu 0xfffe
	s_or_b32 exec_lo, exec_lo, s6
	v_lshlrev_b64_e32 v[13:14], 12, v[13:14]
	v_dual_mov_b32 v7, 33 :: v_dual_lshlrev_b32 v34, 6, v35
	s_mov_b32 s16, 0
	v_dual_mov_b32 v9, v8 :: v_dual_mov_b32 v10, v8
	s_delay_alu instid0(VALU_DEP_3)
	v_add_co_u32 v2, vcc_lo, v2, v13
	s_wait_alu 0xfffd
	v_add_co_ci_u32_e32 v3, vcc_lo, v3, v14, vcc_lo
	s_wait_alu 0xfffe
	s_mov_b32 s17, s16
	v_add_co_u32 v13, vcc_lo, v2, v34
	s_mov_b32 s18, s16
	s_mov_b32 s19, s16
	v_readfirstlane_b32 s6, v2
	v_readfirstlane_b32 s7, v3
	s_wait_alu 0xfffe
	v_dual_mov_b32 v15, s16 :: v_dual_mov_b32 v16, s17
	s_wait_alu 0xfffd
	v_add_co_ci_u32_e32 v14, vcc_lo, 0, v3, vcc_lo
	v_dual_mov_b32 v17, s18 :: v_dual_mov_b32 v18, s19
	s_clause 0x3
	global_store_b128 v34, v[7:10], s[6:7]
	global_store_b128 v34, v[15:18], s[6:7] offset:16
	global_store_b128 v34, v[15:18], s[6:7] offset:32
	;; [unrolled: 1-line block ×3, first 2 shown]
	s_and_saveexec_b32 s5, s0
	s_cbranch_execz .LBB6_27
; %bb.20:
	v_mov_b32_e32 v9, 0
	v_mov_b32_e32 v15, s4
	s_mov_b32 s6, exec_lo
	s_clause 0x1
	global_load_b64 v[17:18], v9, s[2:3] offset:32 scope:SCOPE_SYS
	global_load_b64 v[2:3], v9, s[2:3] offset:40
	v_mov_b32_e32 v16, s1
	s_wait_loadcnt 0x0
	v_and_b32_e32 v2, s4, v2
	v_and_b32_e32 v3, s1, v3
	s_delay_alu instid0(VALU_DEP_2) | instskip(NEXT) | instid1(VALU_DEP_2)
	v_mul_lo_u32 v7, 0, v2
	v_mul_lo_u32 v3, 24, v3
	v_mul_hi_u32 v8, 24, v2
	v_mul_lo_u32 v2, 24, v2
	s_delay_alu instid0(VALU_DEP_3) | instskip(NEXT) | instid1(VALU_DEP_2)
	v_add_nc_u32_e32 v3, v3, v7
	v_add_co_u32 v7, vcc_lo, v0, v2
	s_delay_alu instid0(VALU_DEP_2) | instskip(SKIP_1) | instid1(VALU_DEP_1)
	v_add_nc_u32_e32 v3, v3, v8
	s_wait_alu 0xfffd
	v_add_co_ci_u32_e32 v8, vcc_lo, v1, v3, vcc_lo
	global_store_b64 v[7:8], v[17:18], off
	global_wb scope:SCOPE_SYS
	s_wait_storecnt 0x0
	global_atomic_cmpswap_b64 v[2:3], v9, v[15:18], s[2:3] offset:32 th:TH_ATOMIC_RETURN scope:SCOPE_SYS
	s_wait_loadcnt 0x0
	v_cmpx_ne_u64_e64 v[2:3], v[17:18]
	s_cbranch_execz .LBB6_23
; %bb.21:
	s_mov_b32 s7, 0
.LBB6_22:                               ; =>This Inner Loop Header: Depth=1
	v_dual_mov_b32 v0, s4 :: v_dual_mov_b32 v1, s1
	s_sleep 1
	global_store_b64 v[7:8], v[2:3], off
	global_wb scope:SCOPE_SYS
	s_wait_storecnt 0x0
	global_atomic_cmpswap_b64 v[0:1], v9, v[0:3], s[2:3] offset:32 th:TH_ATOMIC_RETURN scope:SCOPE_SYS
	s_wait_loadcnt 0x0
	v_cmp_eq_u64_e32 vcc_lo, v[0:1], v[2:3]
	v_dual_mov_b32 v3, v1 :: v_dual_mov_b32 v2, v0
	s_wait_alu 0xfffe
	s_or_b32 s7, vcc_lo, s7
	s_wait_alu 0xfffe
	s_and_not1_b32 exec_lo, exec_lo, s7
	s_cbranch_execnz .LBB6_22
.LBB6_23:
	s_wait_alu 0xfffe
	s_or_b32 exec_lo, exec_lo, s6
	v_mov_b32_e32 v3, 0
	s_mov_b32 s7, exec_lo
	s_mov_b32 s6, exec_lo
	s_wait_alu 0xfffe
	v_mbcnt_lo_u32_b32 v2, s7, 0
	global_load_b64 v[0:1], v3, s[2:3] offset:16
	v_cmpx_eq_u32_e32 0, v2
	s_cbranch_execz .LBB6_25
; %bb.24:
	s_bcnt1_i32_b32 s7, s7
	s_wait_alu 0xfffe
	v_mov_b32_e32 v2, s7
	global_wb scope:SCOPE_SYS
	s_wait_loadcnt 0x0
	global_atomic_add_u64 v[0:1], v[2:3], off offset:8 scope:SCOPE_SYS
.LBB6_25:
	s_or_b32 exec_lo, exec_lo, s6
	s_wait_loadcnt 0x0
	global_load_b64 v[2:3], v[0:1], off offset:16
	s_wait_loadcnt 0x0
	v_cmp_eq_u64_e32 vcc_lo, 0, v[2:3]
	s_cbranch_vccnz .LBB6_27
; %bb.26:
	global_load_b32 v0, v[0:1], off offset:24
	v_mov_b32_e32 v1, 0
	s_wait_loadcnt 0x0
	v_and_b32_e32 v7, 0xffffff, v0
	global_wb scope:SCOPE_SYS
	s_wait_storecnt 0x0
	global_store_b64 v[2:3], v[0:1], off scope:SCOPE_SYS
	v_readfirstlane_b32 m0, v7
	s_sendmsg sendmsg(MSG_INTERRUPT)
.LBB6_27:
	s_wait_alu 0xfffe
	s_or_b32 exec_lo, exec_lo, s5
	s_branch .LBB6_31
.LBB6_28:                               ;   in Loop: Header=BB6_31 Depth=1
	s_wait_alu 0xfffe
	s_or_b32 exec_lo, exec_lo, s5
	s_delay_alu instid0(VALU_DEP_1) | instskip(NEXT) | instid1(VALU_DEP_1)
	v_readfirstlane_b32 s5, v0
	s_cmp_eq_u32 s5, 0
	s_cbranch_scc1 .LBB6_30
; %bb.29:                               ;   in Loop: Header=BB6_31 Depth=1
	s_sleep 1
	s_cbranch_execnz .LBB6_31
	s_branch .LBB6_33
.LBB6_30:
	s_branch .LBB6_33
.LBB6_31:                               ; =>This Inner Loop Header: Depth=1
	v_mov_b32_e32 v0, 1
	s_and_saveexec_b32 s5, s0
	s_cbranch_execz .LBB6_28
; %bb.32:                               ;   in Loop: Header=BB6_31 Depth=1
	global_load_b32 v0, v[11:12], off offset:20 scope:SCOPE_SYS
	s_wait_loadcnt 0x0
	global_inv scope:SCOPE_SYS
	v_and_b32_e32 v0, 1, v0
	s_branch .LBB6_28
.LBB6_33:
	global_load_b64 v[7:8], v[13:14], off
	s_and_saveexec_b32 s5, s0
	s_cbranch_execz .LBB6_37
; %bb.34:
	v_mov_b32_e32 v11, 0
	s_clause 0x2
	global_load_b64 v[2:3], v11, s[2:3] offset:40
	global_load_b64 v[12:13], v11, s[2:3] offset:24 scope:SCOPE_SYS
	global_load_b64 v[9:10], v11, s[2:3]
	s_wait_loadcnt 0x2
	v_add_co_u32 v14, vcc_lo, v2, 1
	s_wait_alu 0xfffd
	v_add_co_ci_u32_e32 v15, vcc_lo, 0, v3, vcc_lo
	s_delay_alu instid0(VALU_DEP_2) | instskip(SKIP_1) | instid1(VALU_DEP_2)
	v_add_co_u32 v0, vcc_lo, v14, s4
	s_wait_alu 0xfffd
	v_add_co_ci_u32_e32 v1, vcc_lo, s1, v15, vcc_lo
	s_delay_alu instid0(VALU_DEP_1) | instskip(SKIP_2) | instid1(VALU_DEP_1)
	v_cmp_eq_u64_e32 vcc_lo, 0, v[0:1]
	s_wait_alu 0xfffd
	v_dual_cndmask_b32 v0, v0, v14 :: v_dual_cndmask_b32 v1, v1, v15
	v_and_b32_e32 v2, v0, v2
	s_delay_alu instid0(VALU_DEP_2) | instskip(NEXT) | instid1(VALU_DEP_2)
	v_and_b32_e32 v3, v1, v3
	v_mul_lo_u32 v14, 0, v2
	v_mul_hi_u32 v15, 24, v2
	v_mul_lo_u32 v2, 24, v2
	s_wait_loadcnt 0x0
	s_delay_alu instid0(VALU_DEP_1) | instskip(SKIP_2) | instid1(VALU_DEP_1)
	v_add_co_u32 v9, vcc_lo, v9, v2
	v_mov_b32_e32 v2, v12
	v_mul_lo_u32 v3, 24, v3
	v_add_nc_u32_e32 v3, v3, v14
	s_delay_alu instid0(VALU_DEP_1) | instskip(SKIP_1) | instid1(VALU_DEP_1)
	v_add_nc_u32_e32 v3, v3, v15
	s_wait_alu 0xfffd
	v_add_co_ci_u32_e32 v10, vcc_lo, v10, v3, vcc_lo
	v_mov_b32_e32 v3, v13
	global_store_b64 v[9:10], v[12:13], off
	global_wb scope:SCOPE_SYS
	s_wait_storecnt 0x0
	global_atomic_cmpswap_b64 v[2:3], v11, v[0:3], s[2:3] offset:24 th:TH_ATOMIC_RETURN scope:SCOPE_SYS
	s_wait_loadcnt 0x0
	v_cmp_ne_u64_e32 vcc_lo, v[2:3], v[12:13]
	s_and_b32 exec_lo, exec_lo, vcc_lo
	s_cbranch_execz .LBB6_37
; %bb.35:
	s_mov_b32 s0, 0
.LBB6_36:                               ; =>This Inner Loop Header: Depth=1
	s_sleep 1
	global_store_b64 v[9:10], v[2:3], off
	global_wb scope:SCOPE_SYS
	s_wait_storecnt 0x0
	global_atomic_cmpswap_b64 v[12:13], v11, v[0:3], s[2:3] offset:24 th:TH_ATOMIC_RETURN scope:SCOPE_SYS
	s_wait_loadcnt 0x0
	v_cmp_eq_u64_e32 vcc_lo, v[12:13], v[2:3]
	v_dual_mov_b32 v2, v12 :: v_dual_mov_b32 v3, v13
	s_wait_alu 0xfffe
	s_or_b32 s0, vcc_lo, s0
	s_wait_alu 0xfffe
	s_and_not1_b32 exec_lo, exec_lo, s0
	s_cbranch_execnz .LBB6_36
.LBB6_37:
	s_wait_alu 0xfffe
	s_or_b32 exec_lo, exec_lo, s5
	s_getpc_b64 s[4:5]
	s_wait_alu 0xfffe
	s_sext_i32_i16 s5, s5
	s_add_co_u32 s4, s4, .str.7@rel32@lo+12
	s_wait_alu 0xfffe
	s_add_co_ci_u32 s5, s5, .str.7@rel32@hi+24
	s_wait_alu 0xfffe
	s_cmp_lg_u64 s[4:5], 0
	s_cselect_b32 s15, -1, 0
	s_wait_alu 0xfffe
	s_and_b32 vcc_lo, exec_lo, s15
	s_wait_alu 0xfffe
	s_cbranch_vccz .LBB6_116
; %bb.38:
	s_wait_loadcnt 0x0
	v_dual_mov_b32 v10, 0 :: v_dual_and_b32 v33, 2, v7
	v_dual_mov_b32 v1, v8 :: v_dual_and_b32 v0, -3, v7
	v_dual_mov_b32 v11, 2 :: v_dual_mov_b32 v12, 1
	s_mov_b64 s[6:7], 3
	s_branch .LBB6_40
.LBB6_39:                               ;   in Loop: Header=BB6_40 Depth=1
	s_wait_alu 0xfffe
	s_or_b32 exec_lo, exec_lo, s17
	s_sub_nc_u64 s[6:7], s[6:7], s[10:11]
	s_add_nc_u64 s[4:5], s[4:5], s[10:11]
	s_wait_alu 0xfffe
	s_cmp_lg_u64 s[6:7], 0
	s_cbranch_scc0 .LBB6_115
.LBB6_40:                               ; =>This Loop Header: Depth=1
                                        ;     Child Loop BB6_49 Depth 2
                                        ;     Child Loop BB6_45 Depth 2
                                        ;     Child Loop BB6_57 Depth 2
                                        ;     Child Loop BB6_64 Depth 2
                                        ;     Child Loop BB6_71 Depth 2
                                        ;     Child Loop BB6_78 Depth 2
                                        ;     Child Loop BB6_85 Depth 2
                                        ;     Child Loop BB6_92 Depth 2
                                        ;     Child Loop BB6_100 Depth 2
                                        ;     Child Loop BB6_109 Depth 2
                                        ;     Child Loop BB6_114 Depth 2
	s_wait_alu 0xfffe
	v_cmp_lt_u64_e64 s0, s[6:7], 56
	v_cmp_gt_u64_e64 s1, s[6:7], 7
                                        ; implicit-def: $vgpr2_vgpr3
                                        ; implicit-def: $sgpr20
	s_delay_alu instid0(VALU_DEP_2) | instskip(SKIP_2) | instid1(VALU_DEP_1)
	s_and_b32 s0, s0, exec_lo
	s_cselect_b32 s11, s7, 0
	s_cselect_b32 s10, s6, 56
	s_and_b32 vcc_lo, exec_lo, s1
	s_mov_b32 s0, -1
	s_wait_alu 0xfffe
	s_cbranch_vccz .LBB6_47
; %bb.41:                               ;   in Loop: Header=BB6_40 Depth=1
	s_and_not1_b32 vcc_lo, exec_lo, s0
	s_mov_b64 s[0:1], s[4:5]
	s_wait_alu 0xfffe
	s_cbranch_vccz .LBB6_51
.LBB6_42:                               ;   in Loop: Header=BB6_40 Depth=1
	s_wait_alu 0xfffe
	s_cmp_gt_u32 s20, 7
	s_cbranch_scc1 .LBB6_52
.LBB6_43:                               ;   in Loop: Header=BB6_40 Depth=1
	v_mov_b32_e32 v13, 0
	v_mov_b32_e32 v14, 0
	s_cmp_eq_u32 s20, 0
	s_cbranch_scc1 .LBB6_46
; %bb.44:                               ;   in Loop: Header=BB6_40 Depth=1
	s_mov_b64 s[16:17], 0
	s_mov_b64 s[18:19], 0
.LBB6_45:                               ;   Parent Loop BB6_40 Depth=1
                                        ; =>  This Inner Loop Header: Depth=2
	s_wait_alu 0xfffe
	s_add_nc_u64 s[22:23], s[0:1], s[18:19]
	s_add_nc_u64 s[18:19], s[18:19], 1
	global_load_u8 v9, v10, s[22:23]
	s_wait_alu 0xfffe
	s_cmp_lg_u32 s20, s18
	s_wait_loadcnt 0x0
	v_and_b32_e32 v9, 0xffff, v9
	s_delay_alu instid0(VALU_DEP_1) | instskip(SKIP_1) | instid1(VALU_DEP_1)
	v_lshlrev_b64_e32 v[15:16], s16, v[9:10]
	s_add_nc_u64 s[16:17], s[16:17], 8
	v_or_b32_e32 v13, v15, v13
	s_delay_alu instid0(VALU_DEP_2)
	v_or_b32_e32 v14, v16, v14
	s_cbranch_scc1 .LBB6_45
.LBB6_46:                               ;   in Loop: Header=BB6_40 Depth=1
	s_mov_b32 s21, 0
	s_cbranch_execz .LBB6_53
	s_branch .LBB6_54
.LBB6_47:                               ;   in Loop: Header=BB6_40 Depth=1
	s_wait_loadcnt 0x0
	v_mov_b32_e32 v2, 0
	v_mov_b32_e32 v3, 0
	s_cmp_eq_u64 s[6:7], 0
	s_mov_b64 s[0:1], 0
	s_cbranch_scc1 .LBB6_50
; %bb.48:                               ;   in Loop: Header=BB6_40 Depth=1
	v_mov_b32_e32 v2, 0
	v_mov_b32_e32 v3, 0
	s_mov_b64 s[16:17], 0
.LBB6_49:                               ;   Parent Loop BB6_40 Depth=1
                                        ; =>  This Inner Loop Header: Depth=2
	s_wait_alu 0xfffe
	s_add_nc_u64 s[18:19], s[4:5], s[16:17]
	s_add_nc_u64 s[16:17], s[16:17], 1
	global_load_u8 v9, v10, s[18:19]
	s_wait_alu 0xfffe
	s_cmp_lg_u32 s10, s16
	s_wait_loadcnt 0x0
	v_and_b32_e32 v9, 0xffff, v9
	s_delay_alu instid0(VALU_DEP_1) | instskip(SKIP_1) | instid1(VALU_DEP_1)
	v_lshlrev_b64_e32 v[13:14], s0, v[9:10]
	s_add_nc_u64 s[0:1], s[0:1], 8
	v_or_b32_e32 v2, v13, v2
	s_delay_alu instid0(VALU_DEP_2)
	v_or_b32_e32 v3, v14, v3
	s_cbranch_scc1 .LBB6_49
.LBB6_50:                               ;   in Loop: Header=BB6_40 Depth=1
	s_mov_b32 s20, 0
	s_mov_b64 s[0:1], s[4:5]
	s_cbranch_execnz .LBB6_42
.LBB6_51:                               ;   in Loop: Header=BB6_40 Depth=1
	global_load_b64 v[2:3], v10, s[4:5]
	s_add_co_i32 s20, s10, -8
	s_add_nc_u64 s[0:1], s[4:5], 8
	s_wait_alu 0xfffe
	s_cmp_gt_u32 s20, 7
	s_cbranch_scc0 .LBB6_43
.LBB6_52:                               ;   in Loop: Header=BB6_40 Depth=1
                                        ; implicit-def: $vgpr13_vgpr14
                                        ; implicit-def: $sgpr21
.LBB6_53:                               ;   in Loop: Header=BB6_40 Depth=1
	global_load_b64 v[13:14], v10, s[0:1]
	s_add_co_i32 s21, s20, -8
	s_add_nc_u64 s[0:1], s[0:1], 8
.LBB6_54:                               ;   in Loop: Header=BB6_40 Depth=1
	s_wait_alu 0xfffe
	s_cmp_gt_u32 s21, 7
	s_cbranch_scc1 .LBB6_59
; %bb.55:                               ;   in Loop: Header=BB6_40 Depth=1
	v_mov_b32_e32 v15, 0
	v_mov_b32_e32 v16, 0
	s_cmp_eq_u32 s21, 0
	s_cbranch_scc1 .LBB6_58
; %bb.56:                               ;   in Loop: Header=BB6_40 Depth=1
	s_mov_b64 s[16:17], 0
	s_mov_b64 s[18:19], 0
.LBB6_57:                               ;   Parent Loop BB6_40 Depth=1
                                        ; =>  This Inner Loop Header: Depth=2
	s_wait_alu 0xfffe
	s_add_nc_u64 s[22:23], s[0:1], s[18:19]
	s_add_nc_u64 s[18:19], s[18:19], 1
	global_load_u8 v9, v10, s[22:23]
	s_wait_alu 0xfffe
	s_cmp_lg_u32 s21, s18
	s_wait_loadcnt 0x0
	v_and_b32_e32 v9, 0xffff, v9
	s_delay_alu instid0(VALU_DEP_1) | instskip(SKIP_1) | instid1(VALU_DEP_1)
	v_lshlrev_b64_e32 v[17:18], s16, v[9:10]
	s_add_nc_u64 s[16:17], s[16:17], 8
	v_or_b32_e32 v15, v17, v15
	s_delay_alu instid0(VALU_DEP_2)
	v_or_b32_e32 v16, v18, v16
	s_cbranch_scc1 .LBB6_57
.LBB6_58:                               ;   in Loop: Header=BB6_40 Depth=1
	s_mov_b32 s20, 0
	s_cbranch_execz .LBB6_60
	s_branch .LBB6_61
.LBB6_59:                               ;   in Loop: Header=BB6_40 Depth=1
                                        ; implicit-def: $sgpr20
.LBB6_60:                               ;   in Loop: Header=BB6_40 Depth=1
	global_load_b64 v[15:16], v10, s[0:1]
	s_add_co_i32 s20, s21, -8
	s_add_nc_u64 s[0:1], s[0:1], 8
.LBB6_61:                               ;   in Loop: Header=BB6_40 Depth=1
	s_wait_alu 0xfffe
	s_cmp_gt_u32 s20, 7
	s_cbranch_scc1 .LBB6_66
; %bb.62:                               ;   in Loop: Header=BB6_40 Depth=1
	v_mov_b32_e32 v17, 0
	v_mov_b32_e32 v18, 0
	s_cmp_eq_u32 s20, 0
	s_cbranch_scc1 .LBB6_65
; %bb.63:                               ;   in Loop: Header=BB6_40 Depth=1
	s_mov_b64 s[16:17], 0
	s_mov_b64 s[18:19], 0
.LBB6_64:                               ;   Parent Loop BB6_40 Depth=1
                                        ; =>  This Inner Loop Header: Depth=2
	s_wait_alu 0xfffe
	s_add_nc_u64 s[22:23], s[0:1], s[18:19]
	s_add_nc_u64 s[18:19], s[18:19], 1
	global_load_u8 v9, v10, s[22:23]
	s_wait_alu 0xfffe
	s_cmp_lg_u32 s20, s18
	s_wait_loadcnt 0x0
	v_and_b32_e32 v9, 0xffff, v9
	s_delay_alu instid0(VALU_DEP_1) | instskip(SKIP_1) | instid1(VALU_DEP_1)
	v_lshlrev_b64_e32 v[19:20], s16, v[9:10]
	s_add_nc_u64 s[16:17], s[16:17], 8
	v_or_b32_e32 v17, v19, v17
	s_delay_alu instid0(VALU_DEP_2)
	v_or_b32_e32 v18, v20, v18
	s_cbranch_scc1 .LBB6_64
.LBB6_65:                               ;   in Loop: Header=BB6_40 Depth=1
	s_mov_b32 s21, 0
	s_cbranch_execz .LBB6_67
	s_branch .LBB6_68
.LBB6_66:                               ;   in Loop: Header=BB6_40 Depth=1
                                        ; implicit-def: $vgpr17_vgpr18
                                        ; implicit-def: $sgpr21
.LBB6_67:                               ;   in Loop: Header=BB6_40 Depth=1
	global_load_b64 v[17:18], v10, s[0:1]
	s_add_co_i32 s21, s20, -8
	s_add_nc_u64 s[0:1], s[0:1], 8
.LBB6_68:                               ;   in Loop: Header=BB6_40 Depth=1
	s_wait_alu 0xfffe
	s_cmp_gt_u32 s21, 7
	s_cbranch_scc1 .LBB6_73
; %bb.69:                               ;   in Loop: Header=BB6_40 Depth=1
	v_mov_b32_e32 v19, 0
	v_mov_b32_e32 v20, 0
	s_cmp_eq_u32 s21, 0
	s_cbranch_scc1 .LBB6_72
; %bb.70:                               ;   in Loop: Header=BB6_40 Depth=1
	s_mov_b64 s[16:17], 0
	s_mov_b64 s[18:19], 0
.LBB6_71:                               ;   Parent Loop BB6_40 Depth=1
                                        ; =>  This Inner Loop Header: Depth=2
	s_wait_alu 0xfffe
	s_add_nc_u64 s[22:23], s[0:1], s[18:19]
	s_add_nc_u64 s[18:19], s[18:19], 1
	global_load_u8 v9, v10, s[22:23]
	s_wait_alu 0xfffe
	s_cmp_lg_u32 s21, s18
	s_wait_loadcnt 0x0
	v_and_b32_e32 v9, 0xffff, v9
	s_delay_alu instid0(VALU_DEP_1) | instskip(SKIP_1) | instid1(VALU_DEP_1)
	v_lshlrev_b64_e32 v[21:22], s16, v[9:10]
	s_add_nc_u64 s[16:17], s[16:17], 8
	v_or_b32_e32 v19, v21, v19
	s_delay_alu instid0(VALU_DEP_2)
	v_or_b32_e32 v20, v22, v20
	s_cbranch_scc1 .LBB6_71
.LBB6_72:                               ;   in Loop: Header=BB6_40 Depth=1
	s_mov_b32 s20, 0
	s_cbranch_execz .LBB6_74
	s_branch .LBB6_75
.LBB6_73:                               ;   in Loop: Header=BB6_40 Depth=1
                                        ; implicit-def: $sgpr20
.LBB6_74:                               ;   in Loop: Header=BB6_40 Depth=1
	global_load_b64 v[19:20], v10, s[0:1]
	s_add_co_i32 s20, s21, -8
	s_add_nc_u64 s[0:1], s[0:1], 8
.LBB6_75:                               ;   in Loop: Header=BB6_40 Depth=1
	s_wait_alu 0xfffe
	s_cmp_gt_u32 s20, 7
	s_cbranch_scc1 .LBB6_80
; %bb.76:                               ;   in Loop: Header=BB6_40 Depth=1
	v_mov_b32_e32 v21, 0
	v_mov_b32_e32 v22, 0
	s_cmp_eq_u32 s20, 0
	s_cbranch_scc1 .LBB6_79
; %bb.77:                               ;   in Loop: Header=BB6_40 Depth=1
	s_mov_b64 s[16:17], 0
	s_mov_b64 s[18:19], 0
.LBB6_78:                               ;   Parent Loop BB6_40 Depth=1
                                        ; =>  This Inner Loop Header: Depth=2
	s_wait_alu 0xfffe
	s_add_nc_u64 s[22:23], s[0:1], s[18:19]
	s_add_nc_u64 s[18:19], s[18:19], 1
	global_load_u8 v9, v10, s[22:23]
	s_wait_alu 0xfffe
	s_cmp_lg_u32 s20, s18
	s_wait_loadcnt 0x0
	v_and_b32_e32 v9, 0xffff, v9
	s_delay_alu instid0(VALU_DEP_1) | instskip(SKIP_1) | instid1(VALU_DEP_1)
	v_lshlrev_b64_e32 v[23:24], s16, v[9:10]
	s_add_nc_u64 s[16:17], s[16:17], 8
	v_or_b32_e32 v21, v23, v21
	s_delay_alu instid0(VALU_DEP_2)
	v_or_b32_e32 v22, v24, v22
	s_cbranch_scc1 .LBB6_78
.LBB6_79:                               ;   in Loop: Header=BB6_40 Depth=1
	s_mov_b32 s21, 0
	s_cbranch_execz .LBB6_81
	s_branch .LBB6_82
.LBB6_80:                               ;   in Loop: Header=BB6_40 Depth=1
                                        ; implicit-def: $vgpr21_vgpr22
                                        ; implicit-def: $sgpr21
.LBB6_81:                               ;   in Loop: Header=BB6_40 Depth=1
	global_load_b64 v[21:22], v10, s[0:1]
	s_add_co_i32 s21, s20, -8
	s_add_nc_u64 s[0:1], s[0:1], 8
.LBB6_82:                               ;   in Loop: Header=BB6_40 Depth=1
	s_wait_alu 0xfffe
	s_cmp_gt_u32 s21, 7
	s_cbranch_scc1 .LBB6_87
; %bb.83:                               ;   in Loop: Header=BB6_40 Depth=1
	v_mov_b32_e32 v23, 0
	v_mov_b32_e32 v24, 0
	s_cmp_eq_u32 s21, 0
	s_cbranch_scc1 .LBB6_86
; %bb.84:                               ;   in Loop: Header=BB6_40 Depth=1
	s_mov_b64 s[16:17], 0
	s_mov_b64 s[18:19], s[0:1]
.LBB6_85:                               ;   Parent Loop BB6_40 Depth=1
                                        ; =>  This Inner Loop Header: Depth=2
	global_load_u8 v9, v10, s[18:19]
	s_add_co_i32 s21, s21, -1
	s_wait_alu 0xfffe
	s_add_nc_u64 s[18:19], s[18:19], 1
	s_cmp_lg_u32 s21, 0
	s_wait_loadcnt 0x0
	v_and_b32_e32 v9, 0xffff, v9
	s_delay_alu instid0(VALU_DEP_1) | instskip(SKIP_1) | instid1(VALU_DEP_1)
	v_lshlrev_b64_e32 v[25:26], s16, v[9:10]
	s_add_nc_u64 s[16:17], s[16:17], 8
	v_or_b32_e32 v23, v25, v23
	s_delay_alu instid0(VALU_DEP_2)
	v_or_b32_e32 v24, v26, v24
	s_cbranch_scc1 .LBB6_85
.LBB6_86:                               ;   in Loop: Header=BB6_40 Depth=1
	s_cbranch_execz .LBB6_88
	s_branch .LBB6_89
.LBB6_87:                               ;   in Loop: Header=BB6_40 Depth=1
.LBB6_88:                               ;   in Loop: Header=BB6_40 Depth=1
	global_load_b64 v[23:24], v10, s[0:1]
.LBB6_89:                               ;   in Loop: Header=BB6_40 Depth=1
	v_readfirstlane_b32 s0, v35
	v_mov_b32_e32 v29, 0
	v_mov_b32_e32 v30, 0
	s_wait_alu 0xf1ff
	s_delay_alu instid0(VALU_DEP_3) | instskip(NEXT) | instid1(VALU_DEP_1)
	v_cmp_eq_u32_e64 s0, s0, v35
	s_and_saveexec_b32 s1, s0
	s_cbranch_execz .LBB6_95
; %bb.90:                               ;   in Loop: Header=BB6_40 Depth=1
	global_load_b64 v[27:28], v10, s[2:3] offset:24 scope:SCOPE_SYS
	s_wait_loadcnt 0x0
	global_inv scope:SCOPE_SYS
	s_clause 0x1
	global_load_b64 v[25:26], v10, s[2:3] offset:40
	global_load_b64 v[29:30], v10, s[2:3]
	s_mov_b32 s16, exec_lo
	s_wait_loadcnt 0x1
	v_and_b32_e32 v9, v26, v28
	v_and_b32_e32 v25, v25, v27
	s_delay_alu instid0(VALU_DEP_2) | instskip(NEXT) | instid1(VALU_DEP_2)
	v_mul_lo_u32 v9, 24, v9
	v_mul_lo_u32 v26, 0, v25
	v_mul_hi_u32 v31, 24, v25
	v_mul_lo_u32 v25, 24, v25
	s_delay_alu instid0(VALU_DEP_3) | instskip(SKIP_1) | instid1(VALU_DEP_2)
	v_add_nc_u32_e32 v9, v9, v26
	s_wait_loadcnt 0x0
	v_add_co_u32 v25, vcc_lo, v29, v25
	s_delay_alu instid0(VALU_DEP_2) | instskip(SKIP_1) | instid1(VALU_DEP_1)
	v_add_nc_u32_e32 v9, v9, v31
	s_wait_alu 0xfffd
	v_add_co_ci_u32_e32 v26, vcc_lo, v30, v9, vcc_lo
	global_load_b64 v[25:26], v[25:26], off scope:SCOPE_SYS
	s_wait_loadcnt 0x0
	global_atomic_cmpswap_b64 v[29:30], v10, v[25:28], s[2:3] offset:24 th:TH_ATOMIC_RETURN scope:SCOPE_SYS
	s_wait_loadcnt 0x0
	global_inv scope:SCOPE_SYS
	v_cmpx_ne_u64_e64 v[29:30], v[27:28]
	s_cbranch_execz .LBB6_94
; %bb.91:                               ;   in Loop: Header=BB6_40 Depth=1
	s_mov_b32 s17, 0
.LBB6_92:                               ;   Parent Loop BB6_40 Depth=1
                                        ; =>  This Inner Loop Header: Depth=2
	s_sleep 1
	s_clause 0x1
	global_load_b64 v[25:26], v10, s[2:3] offset:40
	global_load_b64 v[31:32], v10, s[2:3]
	v_dual_mov_b32 v27, v29 :: v_dual_mov_b32 v28, v30
	s_wait_loadcnt 0x1
	s_delay_alu instid0(VALU_DEP_1) | instskip(NEXT) | instid1(VALU_DEP_2)
	v_and_b32_e32 v9, v25, v27
	v_and_b32_e32 v25, v26, v28
	s_wait_loadcnt 0x0
	s_delay_alu instid0(VALU_DEP_2) | instskip(NEXT) | instid1(VALU_DEP_1)
	v_mad_co_u64_u32 v[29:30], null, v9, 24, v[31:32]
	v_mov_b32_e32 v9, v30
	s_delay_alu instid0(VALU_DEP_1) | instskip(NEXT) | instid1(VALU_DEP_1)
	v_mad_co_u64_u32 v[25:26], null, v25, 24, v[9:10]
	v_mov_b32_e32 v30, v25
	global_load_b64 v[25:26], v[29:30], off scope:SCOPE_SYS
	s_wait_loadcnt 0x0
	global_atomic_cmpswap_b64 v[29:30], v10, v[25:28], s[2:3] offset:24 th:TH_ATOMIC_RETURN scope:SCOPE_SYS
	s_wait_loadcnt 0x0
	global_inv scope:SCOPE_SYS
	v_cmp_eq_u64_e32 vcc_lo, v[29:30], v[27:28]
	s_wait_alu 0xfffe
	s_or_b32 s17, vcc_lo, s17
	s_wait_alu 0xfffe
	s_and_not1_b32 exec_lo, exec_lo, s17
	s_cbranch_execnz .LBB6_92
; %bb.93:                               ;   in Loop: Header=BB6_40 Depth=1
	s_or_b32 exec_lo, exec_lo, s17
.LBB6_94:                               ;   in Loop: Header=BB6_40 Depth=1
	s_wait_alu 0xfffe
	s_or_b32 exec_lo, exec_lo, s16
.LBB6_95:                               ;   in Loop: Header=BB6_40 Depth=1
	s_wait_alu 0xfffe
	s_or_b32 exec_lo, exec_lo, s1
	s_clause 0x1
	global_load_b64 v[31:32], v10, s[2:3] offset:40
	global_load_b128 v[25:28], v10, s[2:3]
	v_readfirstlane_b32 s1, v30
	v_readfirstlane_b32 s16, v29
	s_mov_b32 s17, exec_lo
	s_wait_loadcnt 0x1
	s_wait_alu 0xf1ff
	v_and_b32_e32 v32, s1, v32
	v_and_b32_e32 v31, s16, v31
	s_delay_alu instid0(VALU_DEP_2) | instskip(NEXT) | instid1(VALU_DEP_2)
	v_mul_lo_u32 v9, 24, v32
	v_mul_lo_u32 v29, 0, v31
	v_mul_hi_u32 v30, 24, v31
	v_mul_lo_u32 v36, 24, v31
	s_delay_alu instid0(VALU_DEP_3) | instskip(SKIP_1) | instid1(VALU_DEP_2)
	v_add_nc_u32_e32 v9, v9, v29
	s_wait_loadcnt 0x0
	v_add_co_u32 v29, vcc_lo, v25, v36
	s_delay_alu instid0(VALU_DEP_2) | instskip(SKIP_1) | instid1(VALU_DEP_1)
	v_add_nc_u32_e32 v9, v9, v30
	s_wait_alu 0xfffd
	v_add_co_ci_u32_e32 v30, vcc_lo, v26, v9, vcc_lo
	s_and_saveexec_b32 s18, s0
	s_cbranch_execz .LBB6_97
; %bb.96:                               ;   in Loop: Header=BB6_40 Depth=1
	s_wait_alu 0xfffe
	v_mov_b32_e32 v9, s17
	global_store_b128 v[29:30], v[9:12], off offset:8
.LBB6_97:                               ;   in Loop: Header=BB6_40 Depth=1
	s_wait_alu 0xfffe
	s_or_b32 exec_lo, exec_lo, s18
	v_cmp_gt_u64_e64 vcc_lo, s[6:7], 56
	v_lshlrev_b64_e32 v[31:32], 12, v[31:32]
	v_or_b32_e32 v9, 0, v1
	v_or_b32_e32 v36, v0, v33
	s_lshl_b32 s17, s10, 2
	s_wait_alu 0xfffe
	s_add_co_i32 s17, s17, 28
	s_wait_alu 0xfffd
	v_dual_cndmask_b32 v1, v9, v1 :: v_dual_cndmask_b32 v0, v36, v0
	v_add_co_u32 v27, vcc_lo, v27, v31
	s_wait_alu 0xfffd
	v_add_co_ci_u32_e32 v28, vcc_lo, v28, v32, vcc_lo
	s_wait_alu 0xfffe
	s_and_b32 s17, s17, 0x1e0
	v_readfirstlane_b32 s18, v27
	s_wait_alu 0xfffe
	v_and_or_b32 v0, 0xffffff1f, v0, s17
	v_readfirstlane_b32 s19, v28
	s_clause 0x3
	global_store_b128 v34, v[0:3], s[18:19]
	global_store_b128 v34, v[13:16], s[18:19] offset:16
	global_store_b128 v34, v[17:20], s[18:19] offset:32
	;; [unrolled: 1-line block ×3, first 2 shown]
	s_and_saveexec_b32 s17, s0
	s_cbranch_execz .LBB6_105
; %bb.98:                               ;   in Loop: Header=BB6_40 Depth=1
	s_clause 0x1
	global_load_b64 v[17:18], v10, s[2:3] offset:32 scope:SCOPE_SYS
	global_load_b64 v[0:1], v10, s[2:3] offset:40
	s_mov_b32 s18, exec_lo
	v_dual_mov_b32 v15, s16 :: v_dual_mov_b32 v16, s1
	s_wait_loadcnt 0x0
	v_and_b32_e32 v1, s1, v1
	v_and_b32_e32 v0, s16, v0
	s_delay_alu instid0(VALU_DEP_2) | instskip(NEXT) | instid1(VALU_DEP_2)
	v_mul_lo_u32 v1, 24, v1
	v_mul_lo_u32 v2, 0, v0
	v_mul_hi_u32 v3, 24, v0
	v_mul_lo_u32 v0, 24, v0
	s_delay_alu instid0(VALU_DEP_3) | instskip(NEXT) | instid1(VALU_DEP_2)
	v_add_nc_u32_e32 v1, v1, v2
	v_add_co_u32 v13, vcc_lo, v25, v0
	s_delay_alu instid0(VALU_DEP_2) | instskip(SKIP_1) | instid1(VALU_DEP_1)
	v_add_nc_u32_e32 v1, v1, v3
	s_wait_alu 0xfffd
	v_add_co_ci_u32_e32 v14, vcc_lo, v26, v1, vcc_lo
	global_store_b64 v[13:14], v[17:18], off
	global_wb scope:SCOPE_SYS
	s_wait_storecnt 0x0
	global_atomic_cmpswap_b64 v[2:3], v10, v[15:18], s[2:3] offset:32 th:TH_ATOMIC_RETURN scope:SCOPE_SYS
	s_wait_loadcnt 0x0
	v_cmpx_ne_u64_e64 v[2:3], v[17:18]
	s_cbranch_execz .LBB6_101
; %bb.99:                               ;   in Loop: Header=BB6_40 Depth=1
	s_mov_b32 s19, 0
.LBB6_100:                              ;   Parent Loop BB6_40 Depth=1
                                        ; =>  This Inner Loop Header: Depth=2
	v_dual_mov_b32 v0, s16 :: v_dual_mov_b32 v1, s1
	s_sleep 1
	global_store_b64 v[13:14], v[2:3], off
	global_wb scope:SCOPE_SYS
	s_wait_storecnt 0x0
	global_atomic_cmpswap_b64 v[0:1], v10, v[0:3], s[2:3] offset:32 th:TH_ATOMIC_RETURN scope:SCOPE_SYS
	s_wait_loadcnt 0x0
	v_cmp_eq_u64_e32 vcc_lo, v[0:1], v[2:3]
	v_dual_mov_b32 v3, v1 :: v_dual_mov_b32 v2, v0
	s_wait_alu 0xfffe
	s_or_b32 s19, vcc_lo, s19
	s_wait_alu 0xfffe
	s_and_not1_b32 exec_lo, exec_lo, s19
	s_cbranch_execnz .LBB6_100
.LBB6_101:                              ;   in Loop: Header=BB6_40 Depth=1
	s_wait_alu 0xfffe
	s_or_b32 exec_lo, exec_lo, s18
	global_load_b64 v[0:1], v10, s[2:3] offset:16
	s_mov_b32 s19, exec_lo
	s_mov_b32 s18, exec_lo
	s_wait_alu 0xfffe
	v_mbcnt_lo_u32_b32 v2, s19, 0
	s_delay_alu instid0(VALU_DEP_1)
	v_cmpx_eq_u32_e32 0, v2
	s_cbranch_execz .LBB6_103
; %bb.102:                              ;   in Loop: Header=BB6_40 Depth=1
	s_bcnt1_i32_b32 s19, s19
	s_wait_alu 0xfffe
	v_mov_b32_e32 v9, s19
	global_wb scope:SCOPE_SYS
	s_wait_loadcnt 0x0
	global_atomic_add_u64 v[0:1], v[9:10], off offset:8 scope:SCOPE_SYS
.LBB6_103:                              ;   in Loop: Header=BB6_40 Depth=1
	s_or_b32 exec_lo, exec_lo, s18
	s_wait_loadcnt 0x0
	global_load_b64 v[2:3], v[0:1], off offset:16
	s_wait_loadcnt 0x0
	v_cmp_eq_u64_e32 vcc_lo, 0, v[2:3]
	s_cbranch_vccnz .LBB6_105
; %bb.104:                              ;   in Loop: Header=BB6_40 Depth=1
	global_load_b32 v9, v[0:1], off offset:24
	s_wait_loadcnt 0x0
	v_and_b32_e32 v0, 0xffffff, v9
	global_wb scope:SCOPE_SYS
	s_wait_storecnt 0x0
	global_store_b64 v[2:3], v[9:10], off scope:SCOPE_SYS
	v_readfirstlane_b32 m0, v0
	s_sendmsg sendmsg(MSG_INTERRUPT)
.LBB6_105:                              ;   in Loop: Header=BB6_40 Depth=1
	s_wait_alu 0xfffe
	s_or_b32 exec_lo, exec_lo, s17
	v_add_co_u32 v0, vcc_lo, v27, v34
	s_wait_alu 0xfffd
	v_add_co_ci_u32_e32 v1, vcc_lo, 0, v28, vcc_lo
	s_branch .LBB6_109
.LBB6_106:                              ;   in Loop: Header=BB6_109 Depth=2
	s_wait_alu 0xfffe
	s_or_b32 exec_lo, exec_lo, s17
	s_delay_alu instid0(VALU_DEP_1) | instskip(NEXT) | instid1(VALU_DEP_1)
	v_readfirstlane_b32 s17, v2
	s_cmp_eq_u32 s17, 0
	s_cbranch_scc1 .LBB6_108
; %bb.107:                              ;   in Loop: Header=BB6_109 Depth=2
	s_sleep 1
	s_cbranch_execnz .LBB6_109
	s_branch .LBB6_111
.LBB6_108:                              ;   in Loop: Header=BB6_40 Depth=1
	s_branch .LBB6_111
.LBB6_109:                              ;   Parent Loop BB6_40 Depth=1
                                        ; =>  This Inner Loop Header: Depth=2
	v_mov_b32_e32 v2, 1
	s_and_saveexec_b32 s17, s0
	s_cbranch_execz .LBB6_106
; %bb.110:                              ;   in Loop: Header=BB6_109 Depth=2
	global_load_b32 v2, v[29:30], off offset:20 scope:SCOPE_SYS
	s_wait_loadcnt 0x0
	global_inv scope:SCOPE_SYS
	v_and_b32_e32 v2, 1, v2
	s_branch .LBB6_106
.LBB6_111:                              ;   in Loop: Header=BB6_40 Depth=1
	global_load_b128 v[0:3], v[0:1], off
	s_and_saveexec_b32 s17, s0
	s_cbranch_execz .LBB6_39
; %bb.112:                              ;   in Loop: Header=BB6_40 Depth=1
	s_clause 0x2
	global_load_b64 v[2:3], v10, s[2:3] offset:40
	global_load_b64 v[17:18], v10, s[2:3] offset:24 scope:SCOPE_SYS
	global_load_b64 v[15:16], v10, s[2:3]
	s_wait_loadcnt 0x2
	v_add_co_u32 v9, vcc_lo, v2, 1
	s_wait_alu 0xfffd
	v_add_co_ci_u32_e32 v19, vcc_lo, 0, v3, vcc_lo
	s_delay_alu instid0(VALU_DEP_2) | instskip(SKIP_1) | instid1(VALU_DEP_2)
	v_add_co_u32 v13, vcc_lo, v9, s16
	s_wait_alu 0xfffd
	v_add_co_ci_u32_e32 v14, vcc_lo, s1, v19, vcc_lo
	s_delay_alu instid0(VALU_DEP_1) | instskip(SKIP_2) | instid1(VALU_DEP_1)
	v_cmp_eq_u64_e32 vcc_lo, 0, v[13:14]
	s_wait_alu 0xfffd
	v_dual_cndmask_b32 v14, v14, v19 :: v_dual_cndmask_b32 v13, v13, v9
	v_and_b32_e32 v3, v14, v3
	s_delay_alu instid0(VALU_DEP_2) | instskip(NEXT) | instid1(VALU_DEP_2)
	v_and_b32_e32 v2, v13, v2
	v_mul_lo_u32 v3, 24, v3
	s_delay_alu instid0(VALU_DEP_2) | instskip(SKIP_2) | instid1(VALU_DEP_3)
	v_mul_lo_u32 v9, 0, v2
	v_mul_hi_u32 v19, 24, v2
	v_mul_lo_u32 v2, 24, v2
	v_add_nc_u32_e32 v3, v3, v9
	s_wait_loadcnt 0x0
	s_delay_alu instid0(VALU_DEP_2) | instskip(SKIP_1) | instid1(VALU_DEP_3)
	v_add_co_u32 v2, vcc_lo, v15, v2
	v_mov_b32_e32 v15, v17
	v_add_nc_u32_e32 v3, v3, v19
	s_wait_alu 0xfffd
	s_delay_alu instid0(VALU_DEP_1)
	v_add_co_ci_u32_e32 v3, vcc_lo, v16, v3, vcc_lo
	v_mov_b32_e32 v16, v18
	global_store_b64 v[2:3], v[17:18], off
	global_wb scope:SCOPE_SYS
	s_wait_storecnt 0x0
	global_atomic_cmpswap_b64 v[15:16], v10, v[13:16], s[2:3] offset:24 th:TH_ATOMIC_RETURN scope:SCOPE_SYS
	s_wait_loadcnt 0x0
	v_cmp_ne_u64_e32 vcc_lo, v[15:16], v[17:18]
	s_and_b32 exec_lo, exec_lo, vcc_lo
	s_cbranch_execz .LBB6_39
; %bb.113:                              ;   in Loop: Header=BB6_40 Depth=1
	s_mov_b32 s0, 0
.LBB6_114:                              ;   Parent Loop BB6_40 Depth=1
                                        ; =>  This Inner Loop Header: Depth=2
	s_sleep 1
	global_store_b64 v[2:3], v[15:16], off
	global_wb scope:SCOPE_SYS
	s_wait_storecnt 0x0
	global_atomic_cmpswap_b64 v[17:18], v10, v[13:16], s[2:3] offset:24 th:TH_ATOMIC_RETURN scope:SCOPE_SYS
	s_wait_loadcnt 0x0
	v_cmp_eq_u64_e32 vcc_lo, v[17:18], v[15:16]
	v_dual_mov_b32 v15, v17 :: v_dual_mov_b32 v16, v18
	s_wait_alu 0xfffe
	s_or_b32 s0, vcc_lo, s0
	s_wait_alu 0xfffe
	s_and_not1_b32 exec_lo, exec_lo, s0
	s_cbranch_execnz .LBB6_114
	s_branch .LBB6_39
.LBB6_115:
	s_branch .LBB6_144
.LBB6_116:
                                        ; implicit-def: $vgpr0_vgpr1
	s_cbranch_execz .LBB6_144
; %bb.117:
	v_readfirstlane_b32 s0, v35
	v_mov_b32_e32 v10, 0
	v_mov_b32_e32 v11, 0
	s_wait_alu 0xf1ff
	s_delay_alu instid0(VALU_DEP_3) | instskip(NEXT) | instid1(VALU_DEP_1)
	v_cmp_eq_u32_e64 s0, s0, v35
	s_and_saveexec_b32 s1, s0
	s_cbranch_execz .LBB6_123
; %bb.118:
	s_wait_loadcnt 0x0
	v_mov_b32_e32 v0, 0
	s_mov_b32 s4, exec_lo
	global_load_b64 v[12:13], v0, s[2:3] offset:24 scope:SCOPE_SYS
	s_wait_loadcnt 0x0
	global_inv scope:SCOPE_SYS
	s_clause 0x1
	global_load_b64 v[1:2], v0, s[2:3] offset:40
	global_load_b64 v[9:10], v0, s[2:3]
	s_wait_loadcnt 0x1
	v_and_b32_e32 v1, v1, v12
	v_and_b32_e32 v2, v2, v13
	s_delay_alu instid0(VALU_DEP_2) | instskip(NEXT) | instid1(VALU_DEP_2)
	v_mul_lo_u32 v3, 0, v1
	v_mul_lo_u32 v2, 24, v2
	v_mul_hi_u32 v11, 24, v1
	v_mul_lo_u32 v1, 24, v1
	s_delay_alu instid0(VALU_DEP_3) | instskip(SKIP_1) | instid1(VALU_DEP_2)
	v_add_nc_u32_e32 v2, v2, v3
	s_wait_loadcnt 0x0
	v_add_co_u32 v1, vcc_lo, v9, v1
	s_delay_alu instid0(VALU_DEP_2) | instskip(SKIP_1) | instid1(VALU_DEP_1)
	v_add_nc_u32_e32 v2, v2, v11
	s_wait_alu 0xfffd
	v_add_co_ci_u32_e32 v2, vcc_lo, v10, v2, vcc_lo
	global_load_b64 v[10:11], v[1:2], off scope:SCOPE_SYS
	s_wait_loadcnt 0x0
	global_atomic_cmpswap_b64 v[10:11], v0, v[10:13], s[2:3] offset:24 th:TH_ATOMIC_RETURN scope:SCOPE_SYS
	s_wait_loadcnt 0x0
	global_inv scope:SCOPE_SYS
	v_cmpx_ne_u64_e64 v[10:11], v[12:13]
	s_cbranch_execz .LBB6_122
; %bb.119:
	s_mov_b32 s5, 0
.LBB6_120:                              ; =>This Inner Loop Header: Depth=1
	s_sleep 1
	s_clause 0x1
	global_load_b64 v[1:2], v0, s[2:3] offset:40
	global_load_b64 v[14:15], v0, s[2:3]
	v_dual_mov_b32 v13, v11 :: v_dual_mov_b32 v12, v10
	s_wait_loadcnt 0x1
	s_delay_alu instid0(VALU_DEP_1) | instskip(NEXT) | instid1(VALU_DEP_2)
	v_and_b32_e32 v1, v1, v12
	v_and_b32_e32 v2, v2, v13
	s_wait_loadcnt 0x0
	s_delay_alu instid0(VALU_DEP_2) | instskip(NEXT) | instid1(VALU_DEP_1)
	v_mad_co_u64_u32 v[9:10], null, v1, 24, v[14:15]
	v_mov_b32_e32 v1, v10
	s_delay_alu instid0(VALU_DEP_1) | instskip(NEXT) | instid1(VALU_DEP_1)
	v_mad_co_u64_u32 v[1:2], null, v2, 24, v[1:2]
	v_mov_b32_e32 v10, v1
	global_load_b64 v[10:11], v[9:10], off scope:SCOPE_SYS
	s_wait_loadcnt 0x0
	global_atomic_cmpswap_b64 v[10:11], v0, v[10:13], s[2:3] offset:24 th:TH_ATOMIC_RETURN scope:SCOPE_SYS
	s_wait_loadcnt 0x0
	global_inv scope:SCOPE_SYS
	v_cmp_eq_u64_e32 vcc_lo, v[10:11], v[12:13]
	s_wait_alu 0xfffe
	s_or_b32 s5, vcc_lo, s5
	s_wait_alu 0xfffe
	s_and_not1_b32 exec_lo, exec_lo, s5
	s_cbranch_execnz .LBB6_120
; %bb.121:
	s_or_b32 exec_lo, exec_lo, s5
.LBB6_122:
	s_wait_alu 0xfffe
	s_or_b32 exec_lo, exec_lo, s4
.LBB6_123:
	s_wait_alu 0xfffe
	s_or_b32 exec_lo, exec_lo, s1
	v_readfirstlane_b32 s1, v11
	v_mov_b32_e32 v9, 0
	v_readfirstlane_b32 s4, v10
	s_mov_b32 s5, exec_lo
	s_clause 0x1
	global_load_b64 v[12:13], v9, s[2:3] offset:40
	global_load_b128 v[0:3], v9, s[2:3]
	s_wait_loadcnt 0x1
	s_wait_alu 0xf1ff
	v_and_b32_e32 v14, s1, v13
	v_and_b32_e32 v13, s4, v12
	s_delay_alu instid0(VALU_DEP_2) | instskip(NEXT) | instid1(VALU_DEP_2)
	v_mul_lo_u32 v10, 24, v14
	v_mul_lo_u32 v11, 0, v13
	v_mul_hi_u32 v12, 24, v13
	v_mul_lo_u32 v15, 24, v13
	s_delay_alu instid0(VALU_DEP_3) | instskip(SKIP_1) | instid1(VALU_DEP_2)
	v_add_nc_u32_e32 v10, v10, v11
	s_wait_loadcnt 0x0
	v_add_co_u32 v11, vcc_lo, v0, v15
	s_delay_alu instid0(VALU_DEP_2) | instskip(SKIP_1) | instid1(VALU_DEP_1)
	v_add_nc_u32_e32 v10, v10, v12
	s_wait_alu 0xfffd
	v_add_co_ci_u32_e32 v12, vcc_lo, v1, v10, vcc_lo
	s_and_saveexec_b32 s6, s0
	s_cbranch_execz .LBB6_125
; %bb.124:
	s_wait_alu 0xfffe
	v_dual_mov_b32 v15, s5 :: v_dual_mov_b32 v16, v9
	v_dual_mov_b32 v17, 2 :: v_dual_mov_b32 v18, 1
	global_store_b128 v[11:12], v[15:18], off offset:8
.LBB6_125:
	s_wait_alu 0xfffe
	s_or_b32 exec_lo, exec_lo, s6
	v_lshlrev_b64_e32 v[13:14], 12, v[13:14]
	s_mov_b32 s16, 0
	v_and_or_b32 v7, 0xffffff1f, v7, 32
	s_wait_alu 0xfffe
	s_mov_b32 s17, s16
	s_mov_b32 s18, s16
	;; [unrolled: 1-line block ×3, first 2 shown]
	v_add_co_u32 v2, vcc_lo, v2, v13
	s_wait_alu 0xfffd
	v_add_co_ci_u32_e32 v3, vcc_lo, v3, v14, vcc_lo
	v_dual_mov_b32 v10, v9 :: v_dual_mov_b32 v15, s16
	s_delay_alu instid0(VALU_DEP_3) | instskip(SKIP_1) | instid1(VALU_DEP_4)
	v_add_co_u32 v13, vcc_lo, v2, v34
	v_readfirstlane_b32 s6, v2
	v_readfirstlane_b32 s7, v3
	s_wait_alu 0xfffd
	v_add_co_ci_u32_e32 v14, vcc_lo, 0, v3, vcc_lo
	s_wait_alu 0xfffe
	v_dual_mov_b32 v16, s17 :: v_dual_mov_b32 v17, s18
	v_mov_b32_e32 v18, s19
	s_clause 0x3
	global_store_b128 v34, v[7:10], s[6:7]
	global_store_b128 v34, v[15:18], s[6:7] offset:16
	global_store_b128 v34, v[15:18], s[6:7] offset:32
	;; [unrolled: 1-line block ×3, first 2 shown]
	s_and_saveexec_b32 s5, s0
	s_cbranch_execz .LBB6_133
; %bb.126:
	v_mov_b32_e32 v9, 0
	v_mov_b32_e32 v15, s4
	s_mov_b32 s6, exec_lo
	s_clause 0x1
	global_load_b64 v[17:18], v9, s[2:3] offset:32 scope:SCOPE_SYS
	global_load_b64 v[2:3], v9, s[2:3] offset:40
	v_mov_b32_e32 v16, s1
	s_wait_loadcnt 0x0
	v_and_b32_e32 v2, s4, v2
	v_and_b32_e32 v3, s1, v3
	s_delay_alu instid0(VALU_DEP_2) | instskip(NEXT) | instid1(VALU_DEP_2)
	v_mul_lo_u32 v7, 0, v2
	v_mul_lo_u32 v3, 24, v3
	v_mul_hi_u32 v8, 24, v2
	v_mul_lo_u32 v2, 24, v2
	s_delay_alu instid0(VALU_DEP_3) | instskip(NEXT) | instid1(VALU_DEP_2)
	v_add_nc_u32_e32 v3, v3, v7
	v_add_co_u32 v7, vcc_lo, v0, v2
	s_delay_alu instid0(VALU_DEP_2) | instskip(SKIP_1) | instid1(VALU_DEP_1)
	v_add_nc_u32_e32 v3, v3, v8
	s_wait_alu 0xfffd
	v_add_co_ci_u32_e32 v8, vcc_lo, v1, v3, vcc_lo
	global_store_b64 v[7:8], v[17:18], off
	global_wb scope:SCOPE_SYS
	s_wait_storecnt 0x0
	global_atomic_cmpswap_b64 v[2:3], v9, v[15:18], s[2:3] offset:32 th:TH_ATOMIC_RETURN scope:SCOPE_SYS
	s_wait_loadcnt 0x0
	v_cmpx_ne_u64_e64 v[2:3], v[17:18]
	s_cbranch_execz .LBB6_129
; %bb.127:
	s_mov_b32 s7, 0
.LBB6_128:                              ; =>This Inner Loop Header: Depth=1
	v_dual_mov_b32 v0, s4 :: v_dual_mov_b32 v1, s1
	s_sleep 1
	global_store_b64 v[7:8], v[2:3], off
	global_wb scope:SCOPE_SYS
	s_wait_storecnt 0x0
	global_atomic_cmpswap_b64 v[0:1], v9, v[0:3], s[2:3] offset:32 th:TH_ATOMIC_RETURN scope:SCOPE_SYS
	s_wait_loadcnt 0x0
	v_cmp_eq_u64_e32 vcc_lo, v[0:1], v[2:3]
	v_dual_mov_b32 v3, v1 :: v_dual_mov_b32 v2, v0
	s_wait_alu 0xfffe
	s_or_b32 s7, vcc_lo, s7
	s_wait_alu 0xfffe
	s_and_not1_b32 exec_lo, exec_lo, s7
	s_cbranch_execnz .LBB6_128
.LBB6_129:
	s_wait_alu 0xfffe
	s_or_b32 exec_lo, exec_lo, s6
	v_mov_b32_e32 v3, 0
	s_mov_b32 s7, exec_lo
	s_mov_b32 s6, exec_lo
	s_wait_alu 0xfffe
	v_mbcnt_lo_u32_b32 v2, s7, 0
	global_load_b64 v[0:1], v3, s[2:3] offset:16
	v_cmpx_eq_u32_e32 0, v2
	s_cbranch_execz .LBB6_131
; %bb.130:
	s_bcnt1_i32_b32 s7, s7
	s_wait_alu 0xfffe
	v_mov_b32_e32 v2, s7
	global_wb scope:SCOPE_SYS
	s_wait_loadcnt 0x0
	global_atomic_add_u64 v[0:1], v[2:3], off offset:8 scope:SCOPE_SYS
.LBB6_131:
	s_or_b32 exec_lo, exec_lo, s6
	s_wait_loadcnt 0x0
	global_load_b64 v[2:3], v[0:1], off offset:16
	s_wait_loadcnt 0x0
	v_cmp_eq_u64_e32 vcc_lo, 0, v[2:3]
	s_cbranch_vccnz .LBB6_133
; %bb.132:
	global_load_b32 v0, v[0:1], off offset:24
	v_mov_b32_e32 v1, 0
	s_wait_loadcnt 0x0
	v_and_b32_e32 v7, 0xffffff, v0
	global_wb scope:SCOPE_SYS
	s_wait_storecnt 0x0
	global_store_b64 v[2:3], v[0:1], off scope:SCOPE_SYS
	v_readfirstlane_b32 m0, v7
	s_sendmsg sendmsg(MSG_INTERRUPT)
.LBB6_133:
	s_wait_alu 0xfffe
	s_or_b32 exec_lo, exec_lo, s5
	s_branch .LBB6_137
.LBB6_134:                              ;   in Loop: Header=BB6_137 Depth=1
	s_wait_alu 0xfffe
	s_or_b32 exec_lo, exec_lo, s5
	s_delay_alu instid0(VALU_DEP_1) | instskip(NEXT) | instid1(VALU_DEP_1)
	v_readfirstlane_b32 s5, v0
	s_cmp_eq_u32 s5, 0
	s_cbranch_scc1 .LBB6_136
; %bb.135:                              ;   in Loop: Header=BB6_137 Depth=1
	s_sleep 1
	s_cbranch_execnz .LBB6_137
	s_branch .LBB6_139
.LBB6_136:
	s_branch .LBB6_139
.LBB6_137:                              ; =>This Inner Loop Header: Depth=1
	v_mov_b32_e32 v0, 1
	s_and_saveexec_b32 s5, s0
	s_cbranch_execz .LBB6_134
; %bb.138:                              ;   in Loop: Header=BB6_137 Depth=1
	global_load_b32 v0, v[11:12], off offset:20 scope:SCOPE_SYS
	s_wait_loadcnt 0x0
	global_inv scope:SCOPE_SYS
	v_and_b32_e32 v0, 1, v0
	s_branch .LBB6_134
.LBB6_139:
	global_load_b64 v[0:1], v[13:14], off
	s_and_saveexec_b32 s5, s0
	s_cbranch_execz .LBB6_143
; %bb.140:
	v_mov_b32_e32 v11, 0
	s_clause 0x2
	global_load_b64 v[2:3], v11, s[2:3] offset:40
	global_load_b64 v[12:13], v11, s[2:3] offset:24 scope:SCOPE_SYS
	global_load_b64 v[9:10], v11, s[2:3]
	s_wait_loadcnt 0x2
	v_add_co_u32 v14, vcc_lo, v2, 1
	s_wait_alu 0xfffd
	v_add_co_ci_u32_e32 v15, vcc_lo, 0, v3, vcc_lo
	s_delay_alu instid0(VALU_DEP_2) | instskip(SKIP_1) | instid1(VALU_DEP_2)
	v_add_co_u32 v7, vcc_lo, v14, s4
	s_wait_alu 0xfffd
	v_add_co_ci_u32_e32 v8, vcc_lo, s1, v15, vcc_lo
	s_delay_alu instid0(VALU_DEP_1) | instskip(SKIP_2) | instid1(VALU_DEP_1)
	v_cmp_eq_u64_e32 vcc_lo, 0, v[7:8]
	s_wait_alu 0xfffd
	v_dual_cndmask_b32 v8, v8, v15 :: v_dual_cndmask_b32 v7, v7, v14
	v_and_b32_e32 v3, v8, v3
	s_delay_alu instid0(VALU_DEP_2) | instskip(NEXT) | instid1(VALU_DEP_2)
	v_and_b32_e32 v2, v7, v2
	v_mul_lo_u32 v3, 24, v3
	s_delay_alu instid0(VALU_DEP_2) | instskip(SKIP_2) | instid1(VALU_DEP_3)
	v_mul_lo_u32 v14, 0, v2
	v_mul_hi_u32 v15, 24, v2
	v_mul_lo_u32 v2, 24, v2
	v_add_nc_u32_e32 v3, v3, v14
	s_wait_loadcnt 0x0
	s_delay_alu instid0(VALU_DEP_2) | instskip(SKIP_1) | instid1(VALU_DEP_3)
	v_add_co_u32 v2, vcc_lo, v9, v2
	v_mov_b32_e32 v9, v12
	v_add_nc_u32_e32 v3, v3, v15
	s_wait_alu 0xfffd
	s_delay_alu instid0(VALU_DEP_1)
	v_add_co_ci_u32_e32 v3, vcc_lo, v10, v3, vcc_lo
	v_mov_b32_e32 v10, v13
	global_store_b64 v[2:3], v[12:13], off
	global_wb scope:SCOPE_SYS
	s_wait_storecnt 0x0
	global_atomic_cmpswap_b64 v[9:10], v11, v[7:10], s[2:3] offset:24 th:TH_ATOMIC_RETURN scope:SCOPE_SYS
	s_wait_loadcnt 0x0
	v_cmp_ne_u64_e32 vcc_lo, v[9:10], v[12:13]
	s_and_b32 exec_lo, exec_lo, vcc_lo
	s_cbranch_execz .LBB6_143
; %bb.141:
	s_mov_b32 s0, 0
.LBB6_142:                              ; =>This Inner Loop Header: Depth=1
	s_sleep 1
	global_store_b64 v[2:3], v[9:10], off
	global_wb scope:SCOPE_SYS
	s_wait_storecnt 0x0
	global_atomic_cmpswap_b64 v[12:13], v11, v[7:10], s[2:3] offset:24 th:TH_ATOMIC_RETURN scope:SCOPE_SYS
	s_wait_loadcnt 0x0
	v_cmp_eq_u64_e32 vcc_lo, v[12:13], v[9:10]
	v_dual_mov_b32 v9, v12 :: v_dual_mov_b32 v10, v13
	s_wait_alu 0xfffe
	s_or_b32 s0, vcc_lo, s0
	s_wait_alu 0xfffe
	s_and_not1_b32 exec_lo, exec_lo, s0
	s_cbranch_execnz .LBB6_142
.LBB6_143:
	s_wait_alu 0xfffe
	s_or_b32 exec_lo, exec_lo, s5
.LBB6_144:
	s_getpc_b64 s[4:5]
	s_wait_alu 0xfffe
	s_sext_i32_i16 s5, s5
	s_add_co_u32 s4, s4, __PRETTY_FUNCTION__._ZL19array_greater_equalRN8migraphx4test12test_managerE@rel32@lo+12
	s_wait_alu 0xfffe
	s_add_co_ci_u32 s5, s5, __PRETTY_FUNCTION__._ZL19array_greater_equalRN8migraphx4test12test_managerE@rel32@hi+24
	s_wait_alu 0xfffe
	s_cmp_lg_u64 s[4:5], 0
	s_cbranch_scc0 .LBB6_223
; %bb.145:
	s_wait_loadcnt 0x0
	v_dual_mov_b32 v12, v1 :: v_dual_and_b32 v11, -3, v0
	v_dual_mov_b32 v8, 0 :: v_dual_mov_b32 v9, 2
	v_mov_b32_e32 v10, 1
	s_mov_b64 s[6:7], 57
	s_branch .LBB6_147
.LBB6_146:                              ;   in Loop: Header=BB6_147 Depth=1
	s_wait_alu 0xfffe
	s_or_b32 exec_lo, exec_lo, s17
	s_sub_nc_u64 s[6:7], s[6:7], s[10:11]
	s_add_nc_u64 s[4:5], s[4:5], s[10:11]
	s_wait_alu 0xfffe
	s_cmp_lg_u64 s[6:7], 0
	s_cbranch_scc0 .LBB6_222
.LBB6_147:                              ; =>This Loop Header: Depth=1
                                        ;     Child Loop BB6_156 Depth 2
                                        ;     Child Loop BB6_152 Depth 2
	;; [unrolled: 1-line block ×11, first 2 shown]
	s_wait_alu 0xfffe
	v_cmp_lt_u64_e64 s0, s[6:7], 56
	v_cmp_gt_u64_e64 s1, s[6:7], 7
                                        ; implicit-def: $sgpr20
	s_delay_alu instid0(VALU_DEP_2) | instskip(SKIP_2) | instid1(VALU_DEP_1)
	s_and_b32 s0, s0, exec_lo
	s_cselect_b32 s11, s7, 0
	s_cselect_b32 s10, s6, 56
	s_and_b32 vcc_lo, exec_lo, s1
	s_mov_b32 s0, -1
	s_wait_alu 0xfffe
	s_cbranch_vccz .LBB6_154
; %bb.148:                              ;   in Loop: Header=BB6_147 Depth=1
	s_and_not1_b32 vcc_lo, exec_lo, s0
	s_mov_b64 s[0:1], s[4:5]
	s_wait_alu 0xfffe
	s_cbranch_vccz .LBB6_158
.LBB6_149:                              ;   in Loop: Header=BB6_147 Depth=1
	s_wait_alu 0xfffe
	s_cmp_gt_u32 s20, 7
	s_cbranch_scc1 .LBB6_159
.LBB6_150:                              ;   in Loop: Header=BB6_147 Depth=1
	v_mov_b32_e32 v15, 0
	v_mov_b32_e32 v16, 0
	s_cmp_eq_u32 s20, 0
	s_cbranch_scc1 .LBB6_153
; %bb.151:                              ;   in Loop: Header=BB6_147 Depth=1
	s_mov_b64 s[16:17], 0
	s_mov_b64 s[18:19], 0
.LBB6_152:                              ;   Parent Loop BB6_147 Depth=1
                                        ; =>  This Inner Loop Header: Depth=2
	s_wait_alu 0xfffe
	s_add_nc_u64 s[22:23], s[0:1], s[18:19]
	s_add_nc_u64 s[18:19], s[18:19], 1
	global_load_u8 v2, v8, s[22:23]
	s_wait_alu 0xfffe
	s_cmp_lg_u32 s20, s18
	s_wait_loadcnt 0x0
	v_and_b32_e32 v7, 0xffff, v2
	s_delay_alu instid0(VALU_DEP_1) | instskip(SKIP_1) | instid1(VALU_DEP_1)
	v_lshlrev_b64_e32 v[2:3], s16, v[7:8]
	s_add_nc_u64 s[16:17], s[16:17], 8
	v_or_b32_e32 v15, v2, v15
	s_delay_alu instid0(VALU_DEP_2)
	v_or_b32_e32 v16, v3, v16
	s_cbranch_scc1 .LBB6_152
.LBB6_153:                              ;   in Loop: Header=BB6_147 Depth=1
	s_mov_b32 s21, 0
	s_cbranch_execz .LBB6_160
	s_branch .LBB6_161
.LBB6_154:                              ;   in Loop: Header=BB6_147 Depth=1
	s_wait_loadcnt 0x0
	v_mov_b32_e32 v13, 0
	v_mov_b32_e32 v14, 0
	s_cmp_eq_u64 s[6:7], 0
	s_mov_b64 s[0:1], 0
	s_cbranch_scc1 .LBB6_157
; %bb.155:                              ;   in Loop: Header=BB6_147 Depth=1
	v_mov_b32_e32 v13, 0
	v_mov_b32_e32 v14, 0
	s_mov_b64 s[16:17], 0
.LBB6_156:                              ;   Parent Loop BB6_147 Depth=1
                                        ; =>  This Inner Loop Header: Depth=2
	s_wait_alu 0xfffe
	s_add_nc_u64 s[18:19], s[4:5], s[16:17]
	s_add_nc_u64 s[16:17], s[16:17], 1
	global_load_u8 v2, v8, s[18:19]
	s_wait_alu 0xfffe
	s_cmp_lg_u32 s10, s16
	s_wait_loadcnt 0x0
	v_and_b32_e32 v7, 0xffff, v2
	s_delay_alu instid0(VALU_DEP_1) | instskip(SKIP_1) | instid1(VALU_DEP_1)
	v_lshlrev_b64_e32 v[2:3], s0, v[7:8]
	s_add_nc_u64 s[0:1], s[0:1], 8
	v_or_b32_e32 v13, v2, v13
	s_delay_alu instid0(VALU_DEP_2)
	v_or_b32_e32 v14, v3, v14
	s_cbranch_scc1 .LBB6_156
.LBB6_157:                              ;   in Loop: Header=BB6_147 Depth=1
	s_mov_b32 s20, 0
	s_mov_b64 s[0:1], s[4:5]
	s_cbranch_execnz .LBB6_149
.LBB6_158:                              ;   in Loop: Header=BB6_147 Depth=1
	global_load_b64 v[13:14], v8, s[4:5]
	s_add_co_i32 s20, s10, -8
	s_add_nc_u64 s[0:1], s[4:5], 8
	s_wait_alu 0xfffe
	s_cmp_gt_u32 s20, 7
	s_cbranch_scc0 .LBB6_150
.LBB6_159:                              ;   in Loop: Header=BB6_147 Depth=1
                                        ; implicit-def: $vgpr15_vgpr16
                                        ; implicit-def: $sgpr21
.LBB6_160:                              ;   in Loop: Header=BB6_147 Depth=1
	global_load_b64 v[15:16], v8, s[0:1]
	s_add_co_i32 s21, s20, -8
	s_add_nc_u64 s[0:1], s[0:1], 8
.LBB6_161:                              ;   in Loop: Header=BB6_147 Depth=1
	s_wait_alu 0xfffe
	s_cmp_gt_u32 s21, 7
	s_cbranch_scc1 .LBB6_166
; %bb.162:                              ;   in Loop: Header=BB6_147 Depth=1
	v_mov_b32_e32 v17, 0
	v_mov_b32_e32 v18, 0
	s_cmp_eq_u32 s21, 0
	s_cbranch_scc1 .LBB6_165
; %bb.163:                              ;   in Loop: Header=BB6_147 Depth=1
	s_mov_b64 s[16:17], 0
	s_mov_b64 s[18:19], 0
.LBB6_164:                              ;   Parent Loop BB6_147 Depth=1
                                        ; =>  This Inner Loop Header: Depth=2
	s_wait_alu 0xfffe
	s_add_nc_u64 s[22:23], s[0:1], s[18:19]
	s_add_nc_u64 s[18:19], s[18:19], 1
	global_load_u8 v2, v8, s[22:23]
	s_wait_alu 0xfffe
	s_cmp_lg_u32 s21, s18
	s_wait_loadcnt 0x0
	v_and_b32_e32 v7, 0xffff, v2
	s_delay_alu instid0(VALU_DEP_1) | instskip(SKIP_1) | instid1(VALU_DEP_1)
	v_lshlrev_b64_e32 v[2:3], s16, v[7:8]
	s_add_nc_u64 s[16:17], s[16:17], 8
	v_or_b32_e32 v17, v2, v17
	s_delay_alu instid0(VALU_DEP_2)
	v_or_b32_e32 v18, v3, v18
	s_cbranch_scc1 .LBB6_164
.LBB6_165:                              ;   in Loop: Header=BB6_147 Depth=1
	s_mov_b32 s20, 0
	s_cbranch_execz .LBB6_167
	s_branch .LBB6_168
.LBB6_166:                              ;   in Loop: Header=BB6_147 Depth=1
                                        ; implicit-def: $sgpr20
.LBB6_167:                              ;   in Loop: Header=BB6_147 Depth=1
	global_load_b64 v[17:18], v8, s[0:1]
	s_add_co_i32 s20, s21, -8
	s_add_nc_u64 s[0:1], s[0:1], 8
.LBB6_168:                              ;   in Loop: Header=BB6_147 Depth=1
	s_wait_alu 0xfffe
	s_cmp_gt_u32 s20, 7
	s_cbranch_scc1 .LBB6_173
; %bb.169:                              ;   in Loop: Header=BB6_147 Depth=1
	v_mov_b32_e32 v19, 0
	v_mov_b32_e32 v20, 0
	s_cmp_eq_u32 s20, 0
	s_cbranch_scc1 .LBB6_172
; %bb.170:                              ;   in Loop: Header=BB6_147 Depth=1
	s_mov_b64 s[16:17], 0
	s_mov_b64 s[18:19], 0
.LBB6_171:                              ;   Parent Loop BB6_147 Depth=1
                                        ; =>  This Inner Loop Header: Depth=2
	s_wait_alu 0xfffe
	s_add_nc_u64 s[22:23], s[0:1], s[18:19]
	s_add_nc_u64 s[18:19], s[18:19], 1
	global_load_u8 v2, v8, s[22:23]
	s_wait_alu 0xfffe
	s_cmp_lg_u32 s20, s18
	s_wait_loadcnt 0x0
	v_and_b32_e32 v7, 0xffff, v2
	s_delay_alu instid0(VALU_DEP_1) | instskip(SKIP_1) | instid1(VALU_DEP_1)
	v_lshlrev_b64_e32 v[2:3], s16, v[7:8]
	s_add_nc_u64 s[16:17], s[16:17], 8
	v_or_b32_e32 v19, v2, v19
	s_delay_alu instid0(VALU_DEP_2)
	v_or_b32_e32 v20, v3, v20
	s_cbranch_scc1 .LBB6_171
.LBB6_172:                              ;   in Loop: Header=BB6_147 Depth=1
	s_mov_b32 s21, 0
	s_cbranch_execz .LBB6_174
	s_branch .LBB6_175
.LBB6_173:                              ;   in Loop: Header=BB6_147 Depth=1
                                        ; implicit-def: $vgpr19_vgpr20
                                        ; implicit-def: $sgpr21
.LBB6_174:                              ;   in Loop: Header=BB6_147 Depth=1
	global_load_b64 v[19:20], v8, s[0:1]
	s_add_co_i32 s21, s20, -8
	s_add_nc_u64 s[0:1], s[0:1], 8
.LBB6_175:                              ;   in Loop: Header=BB6_147 Depth=1
	s_wait_alu 0xfffe
	s_cmp_gt_u32 s21, 7
	s_cbranch_scc1 .LBB6_180
; %bb.176:                              ;   in Loop: Header=BB6_147 Depth=1
	v_mov_b32_e32 v21, 0
	v_mov_b32_e32 v22, 0
	s_cmp_eq_u32 s21, 0
	s_cbranch_scc1 .LBB6_179
; %bb.177:                              ;   in Loop: Header=BB6_147 Depth=1
	s_mov_b64 s[16:17], 0
	s_mov_b64 s[18:19], 0
.LBB6_178:                              ;   Parent Loop BB6_147 Depth=1
                                        ; =>  This Inner Loop Header: Depth=2
	s_wait_alu 0xfffe
	s_add_nc_u64 s[22:23], s[0:1], s[18:19]
	s_add_nc_u64 s[18:19], s[18:19], 1
	global_load_u8 v2, v8, s[22:23]
	s_wait_alu 0xfffe
	s_cmp_lg_u32 s21, s18
	s_wait_loadcnt 0x0
	v_and_b32_e32 v7, 0xffff, v2
	s_delay_alu instid0(VALU_DEP_1) | instskip(SKIP_1) | instid1(VALU_DEP_1)
	v_lshlrev_b64_e32 v[2:3], s16, v[7:8]
	s_add_nc_u64 s[16:17], s[16:17], 8
	v_or_b32_e32 v21, v2, v21
	s_delay_alu instid0(VALU_DEP_2)
	v_or_b32_e32 v22, v3, v22
	s_cbranch_scc1 .LBB6_178
.LBB6_179:                              ;   in Loop: Header=BB6_147 Depth=1
	s_mov_b32 s20, 0
	s_cbranch_execz .LBB6_181
	s_branch .LBB6_182
.LBB6_180:                              ;   in Loop: Header=BB6_147 Depth=1
                                        ; implicit-def: $sgpr20
.LBB6_181:                              ;   in Loop: Header=BB6_147 Depth=1
	global_load_b64 v[21:22], v8, s[0:1]
	s_add_co_i32 s20, s21, -8
	s_add_nc_u64 s[0:1], s[0:1], 8
.LBB6_182:                              ;   in Loop: Header=BB6_147 Depth=1
	s_wait_alu 0xfffe
	s_cmp_gt_u32 s20, 7
	s_cbranch_scc1 .LBB6_187
; %bb.183:                              ;   in Loop: Header=BB6_147 Depth=1
	v_mov_b32_e32 v23, 0
	v_mov_b32_e32 v24, 0
	s_cmp_eq_u32 s20, 0
	s_cbranch_scc1 .LBB6_186
; %bb.184:                              ;   in Loop: Header=BB6_147 Depth=1
	s_mov_b64 s[16:17], 0
	s_mov_b64 s[18:19], 0
.LBB6_185:                              ;   Parent Loop BB6_147 Depth=1
                                        ; =>  This Inner Loop Header: Depth=2
	s_wait_alu 0xfffe
	s_add_nc_u64 s[22:23], s[0:1], s[18:19]
	s_add_nc_u64 s[18:19], s[18:19], 1
	global_load_u8 v2, v8, s[22:23]
	s_wait_alu 0xfffe
	s_cmp_lg_u32 s20, s18
	s_wait_loadcnt 0x0
	v_and_b32_e32 v7, 0xffff, v2
	s_delay_alu instid0(VALU_DEP_1) | instskip(SKIP_1) | instid1(VALU_DEP_1)
	v_lshlrev_b64_e32 v[2:3], s16, v[7:8]
	s_add_nc_u64 s[16:17], s[16:17], 8
	v_or_b32_e32 v23, v2, v23
	s_delay_alu instid0(VALU_DEP_2)
	v_or_b32_e32 v24, v3, v24
	s_cbranch_scc1 .LBB6_185
.LBB6_186:                              ;   in Loop: Header=BB6_147 Depth=1
	s_mov_b32 s21, 0
	s_cbranch_execz .LBB6_188
	s_branch .LBB6_189
.LBB6_187:                              ;   in Loop: Header=BB6_147 Depth=1
                                        ; implicit-def: $vgpr23_vgpr24
                                        ; implicit-def: $sgpr21
.LBB6_188:                              ;   in Loop: Header=BB6_147 Depth=1
	global_load_b64 v[23:24], v8, s[0:1]
	s_add_co_i32 s21, s20, -8
	s_add_nc_u64 s[0:1], s[0:1], 8
.LBB6_189:                              ;   in Loop: Header=BB6_147 Depth=1
	s_wait_alu 0xfffe
	s_cmp_gt_u32 s21, 7
	s_cbranch_scc1 .LBB6_194
; %bb.190:                              ;   in Loop: Header=BB6_147 Depth=1
	v_mov_b32_e32 v25, 0
	v_mov_b32_e32 v26, 0
	s_cmp_eq_u32 s21, 0
	s_cbranch_scc1 .LBB6_193
; %bb.191:                              ;   in Loop: Header=BB6_147 Depth=1
	s_mov_b64 s[16:17], 0
	s_mov_b64 s[18:19], s[0:1]
.LBB6_192:                              ;   Parent Loop BB6_147 Depth=1
                                        ; =>  This Inner Loop Header: Depth=2
	global_load_u8 v2, v8, s[18:19]
	s_add_co_i32 s21, s21, -1
	s_wait_alu 0xfffe
	s_add_nc_u64 s[18:19], s[18:19], 1
	s_cmp_lg_u32 s21, 0
	s_wait_loadcnt 0x0
	v_and_b32_e32 v7, 0xffff, v2
	s_delay_alu instid0(VALU_DEP_1) | instskip(SKIP_1) | instid1(VALU_DEP_1)
	v_lshlrev_b64_e32 v[2:3], s16, v[7:8]
	s_add_nc_u64 s[16:17], s[16:17], 8
	v_or_b32_e32 v25, v2, v25
	s_delay_alu instid0(VALU_DEP_2)
	v_or_b32_e32 v26, v3, v26
	s_cbranch_scc1 .LBB6_192
.LBB6_193:                              ;   in Loop: Header=BB6_147 Depth=1
	s_cbranch_execz .LBB6_195
	s_branch .LBB6_196
.LBB6_194:                              ;   in Loop: Header=BB6_147 Depth=1
.LBB6_195:                              ;   in Loop: Header=BB6_147 Depth=1
	global_load_b64 v[25:26], v8, s[0:1]
.LBB6_196:                              ;   in Loop: Header=BB6_147 Depth=1
	v_readfirstlane_b32 s0, v35
	v_mov_b32_e32 v2, 0
	v_mov_b32_e32 v3, 0
	s_wait_alu 0xf1ff
	s_delay_alu instid0(VALU_DEP_3) | instskip(NEXT) | instid1(VALU_DEP_1)
	v_cmp_eq_u32_e64 s0, s0, v35
	s_and_saveexec_b32 s1, s0
	s_cbranch_execz .LBB6_202
; %bb.197:                              ;   in Loop: Header=BB6_147 Depth=1
	global_load_b64 v[29:30], v8, s[2:3] offset:24 scope:SCOPE_SYS
	s_wait_loadcnt 0x0
	global_inv scope:SCOPE_SYS
	s_clause 0x1
	global_load_b64 v[2:3], v8, s[2:3] offset:40
	global_load_b64 v[27:28], v8, s[2:3]
	s_mov_b32 s16, exec_lo
	s_wait_loadcnt 0x1
	v_and_b32_e32 v3, v3, v30
	v_and_b32_e32 v2, v2, v29
	s_delay_alu instid0(VALU_DEP_2) | instskip(NEXT) | instid1(VALU_DEP_2)
	v_mul_lo_u32 v3, 24, v3
	v_mul_lo_u32 v7, 0, v2
	v_mul_hi_u32 v31, 24, v2
	v_mul_lo_u32 v2, 24, v2
	s_delay_alu instid0(VALU_DEP_3) | instskip(SKIP_1) | instid1(VALU_DEP_2)
	v_add_nc_u32_e32 v3, v3, v7
	s_wait_loadcnt 0x0
	v_add_co_u32 v2, vcc_lo, v27, v2
	s_delay_alu instid0(VALU_DEP_2) | instskip(SKIP_1) | instid1(VALU_DEP_1)
	v_add_nc_u32_e32 v3, v3, v31
	s_wait_alu 0xfffd
	v_add_co_ci_u32_e32 v3, vcc_lo, v28, v3, vcc_lo
	global_load_b64 v[27:28], v[2:3], off scope:SCOPE_SYS
	s_wait_loadcnt 0x0
	global_atomic_cmpswap_b64 v[2:3], v8, v[27:30], s[2:3] offset:24 th:TH_ATOMIC_RETURN scope:SCOPE_SYS
	s_wait_loadcnt 0x0
	global_inv scope:SCOPE_SYS
	v_cmpx_ne_u64_e64 v[2:3], v[29:30]
	s_cbranch_execz .LBB6_201
; %bb.198:                              ;   in Loop: Header=BB6_147 Depth=1
	s_mov_b32 s17, 0
.LBB6_199:                              ;   Parent Loop BB6_147 Depth=1
                                        ; =>  This Inner Loop Header: Depth=2
	s_sleep 1
	s_clause 0x1
	global_load_b64 v[27:28], v8, s[2:3] offset:40
	global_load_b64 v[31:32], v8, s[2:3]
	v_dual_mov_b32 v30, v3 :: v_dual_mov_b32 v29, v2
	s_wait_loadcnt 0x1
	s_delay_alu instid0(VALU_DEP_1) | instskip(NEXT) | instid1(VALU_DEP_2)
	v_and_b32_e32 v2, v27, v29
	v_and_b32_e32 v7, v28, v30
	s_wait_loadcnt 0x0
	s_delay_alu instid0(VALU_DEP_2) | instskip(NEXT) | instid1(VALU_DEP_1)
	v_mad_co_u64_u32 v[2:3], null, v2, 24, v[31:32]
	v_mad_co_u64_u32 v[27:28], null, v7, 24, v[3:4]
	s_delay_alu instid0(VALU_DEP_1)
	v_mov_b32_e32 v3, v27
	global_load_b64 v[27:28], v[2:3], off scope:SCOPE_SYS
	s_wait_loadcnt 0x0
	global_atomic_cmpswap_b64 v[2:3], v8, v[27:30], s[2:3] offset:24 th:TH_ATOMIC_RETURN scope:SCOPE_SYS
	s_wait_loadcnt 0x0
	global_inv scope:SCOPE_SYS
	v_cmp_eq_u64_e32 vcc_lo, v[2:3], v[29:30]
	s_wait_alu 0xfffe
	s_or_b32 s17, vcc_lo, s17
	s_wait_alu 0xfffe
	s_and_not1_b32 exec_lo, exec_lo, s17
	s_cbranch_execnz .LBB6_199
; %bb.200:                              ;   in Loop: Header=BB6_147 Depth=1
	s_or_b32 exec_lo, exec_lo, s17
.LBB6_201:                              ;   in Loop: Header=BB6_147 Depth=1
	s_wait_alu 0xfffe
	s_or_b32 exec_lo, exec_lo, s16
.LBB6_202:                              ;   in Loop: Header=BB6_147 Depth=1
	s_wait_alu 0xfffe
	s_or_b32 exec_lo, exec_lo, s1
	s_clause 0x1
	global_load_b64 v[31:32], v8, s[2:3] offset:40
	global_load_b128 v[27:30], v8, s[2:3]
	v_readfirstlane_b32 s1, v3
	v_readfirstlane_b32 s16, v2
	s_mov_b32 s17, exec_lo
	s_wait_loadcnt 0x1
	s_wait_alu 0xf1ff
	v_and_b32_e32 v32, s1, v32
	v_and_b32_e32 v31, s16, v31
	s_delay_alu instid0(VALU_DEP_2) | instskip(NEXT) | instid1(VALU_DEP_2)
	v_mul_lo_u32 v2, 24, v32
	v_mul_lo_u32 v3, 0, v31
	v_mul_hi_u32 v7, 24, v31
	v_mul_lo_u32 v33, 24, v31
	s_delay_alu instid0(VALU_DEP_3) | instskip(NEXT) | instid1(VALU_DEP_1)
	v_add_nc_u32_e32 v2, v2, v3
	v_add_nc_u32_e32 v3, v2, v7
	s_wait_loadcnt 0x0
	s_delay_alu instid0(VALU_DEP_3) | instskip(SKIP_1) | instid1(VALU_DEP_2)
	v_add_co_u32 v2, vcc_lo, v27, v33
	s_wait_alu 0xfffd
	v_add_co_ci_u32_e32 v3, vcc_lo, v28, v3, vcc_lo
	s_and_saveexec_b32 s18, s0
	s_cbranch_execz .LBB6_204
; %bb.203:                              ;   in Loop: Header=BB6_147 Depth=1
	s_wait_alu 0xfffe
	v_mov_b32_e32 v7, s17
	global_store_b128 v[2:3], v[7:10], off offset:8
.LBB6_204:                              ;   in Loop: Header=BB6_147 Depth=1
	s_wait_alu 0xfffe
	s_or_b32 exec_lo, exec_lo, s18
	v_lshlrev_b64_e32 v[31:32], 12, v[31:32]
	v_cmp_gt_u64_e64 vcc_lo, s[6:7], 56
	v_or_b32_e32 v7, 2, v11
	s_lshl_b32 s17, s10, 2
	s_wait_alu 0xfffe
	s_add_co_i32 s17, s17, 28
	s_wait_alu 0xfffd
	v_cndmask_b32_e32 v7, v7, v11, vcc_lo
	v_add_co_u32 v29, vcc_lo, v29, v31
	s_wait_alu 0xfffd
	v_add_co_ci_u32_e32 v30, vcc_lo, v30, v32, vcc_lo
	s_wait_alu 0xfffe
	s_and_b32 s17, s17, 0x1e0
	v_readfirstlane_b32 s18, v29
	s_wait_alu 0xfffe
	v_and_or_b32 v11, 0xffffff1f, v7, s17
	v_readfirstlane_b32 s19, v30
	s_clause 0x3
	global_store_b128 v34, v[11:14], s[18:19]
	global_store_b128 v34, v[15:18], s[18:19] offset:16
	global_store_b128 v34, v[19:22], s[18:19] offset:32
	;; [unrolled: 1-line block ×3, first 2 shown]
	s_and_saveexec_b32 s17, s0
	s_cbranch_execz .LBB6_212
; %bb.205:                              ;   in Loop: Header=BB6_147 Depth=1
	s_clause 0x1
	global_load_b64 v[19:20], v8, s[2:3] offset:32 scope:SCOPE_SYS
	global_load_b64 v[11:12], v8, s[2:3] offset:40
	v_mov_b32_e32 v17, s16
	s_mov_b32 s18, exec_lo
	s_wait_loadcnt 0x0
	v_dual_mov_b32 v18, s1 :: v_dual_and_b32 v7, s1, v12
	v_and_b32_e32 v11, s16, v11
	s_delay_alu instid0(VALU_DEP_2) | instskip(NEXT) | instid1(VALU_DEP_2)
	v_mul_lo_u32 v7, 24, v7
	v_mul_lo_u32 v12, 0, v11
	v_mul_hi_u32 v13, 24, v11
	v_mul_lo_u32 v11, 24, v11
	s_delay_alu instid0(VALU_DEP_3) | instskip(NEXT) | instid1(VALU_DEP_2)
	v_add_nc_u32_e32 v7, v7, v12
	v_add_co_u32 v15, vcc_lo, v27, v11
	s_delay_alu instid0(VALU_DEP_2) | instskip(SKIP_1) | instid1(VALU_DEP_1)
	v_add_nc_u32_e32 v7, v7, v13
	s_wait_alu 0xfffd
	v_add_co_ci_u32_e32 v16, vcc_lo, v28, v7, vcc_lo
	global_store_b64 v[15:16], v[19:20], off
	global_wb scope:SCOPE_SYS
	s_wait_storecnt 0x0
	global_atomic_cmpswap_b64 v[13:14], v8, v[17:20], s[2:3] offset:32 th:TH_ATOMIC_RETURN scope:SCOPE_SYS
	s_wait_loadcnt 0x0
	v_cmpx_ne_u64_e64 v[13:14], v[19:20]
	s_cbranch_execz .LBB6_208
; %bb.206:                              ;   in Loop: Header=BB6_147 Depth=1
	s_mov_b32 s19, 0
.LBB6_207:                              ;   Parent Loop BB6_147 Depth=1
                                        ; =>  This Inner Loop Header: Depth=2
	v_dual_mov_b32 v11, s16 :: v_dual_mov_b32 v12, s1
	s_sleep 1
	global_store_b64 v[15:16], v[13:14], off
	global_wb scope:SCOPE_SYS
	s_wait_storecnt 0x0
	global_atomic_cmpswap_b64 v[11:12], v8, v[11:14], s[2:3] offset:32 th:TH_ATOMIC_RETURN scope:SCOPE_SYS
	s_wait_loadcnt 0x0
	v_cmp_eq_u64_e32 vcc_lo, v[11:12], v[13:14]
	v_dual_mov_b32 v14, v12 :: v_dual_mov_b32 v13, v11
	s_wait_alu 0xfffe
	s_or_b32 s19, vcc_lo, s19
	s_wait_alu 0xfffe
	s_and_not1_b32 exec_lo, exec_lo, s19
	s_cbranch_execnz .LBB6_207
.LBB6_208:                              ;   in Loop: Header=BB6_147 Depth=1
	s_wait_alu 0xfffe
	s_or_b32 exec_lo, exec_lo, s18
	global_load_b64 v[11:12], v8, s[2:3] offset:16
	s_mov_b32 s19, exec_lo
	s_mov_b32 s18, exec_lo
	s_wait_alu 0xfffe
	v_mbcnt_lo_u32_b32 v7, s19, 0
	s_delay_alu instid0(VALU_DEP_1)
	v_cmpx_eq_u32_e32 0, v7
	s_cbranch_execz .LBB6_210
; %bb.209:                              ;   in Loop: Header=BB6_147 Depth=1
	s_bcnt1_i32_b32 s19, s19
	s_wait_alu 0xfffe
	v_mov_b32_e32 v7, s19
	global_wb scope:SCOPE_SYS
	s_wait_loadcnt 0x0
	global_atomic_add_u64 v[11:12], v[7:8], off offset:8 scope:SCOPE_SYS
.LBB6_210:                              ;   in Loop: Header=BB6_147 Depth=1
	s_or_b32 exec_lo, exec_lo, s18
	s_wait_loadcnt 0x0
	global_load_b64 v[13:14], v[11:12], off offset:16
	s_wait_loadcnt 0x0
	v_cmp_eq_u64_e32 vcc_lo, 0, v[13:14]
	s_cbranch_vccnz .LBB6_212
; %bb.211:                              ;   in Loop: Header=BB6_147 Depth=1
	global_load_b32 v7, v[11:12], off offset:24
	s_wait_loadcnt 0x0
	v_and_b32_e32 v11, 0xffffff, v7
	global_wb scope:SCOPE_SYS
	s_wait_storecnt 0x0
	global_store_b64 v[13:14], v[7:8], off scope:SCOPE_SYS
	v_readfirstlane_b32 m0, v11
	s_sendmsg sendmsg(MSG_INTERRUPT)
.LBB6_212:                              ;   in Loop: Header=BB6_147 Depth=1
	s_wait_alu 0xfffe
	s_or_b32 exec_lo, exec_lo, s17
	v_add_co_u32 v11, vcc_lo, v29, v34
	s_wait_alu 0xfffd
	v_add_co_ci_u32_e32 v12, vcc_lo, 0, v30, vcc_lo
	s_branch .LBB6_216
.LBB6_213:                              ;   in Loop: Header=BB6_216 Depth=2
	s_wait_alu 0xfffe
	s_or_b32 exec_lo, exec_lo, s17
	s_delay_alu instid0(VALU_DEP_1) | instskip(NEXT) | instid1(VALU_DEP_1)
	v_readfirstlane_b32 s17, v7
	s_cmp_eq_u32 s17, 0
	s_cbranch_scc1 .LBB6_215
; %bb.214:                              ;   in Loop: Header=BB6_216 Depth=2
	s_sleep 1
	s_cbranch_execnz .LBB6_216
	s_branch .LBB6_218
.LBB6_215:                              ;   in Loop: Header=BB6_147 Depth=1
	s_branch .LBB6_218
.LBB6_216:                              ;   Parent Loop BB6_147 Depth=1
                                        ; =>  This Inner Loop Header: Depth=2
	v_mov_b32_e32 v7, 1
	s_and_saveexec_b32 s17, s0
	s_cbranch_execz .LBB6_213
; %bb.217:                              ;   in Loop: Header=BB6_216 Depth=2
	global_load_b32 v7, v[2:3], off offset:20 scope:SCOPE_SYS
	s_wait_loadcnt 0x0
	global_inv scope:SCOPE_SYS
	v_and_b32_e32 v7, 1, v7
	s_branch .LBB6_213
.LBB6_218:                              ;   in Loop: Header=BB6_147 Depth=1
	global_load_b128 v[11:14], v[11:12], off
	s_and_saveexec_b32 s17, s0
	s_cbranch_execz .LBB6_146
; %bb.219:                              ;   in Loop: Header=BB6_147 Depth=1
	s_clause 0x2
	global_load_b64 v[2:3], v8, s[2:3] offset:40
	global_load_b64 v[17:18], v8, s[2:3] offset:24 scope:SCOPE_SYS
	global_load_b64 v[15:16], v8, s[2:3]
	s_wait_loadcnt 0x2
	v_add_co_u32 v7, vcc_lo, v2, 1
	s_wait_alu 0xfffd
	v_add_co_ci_u32_e32 v19, vcc_lo, 0, v3, vcc_lo
	s_delay_alu instid0(VALU_DEP_2) | instskip(SKIP_1) | instid1(VALU_DEP_2)
	v_add_co_u32 v13, vcc_lo, v7, s16
	s_wait_alu 0xfffd
	v_add_co_ci_u32_e32 v14, vcc_lo, s1, v19, vcc_lo
	s_delay_alu instid0(VALU_DEP_1) | instskip(SKIP_3) | instid1(VALU_DEP_2)
	v_cmp_eq_u64_e32 vcc_lo, 0, v[13:14]
	s_wait_alu 0xfffd
	v_cndmask_b32_e32 v13, v13, v7, vcc_lo
	v_cndmask_b32_e32 v14, v14, v19, vcc_lo
	v_and_b32_e32 v2, v13, v2
	s_delay_alu instid0(VALU_DEP_1) | instskip(SKIP_3) | instid1(VALU_DEP_1)
	v_mul_lo_u32 v7, 0, v2
	v_mul_hi_u32 v19, 24, v2
	v_mul_lo_u32 v2, 24, v2
	s_wait_loadcnt 0x0
	v_add_co_u32 v2, vcc_lo, v15, v2
	v_mov_b32_e32 v15, v17
	v_and_b32_e32 v3, v14, v3
	s_delay_alu instid0(VALU_DEP_1) | instskip(NEXT) | instid1(VALU_DEP_1)
	v_mul_lo_u32 v3, 24, v3
	v_add_nc_u32_e32 v3, v3, v7
	s_delay_alu instid0(VALU_DEP_1) | instskip(SKIP_1) | instid1(VALU_DEP_1)
	v_add_nc_u32_e32 v3, v3, v19
	s_wait_alu 0xfffd
	v_add_co_ci_u32_e32 v3, vcc_lo, v16, v3, vcc_lo
	v_mov_b32_e32 v16, v18
	global_store_b64 v[2:3], v[17:18], off
	global_wb scope:SCOPE_SYS
	s_wait_storecnt 0x0
	global_atomic_cmpswap_b64 v[15:16], v8, v[13:16], s[2:3] offset:24 th:TH_ATOMIC_RETURN scope:SCOPE_SYS
	s_wait_loadcnt 0x0
	v_cmp_ne_u64_e32 vcc_lo, v[15:16], v[17:18]
	s_and_b32 exec_lo, exec_lo, vcc_lo
	s_cbranch_execz .LBB6_146
; %bb.220:                              ;   in Loop: Header=BB6_147 Depth=1
	s_mov_b32 s0, 0
.LBB6_221:                              ;   Parent Loop BB6_147 Depth=1
                                        ; =>  This Inner Loop Header: Depth=2
	s_sleep 1
	global_store_b64 v[2:3], v[15:16], off
	global_wb scope:SCOPE_SYS
	s_wait_storecnt 0x0
	global_atomic_cmpswap_b64 v[17:18], v8, v[13:16], s[2:3] offset:24 th:TH_ATOMIC_RETURN scope:SCOPE_SYS
	s_wait_loadcnt 0x0
	v_cmp_eq_u64_e32 vcc_lo, v[17:18], v[15:16]
	v_dual_mov_b32 v15, v17 :: v_dual_mov_b32 v16, v18
	s_wait_alu 0xfffe
	s_or_b32 s0, vcc_lo, s0
	s_wait_alu 0xfffe
	s_and_not1_b32 exec_lo, exec_lo, s0
	s_cbranch_execnz .LBB6_221
	s_branch .LBB6_146
.LBB6_222:
	s_branch .LBB6_251
.LBB6_223:
	s_cbranch_execz .LBB6_251
; %bb.224:
	v_readfirstlane_b32 s0, v35
	s_wait_loadcnt 0x0
	v_mov_b32_e32 v11, 0
	v_mov_b32_e32 v12, 0
	s_wait_alu 0xf1ff
	v_cmp_eq_u32_e64 s0, s0, v35
	s_delay_alu instid0(VALU_DEP_1)
	s_and_saveexec_b32 s1, s0
	s_cbranch_execz .LBB6_230
; %bb.225:
	v_mov_b32_e32 v2, 0
	s_mov_b32 s4, exec_lo
	global_load_b64 v[9:10], v2, s[2:3] offset:24 scope:SCOPE_SYS
	s_wait_loadcnt 0x0
	global_inv scope:SCOPE_SYS
	s_clause 0x1
	global_load_b64 v[7:8], v2, s[2:3] offset:40
	global_load_b64 v[11:12], v2, s[2:3]
	s_wait_loadcnt 0x1
	v_and_b32_e32 v3, v8, v10
	v_and_b32_e32 v7, v7, v9
	s_delay_alu instid0(VALU_DEP_2) | instskip(NEXT) | instid1(VALU_DEP_2)
	v_mul_lo_u32 v3, 24, v3
	v_mul_lo_u32 v8, 0, v7
	v_mul_hi_u32 v13, 24, v7
	v_mul_lo_u32 v7, 24, v7
	s_delay_alu instid0(VALU_DEP_3) | instskip(SKIP_1) | instid1(VALU_DEP_2)
	v_add_nc_u32_e32 v3, v3, v8
	s_wait_loadcnt 0x0
	v_add_co_u32 v7, vcc_lo, v11, v7
	s_delay_alu instid0(VALU_DEP_2) | instskip(SKIP_1) | instid1(VALU_DEP_1)
	v_add_nc_u32_e32 v3, v3, v13
	s_wait_alu 0xfffd
	v_add_co_ci_u32_e32 v8, vcc_lo, v12, v3, vcc_lo
	global_load_b64 v[7:8], v[7:8], off scope:SCOPE_SYS
	s_wait_loadcnt 0x0
	global_atomic_cmpswap_b64 v[11:12], v2, v[7:10], s[2:3] offset:24 th:TH_ATOMIC_RETURN scope:SCOPE_SYS
	s_wait_loadcnt 0x0
	global_inv scope:SCOPE_SYS
	v_cmpx_ne_u64_e64 v[11:12], v[9:10]
	s_cbranch_execz .LBB6_229
; %bb.226:
	s_mov_b32 s5, 0
.LBB6_227:                              ; =>This Inner Loop Header: Depth=1
	s_sleep 1
	s_clause 0x1
	global_load_b64 v[7:8], v2, s[2:3] offset:40
	global_load_b64 v[13:14], v2, s[2:3]
	v_dual_mov_b32 v9, v11 :: v_dual_mov_b32 v10, v12
	s_wait_loadcnt 0x1
	s_delay_alu instid0(VALU_DEP_1) | instskip(NEXT) | instid1(VALU_DEP_2)
	v_and_b32_e32 v3, v7, v9
	v_and_b32_e32 v7, v8, v10
	s_wait_loadcnt 0x0
	s_delay_alu instid0(VALU_DEP_2) | instskip(NEXT) | instid1(VALU_DEP_1)
	v_mad_co_u64_u32 v[11:12], null, v3, 24, v[13:14]
	v_mov_b32_e32 v3, v12
	s_delay_alu instid0(VALU_DEP_1) | instskip(NEXT) | instid1(VALU_DEP_1)
	v_mad_co_u64_u32 v[7:8], null, v7, 24, v[3:4]
	v_mov_b32_e32 v12, v7
	global_load_b64 v[7:8], v[11:12], off scope:SCOPE_SYS
	s_wait_loadcnt 0x0
	global_atomic_cmpswap_b64 v[11:12], v2, v[7:10], s[2:3] offset:24 th:TH_ATOMIC_RETURN scope:SCOPE_SYS
	s_wait_loadcnt 0x0
	global_inv scope:SCOPE_SYS
	v_cmp_eq_u64_e32 vcc_lo, v[11:12], v[9:10]
	s_wait_alu 0xfffe
	s_or_b32 s5, vcc_lo, s5
	s_wait_alu 0xfffe
	s_and_not1_b32 exec_lo, exec_lo, s5
	s_cbranch_execnz .LBB6_227
; %bb.228:
	s_or_b32 exec_lo, exec_lo, s5
.LBB6_229:
	s_wait_alu 0xfffe
	s_or_b32 exec_lo, exec_lo, s4
.LBB6_230:
	s_wait_alu 0xfffe
	s_or_b32 exec_lo, exec_lo, s1
	v_readfirstlane_b32 s4, v11
	v_mov_b32_e32 v2, 0
	v_readfirstlane_b32 s1, v12
	s_mov_b32 s5, exec_lo
	s_clause 0x1
	global_load_b64 v[13:14], v2, s[2:3] offset:40
	global_load_b128 v[7:10], v2, s[2:3]
	s_wait_loadcnt 0x1
	s_wait_alu 0xf1ff
	v_and_b32_e32 v13, s4, v13
	v_and_b32_e32 v14, s1, v14
	s_delay_alu instid0(VALU_DEP_2) | instskip(NEXT) | instid1(VALU_DEP_2)
	v_mul_lo_u32 v11, 0, v13
	v_mul_lo_u32 v3, 24, v14
	v_mul_hi_u32 v12, 24, v13
	v_mul_lo_u32 v15, 24, v13
	s_delay_alu instid0(VALU_DEP_3) | instskip(SKIP_1) | instid1(VALU_DEP_2)
	v_add_nc_u32_e32 v3, v3, v11
	s_wait_loadcnt 0x0
	v_add_co_u32 v11, vcc_lo, v7, v15
	s_delay_alu instid0(VALU_DEP_2) | instskip(SKIP_1) | instid1(VALU_DEP_1)
	v_add_nc_u32_e32 v3, v3, v12
	s_wait_alu 0xfffd
	v_add_co_ci_u32_e32 v12, vcc_lo, v8, v3, vcc_lo
	s_and_saveexec_b32 s6, s0
	s_cbranch_execz .LBB6_232
; %bb.231:
	s_wait_alu 0xfffe
	v_dual_mov_b32 v15, s5 :: v_dual_mov_b32 v16, v2
	v_dual_mov_b32 v17, 2 :: v_dual_mov_b32 v18, 1
	global_store_b128 v[11:12], v[15:18], off offset:8
.LBB6_232:
	s_wait_alu 0xfffe
	s_or_b32 exec_lo, exec_lo, s6
	v_lshlrev_b64_e32 v[13:14], 12, v[13:14]
	s_mov_b32 s16, 0
	v_and_or_b32 v0, 0xffffff1d, v0, 34
	s_wait_alu 0xfffe
	s_mov_b32 s17, s16
	s_mov_b32 s18, s16
	;; [unrolled: 1-line block ×3, first 2 shown]
	v_add_co_u32 v9, vcc_lo, v9, v13
	s_wait_alu 0xfffd
	v_add_co_ci_u32_e32 v10, vcc_lo, v10, v14, vcc_lo
	v_mov_b32_e32 v3, v2
	s_delay_alu instid0(VALU_DEP_3)
	v_readfirstlane_b32 s6, v9
	s_wait_alu 0xfffe
	v_dual_mov_b32 v13, s16 :: v_dual_mov_b32 v16, s19
	v_readfirstlane_b32 s7, v10
	v_dual_mov_b32 v14, s17 :: v_dual_mov_b32 v15, s18
	s_clause 0x3
	global_store_b128 v34, v[0:3], s[6:7]
	global_store_b128 v34, v[13:16], s[6:7] offset:16
	global_store_b128 v34, v[13:16], s[6:7] offset:32
	;; [unrolled: 1-line block ×3, first 2 shown]
	s_and_saveexec_b32 s5, s0
	s_cbranch_execz .LBB6_240
; %bb.233:
	v_mov_b32_e32 v9, 0
	v_mov_b32_e32 v13, s4
	s_mov_b32 s6, exec_lo
	s_clause 0x1
	global_load_b64 v[15:16], v9, s[2:3] offset:32 scope:SCOPE_SYS
	global_load_b64 v[0:1], v9, s[2:3] offset:40
	v_mov_b32_e32 v14, s1
	s_wait_loadcnt 0x0
	v_and_b32_e32 v0, s4, v0
	v_and_b32_e32 v1, s1, v1
	s_delay_alu instid0(VALU_DEP_2) | instskip(NEXT) | instid1(VALU_DEP_2)
	v_mul_lo_u32 v2, 0, v0
	v_mul_lo_u32 v1, 24, v1
	v_mul_hi_u32 v3, 24, v0
	v_mul_lo_u32 v0, 24, v0
	s_delay_alu instid0(VALU_DEP_3) | instskip(NEXT) | instid1(VALU_DEP_2)
	v_add_nc_u32_e32 v1, v1, v2
	v_add_co_u32 v7, vcc_lo, v7, v0
	s_delay_alu instid0(VALU_DEP_2) | instskip(SKIP_1) | instid1(VALU_DEP_1)
	v_add_nc_u32_e32 v1, v1, v3
	s_wait_alu 0xfffd
	v_add_co_ci_u32_e32 v8, vcc_lo, v8, v1, vcc_lo
	global_store_b64 v[7:8], v[15:16], off
	global_wb scope:SCOPE_SYS
	s_wait_storecnt 0x0
	global_atomic_cmpswap_b64 v[2:3], v9, v[13:16], s[2:3] offset:32 th:TH_ATOMIC_RETURN scope:SCOPE_SYS
	s_wait_loadcnt 0x0
	v_cmpx_ne_u64_e64 v[2:3], v[15:16]
	s_cbranch_execz .LBB6_236
; %bb.234:
	s_mov_b32 s7, 0
.LBB6_235:                              ; =>This Inner Loop Header: Depth=1
	v_dual_mov_b32 v0, s4 :: v_dual_mov_b32 v1, s1
	s_sleep 1
	global_store_b64 v[7:8], v[2:3], off
	global_wb scope:SCOPE_SYS
	s_wait_storecnt 0x0
	global_atomic_cmpswap_b64 v[0:1], v9, v[0:3], s[2:3] offset:32 th:TH_ATOMIC_RETURN scope:SCOPE_SYS
	s_wait_loadcnt 0x0
	v_cmp_eq_u64_e32 vcc_lo, v[0:1], v[2:3]
	v_dual_mov_b32 v3, v1 :: v_dual_mov_b32 v2, v0
	s_wait_alu 0xfffe
	s_or_b32 s7, vcc_lo, s7
	s_wait_alu 0xfffe
	s_and_not1_b32 exec_lo, exec_lo, s7
	s_cbranch_execnz .LBB6_235
.LBB6_236:
	s_wait_alu 0xfffe
	s_or_b32 exec_lo, exec_lo, s6
	v_mov_b32_e32 v3, 0
	s_mov_b32 s7, exec_lo
	s_mov_b32 s6, exec_lo
	s_wait_alu 0xfffe
	v_mbcnt_lo_u32_b32 v2, s7, 0
	global_load_b64 v[0:1], v3, s[2:3] offset:16
	v_cmpx_eq_u32_e32 0, v2
	s_cbranch_execz .LBB6_238
; %bb.237:
	s_bcnt1_i32_b32 s7, s7
	s_wait_alu 0xfffe
	v_mov_b32_e32 v2, s7
	global_wb scope:SCOPE_SYS
	s_wait_loadcnt 0x0
	global_atomic_add_u64 v[0:1], v[2:3], off offset:8 scope:SCOPE_SYS
.LBB6_238:
	s_or_b32 exec_lo, exec_lo, s6
	s_wait_loadcnt 0x0
	global_load_b64 v[2:3], v[0:1], off offset:16
	s_wait_loadcnt 0x0
	v_cmp_eq_u64_e32 vcc_lo, 0, v[2:3]
	s_cbranch_vccnz .LBB6_240
; %bb.239:
	global_load_b32 v0, v[0:1], off offset:24
	v_mov_b32_e32 v1, 0
	s_wait_loadcnt 0x0
	v_and_b32_e32 v7, 0xffffff, v0
	global_wb scope:SCOPE_SYS
	s_wait_storecnt 0x0
	global_store_b64 v[2:3], v[0:1], off scope:SCOPE_SYS
	v_readfirstlane_b32 m0, v7
	s_sendmsg sendmsg(MSG_INTERRUPT)
.LBB6_240:
	s_wait_alu 0xfffe
	s_or_b32 exec_lo, exec_lo, s5
	s_branch .LBB6_244
.LBB6_241:                              ;   in Loop: Header=BB6_244 Depth=1
	s_wait_alu 0xfffe
	s_or_b32 exec_lo, exec_lo, s5
	s_delay_alu instid0(VALU_DEP_1) | instskip(NEXT) | instid1(VALU_DEP_1)
	v_readfirstlane_b32 s5, v0
	s_cmp_eq_u32 s5, 0
	s_cbranch_scc1 .LBB6_243
; %bb.242:                              ;   in Loop: Header=BB6_244 Depth=1
	s_sleep 1
	s_cbranch_execnz .LBB6_244
	s_branch .LBB6_246
.LBB6_243:
	s_branch .LBB6_246
.LBB6_244:                              ; =>This Inner Loop Header: Depth=1
	v_mov_b32_e32 v0, 1
	s_and_saveexec_b32 s5, s0
	s_cbranch_execz .LBB6_241
; %bb.245:                              ;   in Loop: Header=BB6_244 Depth=1
	global_load_b32 v0, v[11:12], off offset:20 scope:SCOPE_SYS
	s_wait_loadcnt 0x0
	global_inv scope:SCOPE_SYS
	v_and_b32_e32 v0, 1, v0
	s_branch .LBB6_241
.LBB6_246:
	s_and_saveexec_b32 s5, s0
	s_cbranch_execz .LBB6_250
; %bb.247:
	v_mov_b32_e32 v9, 0
	s_clause 0x2
	global_load_b64 v[2:3], v9, s[2:3] offset:40
	global_load_b64 v[10:11], v9, s[2:3] offset:24 scope:SCOPE_SYS
	global_load_b64 v[7:8], v9, s[2:3]
	s_wait_loadcnt 0x2
	v_add_co_u32 v12, vcc_lo, v2, 1
	s_wait_alu 0xfffd
	v_add_co_ci_u32_e32 v13, vcc_lo, 0, v3, vcc_lo
	s_delay_alu instid0(VALU_DEP_2) | instskip(SKIP_1) | instid1(VALU_DEP_2)
	v_add_co_u32 v0, vcc_lo, v12, s4
	s_wait_alu 0xfffd
	v_add_co_ci_u32_e32 v1, vcc_lo, s1, v13, vcc_lo
	s_delay_alu instid0(VALU_DEP_1) | instskip(SKIP_2) | instid1(VALU_DEP_1)
	v_cmp_eq_u64_e32 vcc_lo, 0, v[0:1]
	s_wait_alu 0xfffd
	v_dual_cndmask_b32 v0, v0, v12 :: v_dual_cndmask_b32 v1, v1, v13
	v_and_b32_e32 v2, v0, v2
	s_delay_alu instid0(VALU_DEP_2) | instskip(NEXT) | instid1(VALU_DEP_2)
	v_and_b32_e32 v3, v1, v3
	v_mul_lo_u32 v12, 0, v2
	v_mul_hi_u32 v13, 24, v2
	v_mul_lo_u32 v2, 24, v2
	s_wait_loadcnt 0x0
	s_delay_alu instid0(VALU_DEP_1) | instskip(SKIP_2) | instid1(VALU_DEP_1)
	v_add_co_u32 v7, vcc_lo, v7, v2
	v_mov_b32_e32 v2, v10
	v_mul_lo_u32 v3, 24, v3
	v_add_nc_u32_e32 v3, v3, v12
	s_delay_alu instid0(VALU_DEP_1) | instskip(SKIP_1) | instid1(VALU_DEP_1)
	v_add_nc_u32_e32 v3, v3, v13
	s_wait_alu 0xfffd
	v_add_co_ci_u32_e32 v8, vcc_lo, v8, v3, vcc_lo
	v_mov_b32_e32 v3, v11
	global_store_b64 v[7:8], v[10:11], off
	global_wb scope:SCOPE_SYS
	s_wait_storecnt 0x0
	global_atomic_cmpswap_b64 v[2:3], v9, v[0:3], s[2:3] offset:24 th:TH_ATOMIC_RETURN scope:SCOPE_SYS
	s_wait_loadcnt 0x0
	v_cmp_ne_u64_e32 vcc_lo, v[2:3], v[10:11]
	s_and_b32 exec_lo, exec_lo, vcc_lo
	s_cbranch_execz .LBB6_250
; %bb.248:
	s_mov_b32 s0, 0
.LBB6_249:                              ; =>This Inner Loop Header: Depth=1
	s_sleep 1
	global_store_b64 v[7:8], v[2:3], off
	global_wb scope:SCOPE_SYS
	s_wait_storecnt 0x0
	global_atomic_cmpswap_b64 v[10:11], v9, v[0:3], s[2:3] offset:24 th:TH_ATOMIC_RETURN scope:SCOPE_SYS
	s_wait_loadcnt 0x0
	v_cmp_eq_u64_e32 vcc_lo, v[10:11], v[2:3]
	v_dual_mov_b32 v2, v10 :: v_dual_mov_b32 v3, v11
	s_wait_alu 0xfffe
	s_or_b32 s0, vcc_lo, s0
	s_wait_alu 0xfffe
	s_and_not1_b32 exec_lo, exec_lo, s0
	s_cbranch_execnz .LBB6_249
.LBB6_250:
	s_wait_alu 0xfffe
	s_or_b32 exec_lo, exec_lo, s5
.LBB6_251:
	v_readfirstlane_b32 s0, v35
	v_mov_b32_e32 v9, 0
	v_mov_b32_e32 v10, 0
	s_wait_alu 0xf1ff
	s_delay_alu instid0(VALU_DEP_3) | instskip(NEXT) | instid1(VALU_DEP_1)
	v_cmp_eq_u32_e64 s0, s0, v35
	s_and_saveexec_b32 s1, s0
	s_cbranch_execz .LBB6_257
; %bb.252:
	s_wait_loadcnt 0x0
	v_mov_b32_e32 v0, 0
	s_mov_b32 s4, exec_lo
	global_load_b64 v[11:12], v0, s[2:3] offset:24 scope:SCOPE_SYS
	s_wait_loadcnt 0x0
	global_inv scope:SCOPE_SYS
	s_clause 0x1
	global_load_b64 v[1:2], v0, s[2:3] offset:40
	global_load_b64 v[7:8], v0, s[2:3]
	s_wait_loadcnt 0x1
	v_and_b32_e32 v1, v1, v11
	v_and_b32_e32 v2, v2, v12
	s_delay_alu instid0(VALU_DEP_2) | instskip(NEXT) | instid1(VALU_DEP_2)
	v_mul_lo_u32 v3, 0, v1
	v_mul_lo_u32 v2, 24, v2
	v_mul_hi_u32 v9, 24, v1
	v_mul_lo_u32 v1, 24, v1
	s_delay_alu instid0(VALU_DEP_3) | instskip(SKIP_1) | instid1(VALU_DEP_2)
	v_add_nc_u32_e32 v2, v2, v3
	s_wait_loadcnt 0x0
	v_add_co_u32 v1, vcc_lo, v7, v1
	s_delay_alu instid0(VALU_DEP_2) | instskip(SKIP_1) | instid1(VALU_DEP_1)
	v_add_nc_u32_e32 v2, v2, v9
	s_wait_alu 0xfffd
	v_add_co_ci_u32_e32 v2, vcc_lo, v8, v2, vcc_lo
	global_load_b64 v[9:10], v[1:2], off scope:SCOPE_SYS
	s_wait_loadcnt 0x0
	global_atomic_cmpswap_b64 v[9:10], v0, v[9:12], s[2:3] offset:24 th:TH_ATOMIC_RETURN scope:SCOPE_SYS
	s_wait_loadcnt 0x0
	global_inv scope:SCOPE_SYS
	v_cmpx_ne_u64_e64 v[9:10], v[11:12]
	s_cbranch_execz .LBB6_256
; %bb.253:
	s_mov_b32 s5, 0
.LBB6_254:                              ; =>This Inner Loop Header: Depth=1
	s_sleep 1
	s_clause 0x1
	global_load_b64 v[1:2], v0, s[2:3] offset:40
	global_load_b64 v[7:8], v0, s[2:3]
	v_dual_mov_b32 v12, v10 :: v_dual_mov_b32 v11, v9
	s_wait_loadcnt 0x1
	s_delay_alu instid0(VALU_DEP_1) | instskip(SKIP_1) | instid1(VALU_DEP_1)
	v_and_b32_e32 v1, v1, v11
	s_wait_loadcnt 0x0
	v_mad_co_u64_u32 v[7:8], null, v1, 24, v[7:8]
	s_delay_alu instid0(VALU_DEP_1) | instskip(NEXT) | instid1(VALU_DEP_1)
	v_dual_mov_b32 v1, v8 :: v_dual_and_b32 v2, v2, v12
	v_mad_co_u64_u32 v[1:2], null, v2, 24, v[1:2]
	s_delay_alu instid0(VALU_DEP_1)
	v_mov_b32_e32 v8, v1
	global_load_b64 v[9:10], v[7:8], off scope:SCOPE_SYS
	s_wait_loadcnt 0x0
	global_atomic_cmpswap_b64 v[9:10], v0, v[9:12], s[2:3] offset:24 th:TH_ATOMIC_RETURN scope:SCOPE_SYS
	s_wait_loadcnt 0x0
	global_inv scope:SCOPE_SYS
	v_cmp_eq_u64_e32 vcc_lo, v[9:10], v[11:12]
	s_wait_alu 0xfffe
	s_or_b32 s5, vcc_lo, s5
	s_wait_alu 0xfffe
	s_and_not1_b32 exec_lo, exec_lo, s5
	s_cbranch_execnz .LBB6_254
; %bb.255:
	s_or_b32 exec_lo, exec_lo, s5
.LBB6_256:
	s_wait_alu 0xfffe
	s_or_b32 exec_lo, exec_lo, s4
.LBB6_257:
	s_wait_alu 0xfffe
	s_or_b32 exec_lo, exec_lo, s1
	v_readfirstlane_b32 s4, v9
	s_wait_loadcnt 0x0
	v_mov_b32_e32 v8, 0
	v_readfirstlane_b32 s1, v10
	s_mov_b32 s5, exec_lo
	s_clause 0x1
	global_load_b64 v[11:12], v8, s[2:3] offset:40
	global_load_b128 v[0:3], v8, s[2:3]
	s_wait_loadcnt 0x1
	s_wait_alu 0xf1ff
	v_and_b32_e32 v13, s4, v11
	v_and_b32_e32 v14, s1, v12
	s_delay_alu instid0(VALU_DEP_2) | instskip(NEXT) | instid1(VALU_DEP_2)
	v_mul_lo_u32 v9, 0, v13
	v_mul_lo_u32 v7, 24, v14
	v_mul_hi_u32 v10, 24, v13
	v_mul_lo_u32 v11, 24, v13
	s_delay_alu instid0(VALU_DEP_3) | instskip(SKIP_1) | instid1(VALU_DEP_2)
	v_add_nc_u32_e32 v7, v7, v9
	s_wait_loadcnt 0x0
	v_add_co_u32 v11, vcc_lo, v0, v11
	s_delay_alu instid0(VALU_DEP_2) | instskip(SKIP_1) | instid1(VALU_DEP_1)
	v_add_nc_u32_e32 v7, v7, v10
	s_wait_alu 0xfffd
	v_add_co_ci_u32_e32 v12, vcc_lo, v1, v7, vcc_lo
	s_and_saveexec_b32 s6, s0
	s_cbranch_execz .LBB6_259
; %bb.258:
	s_wait_alu 0xfffe
	v_dual_mov_b32 v7, s5 :: v_dual_mov_b32 v10, 1
	v_mov_b32_e32 v9, 2
	global_store_b128 v[11:12], v[7:10], off offset:8
.LBB6_259:
	s_wait_alu 0xfffe
	s_or_b32 exec_lo, exec_lo, s6
	v_lshlrev_b64_e32 v[13:14], 12, v[13:14]
	s_mov_b32 s16, 0
	v_dual_mov_b32 v7, 33 :: v_dual_mov_b32 v10, v8
	s_wait_alu 0xfffe
	s_mov_b32 s17, s16
	s_mov_b32 s18, s16
	v_add_co_u32 v2, vcc_lo, v2, v13
	s_wait_alu 0xfffd
	v_add_co_ci_u32_e32 v3, vcc_lo, v3, v14, vcc_lo
	s_mov_b32 s19, s16
	s_delay_alu instid0(VALU_DEP_2)
	v_add_co_u32 v13, vcc_lo, v2, v34
	v_mov_b32_e32 v9, v8
	v_readfirstlane_b32 s6, v2
	v_readfirstlane_b32 s7, v3
	s_wait_alu 0xfffe
	v_dual_mov_b32 v15, s16 :: v_dual_mov_b32 v18, s19
	s_wait_alu 0xfffd
	v_add_co_ci_u32_e32 v14, vcc_lo, 0, v3, vcc_lo
	v_dual_mov_b32 v16, s17 :: v_dual_mov_b32 v17, s18
	s_clause 0x3
	global_store_b128 v34, v[7:10], s[6:7]
	global_store_b128 v34, v[15:18], s[6:7] offset:16
	global_store_b128 v34, v[15:18], s[6:7] offset:32
	;; [unrolled: 1-line block ×3, first 2 shown]
	s_and_saveexec_b32 s5, s0
	s_cbranch_execz .LBB6_267
; %bb.260:
	v_mov_b32_e32 v9, 0
	v_mov_b32_e32 v15, s4
	s_mov_b32 s6, exec_lo
	s_clause 0x1
	global_load_b64 v[17:18], v9, s[2:3] offset:32 scope:SCOPE_SYS
	global_load_b64 v[2:3], v9, s[2:3] offset:40
	v_mov_b32_e32 v16, s1
	s_wait_loadcnt 0x0
	v_and_b32_e32 v2, s4, v2
	v_and_b32_e32 v3, s1, v3
	s_delay_alu instid0(VALU_DEP_2) | instskip(NEXT) | instid1(VALU_DEP_2)
	v_mul_lo_u32 v7, 0, v2
	v_mul_lo_u32 v3, 24, v3
	v_mul_hi_u32 v8, 24, v2
	v_mul_lo_u32 v2, 24, v2
	s_delay_alu instid0(VALU_DEP_3) | instskip(NEXT) | instid1(VALU_DEP_2)
	v_add_nc_u32_e32 v3, v3, v7
	v_add_co_u32 v7, vcc_lo, v0, v2
	s_delay_alu instid0(VALU_DEP_2) | instskip(SKIP_1) | instid1(VALU_DEP_1)
	v_add_nc_u32_e32 v3, v3, v8
	s_wait_alu 0xfffd
	v_add_co_ci_u32_e32 v8, vcc_lo, v1, v3, vcc_lo
	global_store_b64 v[7:8], v[17:18], off
	global_wb scope:SCOPE_SYS
	s_wait_storecnt 0x0
	global_atomic_cmpswap_b64 v[2:3], v9, v[15:18], s[2:3] offset:32 th:TH_ATOMIC_RETURN scope:SCOPE_SYS
	s_wait_loadcnt 0x0
	v_cmpx_ne_u64_e64 v[2:3], v[17:18]
	s_cbranch_execz .LBB6_263
; %bb.261:
	s_mov_b32 s7, 0
.LBB6_262:                              ; =>This Inner Loop Header: Depth=1
	v_dual_mov_b32 v0, s4 :: v_dual_mov_b32 v1, s1
	s_sleep 1
	global_store_b64 v[7:8], v[2:3], off
	global_wb scope:SCOPE_SYS
	s_wait_storecnt 0x0
	global_atomic_cmpswap_b64 v[0:1], v9, v[0:3], s[2:3] offset:32 th:TH_ATOMIC_RETURN scope:SCOPE_SYS
	s_wait_loadcnt 0x0
	v_cmp_eq_u64_e32 vcc_lo, v[0:1], v[2:3]
	v_dual_mov_b32 v3, v1 :: v_dual_mov_b32 v2, v0
	s_wait_alu 0xfffe
	s_or_b32 s7, vcc_lo, s7
	s_wait_alu 0xfffe
	s_and_not1_b32 exec_lo, exec_lo, s7
	s_cbranch_execnz .LBB6_262
.LBB6_263:
	s_wait_alu 0xfffe
	s_or_b32 exec_lo, exec_lo, s6
	v_mov_b32_e32 v3, 0
	s_mov_b32 s7, exec_lo
	s_mov_b32 s6, exec_lo
	s_wait_alu 0xfffe
	v_mbcnt_lo_u32_b32 v2, s7, 0
	global_load_b64 v[0:1], v3, s[2:3] offset:16
	v_cmpx_eq_u32_e32 0, v2
	s_cbranch_execz .LBB6_265
; %bb.264:
	s_bcnt1_i32_b32 s7, s7
	s_wait_alu 0xfffe
	v_mov_b32_e32 v2, s7
	global_wb scope:SCOPE_SYS
	s_wait_loadcnt 0x0
	global_atomic_add_u64 v[0:1], v[2:3], off offset:8 scope:SCOPE_SYS
.LBB6_265:
	s_or_b32 exec_lo, exec_lo, s6
	s_wait_loadcnt 0x0
	global_load_b64 v[2:3], v[0:1], off offset:16
	s_wait_loadcnt 0x0
	v_cmp_eq_u64_e32 vcc_lo, 0, v[2:3]
	s_cbranch_vccnz .LBB6_267
; %bb.266:
	global_load_b32 v0, v[0:1], off offset:24
	v_mov_b32_e32 v1, 0
	s_wait_loadcnt 0x0
	v_and_b32_e32 v7, 0xffffff, v0
	global_wb scope:SCOPE_SYS
	s_wait_storecnt 0x0
	global_store_b64 v[2:3], v[0:1], off scope:SCOPE_SYS
	v_readfirstlane_b32 m0, v7
	s_sendmsg sendmsg(MSG_INTERRUPT)
.LBB6_267:
	s_wait_alu 0xfffe
	s_or_b32 exec_lo, exec_lo, s5
	s_branch .LBB6_271
.LBB6_268:                              ;   in Loop: Header=BB6_271 Depth=1
	s_wait_alu 0xfffe
	s_or_b32 exec_lo, exec_lo, s5
	s_delay_alu instid0(VALU_DEP_1) | instskip(NEXT) | instid1(VALU_DEP_1)
	v_readfirstlane_b32 s5, v0
	s_cmp_eq_u32 s5, 0
	s_cbranch_scc1 .LBB6_270
; %bb.269:                              ;   in Loop: Header=BB6_271 Depth=1
	s_sleep 1
	s_cbranch_execnz .LBB6_271
	s_branch .LBB6_273
.LBB6_270:
	s_branch .LBB6_273
.LBB6_271:                              ; =>This Inner Loop Header: Depth=1
	v_mov_b32_e32 v0, 1
	s_and_saveexec_b32 s5, s0
	s_cbranch_execz .LBB6_268
; %bb.272:                              ;   in Loop: Header=BB6_271 Depth=1
	global_load_b32 v0, v[11:12], off offset:20 scope:SCOPE_SYS
	s_wait_loadcnt 0x0
	global_inv scope:SCOPE_SYS
	v_and_b32_e32 v0, 1, v0
	s_branch .LBB6_268
.LBB6_273:
	global_load_b64 v[0:1], v[13:14], off
	s_and_saveexec_b32 s5, s0
	s_cbranch_execz .LBB6_277
; %bb.274:
	v_mov_b32_e32 v11, 0
	s_clause 0x2
	global_load_b64 v[2:3], v11, s[2:3] offset:40
	global_load_b64 v[12:13], v11, s[2:3] offset:24 scope:SCOPE_SYS
	global_load_b64 v[9:10], v11, s[2:3]
	s_wait_loadcnt 0x2
	v_add_co_u32 v14, vcc_lo, v2, 1
	s_wait_alu 0xfffd
	v_add_co_ci_u32_e32 v15, vcc_lo, 0, v3, vcc_lo
	s_delay_alu instid0(VALU_DEP_2) | instskip(SKIP_1) | instid1(VALU_DEP_2)
	v_add_co_u32 v7, vcc_lo, v14, s4
	s_wait_alu 0xfffd
	v_add_co_ci_u32_e32 v8, vcc_lo, s1, v15, vcc_lo
	s_delay_alu instid0(VALU_DEP_1) | instskip(SKIP_2) | instid1(VALU_DEP_1)
	v_cmp_eq_u64_e32 vcc_lo, 0, v[7:8]
	s_wait_alu 0xfffd
	v_dual_cndmask_b32 v8, v8, v15 :: v_dual_cndmask_b32 v7, v7, v14
	v_and_b32_e32 v3, v8, v3
	s_delay_alu instid0(VALU_DEP_2) | instskip(NEXT) | instid1(VALU_DEP_2)
	v_and_b32_e32 v2, v7, v2
	v_mul_lo_u32 v3, 24, v3
	s_delay_alu instid0(VALU_DEP_2) | instskip(SKIP_2) | instid1(VALU_DEP_3)
	v_mul_lo_u32 v14, 0, v2
	v_mul_hi_u32 v15, 24, v2
	v_mul_lo_u32 v2, 24, v2
	v_add_nc_u32_e32 v3, v3, v14
	s_wait_loadcnt 0x0
	s_delay_alu instid0(VALU_DEP_2) | instskip(SKIP_1) | instid1(VALU_DEP_3)
	v_add_co_u32 v2, vcc_lo, v9, v2
	v_mov_b32_e32 v9, v12
	v_add_nc_u32_e32 v3, v3, v15
	s_wait_alu 0xfffd
	s_delay_alu instid0(VALU_DEP_1)
	v_add_co_ci_u32_e32 v3, vcc_lo, v10, v3, vcc_lo
	v_mov_b32_e32 v10, v13
	global_store_b64 v[2:3], v[12:13], off
	global_wb scope:SCOPE_SYS
	s_wait_storecnt 0x0
	global_atomic_cmpswap_b64 v[9:10], v11, v[7:10], s[2:3] offset:24 th:TH_ATOMIC_RETURN scope:SCOPE_SYS
	s_wait_loadcnt 0x0
	v_cmp_ne_u64_e32 vcc_lo, v[9:10], v[12:13]
	s_and_b32 exec_lo, exec_lo, vcc_lo
	s_cbranch_execz .LBB6_277
; %bb.275:
	s_mov_b32 s0, 0
.LBB6_276:                              ; =>This Inner Loop Header: Depth=1
	s_sleep 1
	global_store_b64 v[2:3], v[9:10], off
	global_wb scope:SCOPE_SYS
	s_wait_storecnt 0x0
	global_atomic_cmpswap_b64 v[12:13], v11, v[7:10], s[2:3] offset:24 th:TH_ATOMIC_RETURN scope:SCOPE_SYS
	s_wait_loadcnt 0x0
	v_cmp_eq_u64_e32 vcc_lo, v[12:13], v[9:10]
	v_dual_mov_b32 v9, v12 :: v_dual_mov_b32 v10, v13
	s_wait_alu 0xfffe
	s_or_b32 s0, vcc_lo, s0
	s_wait_alu 0xfffe
	s_and_not1_b32 exec_lo, exec_lo, s0
	s_cbranch_execnz .LBB6_276
.LBB6_277:
	s_wait_alu 0xfffe
	s_or_b32 exec_lo, exec_lo, s5
	s_getpc_b64 s[4:5]
	s_wait_alu 0xfffe
	s_sext_i32_i16 s5, s5
	s_add_co_u32 s4, s4, .str.8@rel32@lo+12
	s_wait_alu 0xfffe
	s_add_co_ci_u32 s5, s5, .str.8@rel32@hi+24
	s_wait_alu 0xfffe
	s_cmp_lg_u64 s[4:5], 0
	s_cselect_b32 s20, -1, 0
	s_wait_alu 0xfffe
	s_and_b32 vcc_lo, exec_lo, s20
	s_wait_alu 0xfffe
	s_cbranch_vccz .LBB6_356
; %bb.278:
	s_wait_loadcnt 0x0
	v_dual_mov_b32 v11, 0 :: v_dual_and_b32 v36, 2, v0
	v_dual_mov_b32 v8, v1 :: v_dual_and_b32 v7, -3, v0
	v_dual_mov_b32 v12, 2 :: v_dual_mov_b32 v13, 1
	s_mov_b64 s[6:7], 3
	s_branch .LBB6_280
.LBB6_279:                              ;   in Loop: Header=BB6_280 Depth=1
	s_wait_alu 0xfffe
	s_or_b32 exec_lo, exec_lo, s17
	s_sub_nc_u64 s[6:7], s[6:7], s[10:11]
	s_add_nc_u64 s[4:5], s[4:5], s[10:11]
	s_wait_alu 0xfffe
	s_cmp_lg_u64 s[6:7], 0
	s_cbranch_scc0 .LBB6_355
.LBB6_280:                              ; =>This Loop Header: Depth=1
                                        ;     Child Loop BB6_289 Depth 2
                                        ;     Child Loop BB6_285 Depth 2
                                        ;     Child Loop BB6_297 Depth 2
                                        ;     Child Loop BB6_304 Depth 2
                                        ;     Child Loop BB6_311 Depth 2
                                        ;     Child Loop BB6_318 Depth 2
                                        ;     Child Loop BB6_325 Depth 2
                                        ;     Child Loop BB6_332 Depth 2
                                        ;     Child Loop BB6_340 Depth 2
                                        ;     Child Loop BB6_349 Depth 2
                                        ;     Child Loop BB6_354 Depth 2
	s_wait_alu 0xfffe
	v_cmp_lt_u64_e64 s0, s[6:7], 56
	v_cmp_gt_u64_e64 s1, s[6:7], 7
                                        ; implicit-def: $vgpr16_vgpr17
                                        ; implicit-def: $sgpr21
	s_delay_alu instid0(VALU_DEP_2) | instskip(SKIP_2) | instid1(VALU_DEP_1)
	s_and_b32 s0, s0, exec_lo
	s_cselect_b32 s11, s7, 0
	s_cselect_b32 s10, s6, 56
	s_and_b32 vcc_lo, exec_lo, s1
	s_mov_b32 s0, -1
	s_wait_alu 0xfffe
	s_cbranch_vccz .LBB6_287
; %bb.281:                              ;   in Loop: Header=BB6_280 Depth=1
	s_and_not1_b32 vcc_lo, exec_lo, s0
	s_mov_b64 s[0:1], s[4:5]
	s_wait_alu 0xfffe
	s_cbranch_vccz .LBB6_291
.LBB6_282:                              ;   in Loop: Header=BB6_280 Depth=1
	s_wait_alu 0xfffe
	s_cmp_gt_u32 s21, 7
	s_cbranch_scc1 .LBB6_292
.LBB6_283:                              ;   in Loop: Header=BB6_280 Depth=1
	v_mov_b32_e32 v18, 0
	v_mov_b32_e32 v19, 0
	s_cmp_eq_u32 s21, 0
	s_cbranch_scc1 .LBB6_286
; %bb.284:                              ;   in Loop: Header=BB6_280 Depth=1
	s_mov_b64 s[16:17], 0
	s_mov_b64 s[18:19], 0
.LBB6_285:                              ;   Parent Loop BB6_280 Depth=1
                                        ; =>  This Inner Loop Header: Depth=2
	s_wait_alu 0xfffe
	s_add_nc_u64 s[22:23], s[0:1], s[18:19]
	s_add_nc_u64 s[18:19], s[18:19], 1
	global_load_u8 v2, v11, s[22:23]
	s_wait_alu 0xfffe
	s_cmp_lg_u32 s21, s18
	s_wait_loadcnt 0x0
	v_and_b32_e32 v10, 0xffff, v2
	s_delay_alu instid0(VALU_DEP_1) | instskip(SKIP_1) | instid1(VALU_DEP_1)
	v_lshlrev_b64_e32 v[2:3], s16, v[10:11]
	s_add_nc_u64 s[16:17], s[16:17], 8
	v_or_b32_e32 v18, v2, v18
	s_delay_alu instid0(VALU_DEP_2)
	v_or_b32_e32 v19, v3, v19
	s_cbranch_scc1 .LBB6_285
.LBB6_286:                              ;   in Loop: Header=BB6_280 Depth=1
	s_mov_b32 s22, 0
	s_cbranch_execz .LBB6_293
	s_branch .LBB6_294
.LBB6_287:                              ;   in Loop: Header=BB6_280 Depth=1
	v_mov_b32_e32 v16, 0
	v_mov_b32_e32 v17, 0
	s_cmp_eq_u64 s[6:7], 0
	s_mov_b64 s[0:1], 0
	s_cbranch_scc1 .LBB6_290
; %bb.288:                              ;   in Loop: Header=BB6_280 Depth=1
	v_mov_b32_e32 v16, 0
	v_mov_b32_e32 v17, 0
	s_mov_b64 s[16:17], 0
.LBB6_289:                              ;   Parent Loop BB6_280 Depth=1
                                        ; =>  This Inner Loop Header: Depth=2
	s_wait_alu 0xfffe
	s_add_nc_u64 s[18:19], s[4:5], s[16:17]
	s_add_nc_u64 s[16:17], s[16:17], 1
	global_load_u8 v2, v11, s[18:19]
	s_wait_alu 0xfffe
	s_cmp_lg_u32 s10, s16
	s_wait_loadcnt 0x0
	v_and_b32_e32 v10, 0xffff, v2
	s_delay_alu instid0(VALU_DEP_1) | instskip(SKIP_1) | instid1(VALU_DEP_1)
	v_lshlrev_b64_e32 v[2:3], s0, v[10:11]
	s_add_nc_u64 s[0:1], s[0:1], 8
	v_or_b32_e32 v16, v2, v16
	s_delay_alu instid0(VALU_DEP_2)
	v_or_b32_e32 v17, v3, v17
	s_cbranch_scc1 .LBB6_289
.LBB6_290:                              ;   in Loop: Header=BB6_280 Depth=1
	s_mov_b32 s21, 0
	s_mov_b64 s[0:1], s[4:5]
	s_cbranch_execnz .LBB6_282
.LBB6_291:                              ;   in Loop: Header=BB6_280 Depth=1
	global_load_b64 v[16:17], v11, s[4:5]
	s_add_co_i32 s21, s10, -8
	s_add_nc_u64 s[0:1], s[4:5], 8
	s_wait_alu 0xfffe
	s_cmp_gt_u32 s21, 7
	s_cbranch_scc0 .LBB6_283
.LBB6_292:                              ;   in Loop: Header=BB6_280 Depth=1
                                        ; implicit-def: $vgpr18_vgpr19
                                        ; implicit-def: $sgpr22
.LBB6_293:                              ;   in Loop: Header=BB6_280 Depth=1
	global_load_b64 v[18:19], v11, s[0:1]
	s_add_co_i32 s22, s21, -8
	s_add_nc_u64 s[0:1], s[0:1], 8
.LBB6_294:                              ;   in Loop: Header=BB6_280 Depth=1
	s_wait_alu 0xfffe
	s_cmp_gt_u32 s22, 7
	s_cbranch_scc1 .LBB6_299
; %bb.295:                              ;   in Loop: Header=BB6_280 Depth=1
	v_mov_b32_e32 v20, 0
	v_mov_b32_e32 v21, 0
	s_cmp_eq_u32 s22, 0
	s_cbranch_scc1 .LBB6_298
; %bb.296:                              ;   in Loop: Header=BB6_280 Depth=1
	s_mov_b64 s[16:17], 0
	s_mov_b64 s[18:19], 0
.LBB6_297:                              ;   Parent Loop BB6_280 Depth=1
                                        ; =>  This Inner Loop Header: Depth=2
	s_wait_alu 0xfffe
	s_add_nc_u64 s[24:25], s[0:1], s[18:19]
	s_add_nc_u64 s[18:19], s[18:19], 1
	global_load_u8 v2, v11, s[24:25]
	s_wait_alu 0xfffe
	s_cmp_lg_u32 s22, s18
	s_wait_loadcnt 0x0
	v_and_b32_e32 v10, 0xffff, v2
	s_delay_alu instid0(VALU_DEP_1) | instskip(SKIP_1) | instid1(VALU_DEP_1)
	v_lshlrev_b64_e32 v[2:3], s16, v[10:11]
	s_add_nc_u64 s[16:17], s[16:17], 8
	v_or_b32_e32 v20, v2, v20
	s_delay_alu instid0(VALU_DEP_2)
	v_or_b32_e32 v21, v3, v21
	s_cbranch_scc1 .LBB6_297
.LBB6_298:                              ;   in Loop: Header=BB6_280 Depth=1
	s_mov_b32 s21, 0
	s_cbranch_execz .LBB6_300
	s_branch .LBB6_301
.LBB6_299:                              ;   in Loop: Header=BB6_280 Depth=1
                                        ; implicit-def: $sgpr21
.LBB6_300:                              ;   in Loop: Header=BB6_280 Depth=1
	global_load_b64 v[20:21], v11, s[0:1]
	s_add_co_i32 s21, s22, -8
	s_add_nc_u64 s[0:1], s[0:1], 8
.LBB6_301:                              ;   in Loop: Header=BB6_280 Depth=1
	s_wait_alu 0xfffe
	s_cmp_gt_u32 s21, 7
	s_cbranch_scc1 .LBB6_306
; %bb.302:                              ;   in Loop: Header=BB6_280 Depth=1
	v_mov_b32_e32 v22, 0
	v_mov_b32_e32 v23, 0
	s_cmp_eq_u32 s21, 0
	s_cbranch_scc1 .LBB6_305
; %bb.303:                              ;   in Loop: Header=BB6_280 Depth=1
	s_mov_b64 s[16:17], 0
	s_mov_b64 s[18:19], 0
.LBB6_304:                              ;   Parent Loop BB6_280 Depth=1
                                        ; =>  This Inner Loop Header: Depth=2
	s_wait_alu 0xfffe
	s_add_nc_u64 s[22:23], s[0:1], s[18:19]
	s_add_nc_u64 s[18:19], s[18:19], 1
	global_load_u8 v2, v11, s[22:23]
	s_wait_alu 0xfffe
	s_cmp_lg_u32 s21, s18
	s_wait_loadcnt 0x0
	v_and_b32_e32 v10, 0xffff, v2
	s_delay_alu instid0(VALU_DEP_1) | instskip(SKIP_1) | instid1(VALU_DEP_1)
	v_lshlrev_b64_e32 v[2:3], s16, v[10:11]
	s_add_nc_u64 s[16:17], s[16:17], 8
	v_or_b32_e32 v22, v2, v22
	s_delay_alu instid0(VALU_DEP_2)
	v_or_b32_e32 v23, v3, v23
	s_cbranch_scc1 .LBB6_304
.LBB6_305:                              ;   in Loop: Header=BB6_280 Depth=1
	s_mov_b32 s22, 0
	s_cbranch_execz .LBB6_307
	s_branch .LBB6_308
.LBB6_306:                              ;   in Loop: Header=BB6_280 Depth=1
                                        ; implicit-def: $vgpr22_vgpr23
                                        ; implicit-def: $sgpr22
.LBB6_307:                              ;   in Loop: Header=BB6_280 Depth=1
	global_load_b64 v[22:23], v11, s[0:1]
	s_add_co_i32 s22, s21, -8
	s_add_nc_u64 s[0:1], s[0:1], 8
.LBB6_308:                              ;   in Loop: Header=BB6_280 Depth=1
	s_wait_alu 0xfffe
	s_cmp_gt_u32 s22, 7
	s_cbranch_scc1 .LBB6_313
; %bb.309:                              ;   in Loop: Header=BB6_280 Depth=1
	v_mov_b32_e32 v24, 0
	v_mov_b32_e32 v25, 0
	s_cmp_eq_u32 s22, 0
	s_cbranch_scc1 .LBB6_312
; %bb.310:                              ;   in Loop: Header=BB6_280 Depth=1
	s_mov_b64 s[16:17], 0
	s_mov_b64 s[18:19], 0
.LBB6_311:                              ;   Parent Loop BB6_280 Depth=1
                                        ; =>  This Inner Loop Header: Depth=2
	s_wait_alu 0xfffe
	s_add_nc_u64 s[24:25], s[0:1], s[18:19]
	s_add_nc_u64 s[18:19], s[18:19], 1
	global_load_u8 v2, v11, s[24:25]
	s_wait_alu 0xfffe
	s_cmp_lg_u32 s22, s18
	s_wait_loadcnt 0x0
	v_and_b32_e32 v10, 0xffff, v2
	s_delay_alu instid0(VALU_DEP_1) | instskip(SKIP_1) | instid1(VALU_DEP_1)
	v_lshlrev_b64_e32 v[2:3], s16, v[10:11]
	s_add_nc_u64 s[16:17], s[16:17], 8
	v_or_b32_e32 v24, v2, v24
	s_delay_alu instid0(VALU_DEP_2)
	v_or_b32_e32 v25, v3, v25
	s_cbranch_scc1 .LBB6_311
.LBB6_312:                              ;   in Loop: Header=BB6_280 Depth=1
	s_mov_b32 s21, 0
	s_cbranch_execz .LBB6_314
	s_branch .LBB6_315
.LBB6_313:                              ;   in Loop: Header=BB6_280 Depth=1
                                        ; implicit-def: $sgpr21
.LBB6_314:                              ;   in Loop: Header=BB6_280 Depth=1
	global_load_b64 v[24:25], v11, s[0:1]
	s_add_co_i32 s21, s22, -8
	s_add_nc_u64 s[0:1], s[0:1], 8
.LBB6_315:                              ;   in Loop: Header=BB6_280 Depth=1
	s_wait_alu 0xfffe
	s_cmp_gt_u32 s21, 7
	s_cbranch_scc1 .LBB6_320
; %bb.316:                              ;   in Loop: Header=BB6_280 Depth=1
	v_mov_b32_e32 v26, 0
	v_mov_b32_e32 v27, 0
	s_cmp_eq_u32 s21, 0
	s_cbranch_scc1 .LBB6_319
; %bb.317:                              ;   in Loop: Header=BB6_280 Depth=1
	s_mov_b64 s[16:17], 0
	s_mov_b64 s[18:19], 0
.LBB6_318:                              ;   Parent Loop BB6_280 Depth=1
                                        ; =>  This Inner Loop Header: Depth=2
	s_wait_alu 0xfffe
	s_add_nc_u64 s[22:23], s[0:1], s[18:19]
	s_add_nc_u64 s[18:19], s[18:19], 1
	global_load_u8 v2, v11, s[22:23]
	s_wait_alu 0xfffe
	s_cmp_lg_u32 s21, s18
	s_wait_loadcnt 0x0
	v_and_b32_e32 v10, 0xffff, v2
	s_delay_alu instid0(VALU_DEP_1) | instskip(SKIP_1) | instid1(VALU_DEP_1)
	v_lshlrev_b64_e32 v[2:3], s16, v[10:11]
	s_add_nc_u64 s[16:17], s[16:17], 8
	v_or_b32_e32 v26, v2, v26
	s_delay_alu instid0(VALU_DEP_2)
	v_or_b32_e32 v27, v3, v27
	s_cbranch_scc1 .LBB6_318
.LBB6_319:                              ;   in Loop: Header=BB6_280 Depth=1
	s_mov_b32 s22, 0
	s_cbranch_execz .LBB6_321
	s_branch .LBB6_322
.LBB6_320:                              ;   in Loop: Header=BB6_280 Depth=1
                                        ; implicit-def: $vgpr26_vgpr27
                                        ; implicit-def: $sgpr22
.LBB6_321:                              ;   in Loop: Header=BB6_280 Depth=1
	global_load_b64 v[26:27], v11, s[0:1]
	s_add_co_i32 s22, s21, -8
	s_add_nc_u64 s[0:1], s[0:1], 8
.LBB6_322:                              ;   in Loop: Header=BB6_280 Depth=1
	s_wait_alu 0xfffe
	s_cmp_gt_u32 s22, 7
	s_cbranch_scc1 .LBB6_327
; %bb.323:                              ;   in Loop: Header=BB6_280 Depth=1
	v_mov_b32_e32 v28, 0
	v_mov_b32_e32 v29, 0
	s_cmp_eq_u32 s22, 0
	s_cbranch_scc1 .LBB6_326
; %bb.324:                              ;   in Loop: Header=BB6_280 Depth=1
	s_mov_b64 s[16:17], 0
	s_mov_b64 s[18:19], s[0:1]
.LBB6_325:                              ;   Parent Loop BB6_280 Depth=1
                                        ; =>  This Inner Loop Header: Depth=2
	global_load_u8 v2, v11, s[18:19]
	s_add_co_i32 s22, s22, -1
	s_wait_alu 0xfffe
	s_add_nc_u64 s[18:19], s[18:19], 1
	s_cmp_lg_u32 s22, 0
	s_wait_loadcnt 0x0
	v_and_b32_e32 v10, 0xffff, v2
	s_delay_alu instid0(VALU_DEP_1) | instskip(SKIP_1) | instid1(VALU_DEP_1)
	v_lshlrev_b64_e32 v[2:3], s16, v[10:11]
	s_add_nc_u64 s[16:17], s[16:17], 8
	v_or_b32_e32 v28, v2, v28
	s_delay_alu instid0(VALU_DEP_2)
	v_or_b32_e32 v29, v3, v29
	s_cbranch_scc1 .LBB6_325
.LBB6_326:                              ;   in Loop: Header=BB6_280 Depth=1
	s_cbranch_execz .LBB6_328
	s_branch .LBB6_329
.LBB6_327:                              ;   in Loop: Header=BB6_280 Depth=1
.LBB6_328:                              ;   in Loop: Header=BB6_280 Depth=1
	global_load_b64 v[28:29], v11, s[0:1]
.LBB6_329:                              ;   in Loop: Header=BB6_280 Depth=1
	v_readfirstlane_b32 s0, v35
	v_mov_b32_e32 v2, 0
	v_mov_b32_e32 v3, 0
	s_wait_alu 0xf1ff
	s_delay_alu instid0(VALU_DEP_3) | instskip(NEXT) | instid1(VALU_DEP_1)
	v_cmp_eq_u32_e64 s0, s0, v35
	s_and_saveexec_b32 s1, s0
	s_cbranch_execz .LBB6_335
; %bb.330:                              ;   in Loop: Header=BB6_280 Depth=1
	global_load_b64 v[32:33], v11, s[2:3] offset:24 scope:SCOPE_SYS
	s_wait_loadcnt 0x0
	global_inv scope:SCOPE_SYS
	s_clause 0x1
	global_load_b64 v[2:3], v11, s[2:3] offset:40
	global_load_b64 v[9:10], v11, s[2:3]
	s_mov_b32 s16, exec_lo
	s_wait_loadcnt 0x1
	v_and_b32_e32 v3, v3, v33
	v_and_b32_e32 v2, v2, v32
	s_delay_alu instid0(VALU_DEP_2) | instskip(NEXT) | instid1(VALU_DEP_2)
	v_mul_lo_u32 v3, 24, v3
	v_mul_lo_u32 v14, 0, v2
	v_mul_hi_u32 v15, 24, v2
	v_mul_lo_u32 v2, 24, v2
	s_delay_alu instid0(VALU_DEP_3) | instskip(SKIP_1) | instid1(VALU_DEP_2)
	v_add_nc_u32_e32 v3, v3, v14
	s_wait_loadcnt 0x0
	v_add_co_u32 v2, vcc_lo, v9, v2
	s_delay_alu instid0(VALU_DEP_2) | instskip(SKIP_1) | instid1(VALU_DEP_1)
	v_add_nc_u32_e32 v3, v3, v15
	s_wait_alu 0xfffd
	v_add_co_ci_u32_e32 v3, vcc_lo, v10, v3, vcc_lo
	global_load_b64 v[30:31], v[2:3], off scope:SCOPE_SYS
	s_wait_loadcnt 0x0
	global_atomic_cmpswap_b64 v[2:3], v11, v[30:33], s[2:3] offset:24 th:TH_ATOMIC_RETURN scope:SCOPE_SYS
	s_wait_loadcnt 0x0
	global_inv scope:SCOPE_SYS
	v_cmpx_ne_u64_e64 v[2:3], v[32:33]
	s_cbranch_execz .LBB6_334
; %bb.331:                              ;   in Loop: Header=BB6_280 Depth=1
	s_mov_b32 s17, 0
.LBB6_332:                              ;   Parent Loop BB6_280 Depth=1
                                        ; =>  This Inner Loop Header: Depth=2
	s_sleep 1
	s_clause 0x1
	global_load_b64 v[9:10], v11, s[2:3] offset:40
	global_load_b64 v[14:15], v11, s[2:3]
	v_dual_mov_b32 v33, v3 :: v_dual_mov_b32 v32, v2
	s_wait_loadcnt 0x1
	s_delay_alu instid0(VALU_DEP_1) | instskip(NEXT) | instid1(VALU_DEP_2)
	v_and_b32_e32 v2, v9, v32
	v_and_b32_e32 v9, v10, v33
	s_wait_loadcnt 0x0
	s_delay_alu instid0(VALU_DEP_2) | instskip(NEXT) | instid1(VALU_DEP_1)
	v_mad_co_u64_u32 v[2:3], null, v2, 24, v[14:15]
	v_mad_co_u64_u32 v[9:10], null, v9, 24, v[3:4]
	s_delay_alu instid0(VALU_DEP_1)
	v_mov_b32_e32 v3, v9
	global_load_b64 v[30:31], v[2:3], off scope:SCOPE_SYS
	s_wait_loadcnt 0x0
	global_atomic_cmpswap_b64 v[2:3], v11, v[30:33], s[2:3] offset:24 th:TH_ATOMIC_RETURN scope:SCOPE_SYS
	s_wait_loadcnt 0x0
	global_inv scope:SCOPE_SYS
	v_cmp_eq_u64_e32 vcc_lo, v[2:3], v[32:33]
	s_wait_alu 0xfffe
	s_or_b32 s17, vcc_lo, s17
	s_wait_alu 0xfffe
	s_and_not1_b32 exec_lo, exec_lo, s17
	s_cbranch_execnz .LBB6_332
; %bb.333:                              ;   in Loop: Header=BB6_280 Depth=1
	s_or_b32 exec_lo, exec_lo, s17
.LBB6_334:                              ;   in Loop: Header=BB6_280 Depth=1
	s_wait_alu 0xfffe
	s_or_b32 exec_lo, exec_lo, s16
.LBB6_335:                              ;   in Loop: Header=BB6_280 Depth=1
	s_wait_alu 0xfffe
	s_or_b32 exec_lo, exec_lo, s1
	s_clause 0x1
	global_load_b64 v[9:10], v11, s[2:3] offset:40
	global_load_b128 v[30:33], v11, s[2:3]
	v_readfirstlane_b32 s1, v3
	v_readfirstlane_b32 s16, v2
	s_mov_b32 s17, exec_lo
	s_wait_loadcnt 0x1
	s_wait_alu 0xf1ff
	v_and_b32_e32 v15, s1, v10
	v_and_b32_e32 v14, s16, v9
	s_delay_alu instid0(VALU_DEP_2) | instskip(NEXT) | instid1(VALU_DEP_2)
	v_mul_lo_u32 v2, 24, v15
	v_mul_lo_u32 v3, 0, v14
	v_mul_hi_u32 v9, 24, v14
	v_mul_lo_u32 v10, 24, v14
	s_delay_alu instid0(VALU_DEP_3) | instskip(NEXT) | instid1(VALU_DEP_1)
	v_add_nc_u32_e32 v2, v2, v3
	v_add_nc_u32_e32 v3, v2, v9
	s_wait_loadcnt 0x0
	s_delay_alu instid0(VALU_DEP_3) | instskip(SKIP_1) | instid1(VALU_DEP_2)
	v_add_co_u32 v2, vcc_lo, v30, v10
	s_wait_alu 0xfffd
	v_add_co_ci_u32_e32 v3, vcc_lo, v31, v3, vcc_lo
	s_and_saveexec_b32 s18, s0
	s_cbranch_execz .LBB6_337
; %bb.336:                              ;   in Loop: Header=BB6_280 Depth=1
	s_wait_alu 0xfffe
	v_mov_b32_e32 v10, s17
	global_store_b128 v[2:3], v[10:13], off offset:8
.LBB6_337:                              ;   in Loop: Header=BB6_280 Depth=1
	s_wait_alu 0xfffe
	s_or_b32 exec_lo, exec_lo, s18
	v_cmp_gt_u64_e64 vcc_lo, s[6:7], 56
	v_lshlrev_b64_e32 v[9:10], 12, v[14:15]
	v_or_b32_e32 v39, 0, v8
	v_or_b32_e32 v48, v7, v36
	s_lshl_b32 s17, s10, 2
	s_wait_alu 0xfffe
	s_add_co_i32 s17, s17, 28
	s_wait_alu 0xfffd
	v_cndmask_b32_e32 v15, v39, v8, vcc_lo
	v_cndmask_b32_e32 v7, v48, v7, vcc_lo
	v_add_co_u32 v32, vcc_lo, v32, v9
	s_wait_alu 0xfffd
	v_add_co_ci_u32_e32 v33, vcc_lo, v33, v10, vcc_lo
	s_wait_alu 0xfffe
	s_and_b32 s17, s17, 0x1e0
	v_readfirstlane_b32 s18, v32
	s_wait_alu 0xfffe
	v_and_or_b32 v14, 0xffffff1f, v7, s17
	v_readfirstlane_b32 s19, v33
	s_clause 0x3
	global_store_b128 v34, v[14:17], s[18:19]
	global_store_b128 v34, v[18:21], s[18:19] offset:16
	global_store_b128 v34, v[22:25], s[18:19] offset:32
	;; [unrolled: 1-line block ×3, first 2 shown]
	s_and_saveexec_b32 s17, s0
	s_cbranch_execz .LBB6_345
; %bb.338:                              ;   in Loop: Header=BB6_280 Depth=1
	s_clause 0x1
	global_load_b64 v[18:19], v11, s[2:3] offset:32 scope:SCOPE_SYS
	global_load_b64 v[7:8], v11, s[2:3] offset:40
	s_mov_b32 s18, exec_lo
	v_dual_mov_b32 v16, s16 :: v_dual_mov_b32 v17, s1
	s_wait_loadcnt 0x0
	v_and_b32_e32 v8, s1, v8
	v_and_b32_e32 v7, s16, v7
	s_delay_alu instid0(VALU_DEP_2) | instskip(NEXT) | instid1(VALU_DEP_2)
	v_mul_lo_u32 v8, 24, v8
	v_mul_lo_u32 v9, 0, v7
	v_mul_hi_u32 v10, 24, v7
	v_mul_lo_u32 v7, 24, v7
	s_delay_alu instid0(VALU_DEP_3) | instskip(NEXT) | instid1(VALU_DEP_2)
	v_add_nc_u32_e32 v8, v8, v9
	v_add_co_u32 v14, vcc_lo, v30, v7
	s_delay_alu instid0(VALU_DEP_2) | instskip(SKIP_1) | instid1(VALU_DEP_1)
	v_add_nc_u32_e32 v8, v8, v10
	s_wait_alu 0xfffd
	v_add_co_ci_u32_e32 v15, vcc_lo, v31, v8, vcc_lo
	global_store_b64 v[14:15], v[18:19], off
	global_wb scope:SCOPE_SYS
	s_wait_storecnt 0x0
	global_atomic_cmpswap_b64 v[9:10], v11, v[16:19], s[2:3] offset:32 th:TH_ATOMIC_RETURN scope:SCOPE_SYS
	s_wait_loadcnt 0x0
	v_cmpx_ne_u64_e64 v[9:10], v[18:19]
	s_cbranch_execz .LBB6_341
; %bb.339:                              ;   in Loop: Header=BB6_280 Depth=1
	s_mov_b32 s19, 0
.LBB6_340:                              ;   Parent Loop BB6_280 Depth=1
                                        ; =>  This Inner Loop Header: Depth=2
	v_dual_mov_b32 v7, s16 :: v_dual_mov_b32 v8, s1
	s_sleep 1
	global_store_b64 v[14:15], v[9:10], off
	global_wb scope:SCOPE_SYS
	s_wait_storecnt 0x0
	global_atomic_cmpswap_b64 v[7:8], v11, v[7:10], s[2:3] offset:32 th:TH_ATOMIC_RETURN scope:SCOPE_SYS
	s_wait_loadcnt 0x0
	v_cmp_eq_u64_e32 vcc_lo, v[7:8], v[9:10]
	v_dual_mov_b32 v10, v8 :: v_dual_mov_b32 v9, v7
	s_wait_alu 0xfffe
	s_or_b32 s19, vcc_lo, s19
	s_wait_alu 0xfffe
	s_and_not1_b32 exec_lo, exec_lo, s19
	s_cbranch_execnz .LBB6_340
.LBB6_341:                              ;   in Loop: Header=BB6_280 Depth=1
	s_wait_alu 0xfffe
	s_or_b32 exec_lo, exec_lo, s18
	global_load_b64 v[7:8], v11, s[2:3] offset:16
	s_mov_b32 s19, exec_lo
	s_mov_b32 s18, exec_lo
	s_wait_alu 0xfffe
	v_mbcnt_lo_u32_b32 v9, s19, 0
	s_delay_alu instid0(VALU_DEP_1)
	v_cmpx_eq_u32_e32 0, v9
	s_cbranch_execz .LBB6_343
; %bb.342:                              ;   in Loop: Header=BB6_280 Depth=1
	s_bcnt1_i32_b32 s19, s19
	s_wait_alu 0xfffe
	v_mov_b32_e32 v10, s19
	global_wb scope:SCOPE_SYS
	s_wait_loadcnt 0x0
	global_atomic_add_u64 v[7:8], v[10:11], off offset:8 scope:SCOPE_SYS
.LBB6_343:                              ;   in Loop: Header=BB6_280 Depth=1
	s_or_b32 exec_lo, exec_lo, s18
	s_wait_loadcnt 0x0
	global_load_b64 v[14:15], v[7:8], off offset:16
	s_wait_loadcnt 0x0
	v_cmp_eq_u64_e32 vcc_lo, 0, v[14:15]
	s_cbranch_vccnz .LBB6_345
; %bb.344:                              ;   in Loop: Header=BB6_280 Depth=1
	global_load_b32 v10, v[7:8], off offset:24
	s_wait_loadcnt 0x0
	v_and_b32_e32 v7, 0xffffff, v10
	global_wb scope:SCOPE_SYS
	s_wait_storecnt 0x0
	global_store_b64 v[14:15], v[10:11], off scope:SCOPE_SYS
	v_readfirstlane_b32 m0, v7
	s_sendmsg sendmsg(MSG_INTERRUPT)
.LBB6_345:                              ;   in Loop: Header=BB6_280 Depth=1
	s_wait_alu 0xfffe
	s_or_b32 exec_lo, exec_lo, s17
	v_add_co_u32 v7, vcc_lo, v32, v34
	s_wait_alu 0xfffd
	v_add_co_ci_u32_e32 v8, vcc_lo, 0, v33, vcc_lo
	s_branch .LBB6_349
.LBB6_346:                              ;   in Loop: Header=BB6_349 Depth=2
	s_wait_alu 0xfffe
	s_or_b32 exec_lo, exec_lo, s17
	s_delay_alu instid0(VALU_DEP_1) | instskip(NEXT) | instid1(VALU_DEP_1)
	v_readfirstlane_b32 s17, v9
	s_cmp_eq_u32 s17, 0
	s_cbranch_scc1 .LBB6_348
; %bb.347:                              ;   in Loop: Header=BB6_349 Depth=2
	s_sleep 1
	s_cbranch_execnz .LBB6_349
	s_branch .LBB6_351
.LBB6_348:                              ;   in Loop: Header=BB6_280 Depth=1
	s_branch .LBB6_351
.LBB6_349:                              ;   Parent Loop BB6_280 Depth=1
                                        ; =>  This Inner Loop Header: Depth=2
	v_mov_b32_e32 v9, 1
	s_and_saveexec_b32 s17, s0
	s_cbranch_execz .LBB6_346
; %bb.350:                              ;   in Loop: Header=BB6_349 Depth=2
	global_load_b32 v9, v[2:3], off offset:20 scope:SCOPE_SYS
	s_wait_loadcnt 0x0
	global_inv scope:SCOPE_SYS
	v_and_b32_e32 v9, 1, v9
	s_branch .LBB6_346
.LBB6_351:                              ;   in Loop: Header=BB6_280 Depth=1
	global_load_b128 v[7:10], v[7:8], off
	s_and_saveexec_b32 s17, s0
	s_cbranch_execz .LBB6_279
; %bb.352:                              ;   in Loop: Header=BB6_280 Depth=1
	s_clause 0x2
	global_load_b64 v[2:3], v11, s[2:3] offset:40
	global_load_b64 v[9:10], v11, s[2:3] offset:24 scope:SCOPE_SYS
	global_load_b64 v[16:17], v11, s[2:3]
	s_wait_loadcnt 0x2
	v_add_co_u32 v18, vcc_lo, v2, 1
	s_wait_alu 0xfffd
	v_add_co_ci_u32_e32 v19, vcc_lo, 0, v3, vcc_lo
	s_delay_alu instid0(VALU_DEP_2) | instskip(SKIP_1) | instid1(VALU_DEP_2)
	v_add_co_u32 v14, vcc_lo, v18, s16
	s_wait_alu 0xfffd
	v_add_co_ci_u32_e32 v15, vcc_lo, s1, v19, vcc_lo
	s_delay_alu instid0(VALU_DEP_1) | instskip(SKIP_2) | instid1(VALU_DEP_1)
	v_cmp_eq_u64_e32 vcc_lo, 0, v[14:15]
	s_wait_alu 0xfffd
	v_dual_cndmask_b32 v15, v15, v19 :: v_dual_cndmask_b32 v14, v14, v18
	v_and_b32_e32 v3, v15, v3
	s_delay_alu instid0(VALU_DEP_2) | instskip(NEXT) | instid1(VALU_DEP_1)
	v_and_b32_e32 v2, v14, v2
	v_mul_lo_u32 v18, 0, v2
	v_mul_hi_u32 v19, 24, v2
	v_mul_lo_u32 v2, 24, v2
	s_wait_loadcnt 0x0
	s_delay_alu instid0(VALU_DEP_1) | instskip(SKIP_2) | instid1(VALU_DEP_1)
	v_add_co_u32 v2, vcc_lo, v16, v2
	v_mov_b32_e32 v16, v9
	v_mul_lo_u32 v3, 24, v3
	v_add_nc_u32_e32 v3, v3, v18
	s_delay_alu instid0(VALU_DEP_1) | instskip(SKIP_1) | instid1(VALU_DEP_1)
	v_add_nc_u32_e32 v3, v3, v19
	s_wait_alu 0xfffd
	v_add_co_ci_u32_e32 v3, vcc_lo, v17, v3, vcc_lo
	v_mov_b32_e32 v17, v10
	global_store_b64 v[2:3], v[9:10], off
	global_wb scope:SCOPE_SYS
	s_wait_storecnt 0x0
	global_atomic_cmpswap_b64 v[16:17], v11, v[14:17], s[2:3] offset:24 th:TH_ATOMIC_RETURN scope:SCOPE_SYS
	s_wait_loadcnt 0x0
	v_cmp_ne_u64_e32 vcc_lo, v[16:17], v[9:10]
	s_and_b32 exec_lo, exec_lo, vcc_lo
	s_cbranch_execz .LBB6_279
; %bb.353:                              ;   in Loop: Header=BB6_280 Depth=1
	s_mov_b32 s0, 0
.LBB6_354:                              ;   Parent Loop BB6_280 Depth=1
                                        ; =>  This Inner Loop Header: Depth=2
	s_sleep 1
	global_store_b64 v[2:3], v[16:17], off
	global_wb scope:SCOPE_SYS
	s_wait_storecnt 0x0
	global_atomic_cmpswap_b64 v[9:10], v11, v[14:17], s[2:3] offset:24 th:TH_ATOMIC_RETURN scope:SCOPE_SYS
	s_wait_loadcnt 0x0
	v_cmp_eq_u64_e32 vcc_lo, v[9:10], v[16:17]
	v_dual_mov_b32 v17, v10 :: v_dual_mov_b32 v16, v9
	s_wait_alu 0xfffe
	s_or_b32 s0, vcc_lo, s0
	s_wait_alu 0xfffe
	s_and_not1_b32 exec_lo, exec_lo, s0
	s_cbranch_execnz .LBB6_354
	s_branch .LBB6_279
.LBB6_355:
	s_branch .LBB6_384
.LBB6_356:
                                        ; implicit-def: $vgpr7_vgpr8
	s_cbranch_execz .LBB6_384
; %bb.357:
	v_readfirstlane_b32 s0, v35
	v_mov_b32_e32 v11, 0
	v_mov_b32_e32 v12, 0
	s_wait_alu 0xf1ff
	s_delay_alu instid0(VALU_DEP_3) | instskip(NEXT) | instid1(VALU_DEP_1)
	v_cmp_eq_u32_e64 s0, s0, v35
	s_and_saveexec_b32 s1, s0
	s_cbranch_execz .LBB6_363
; %bb.358:
	v_mov_b32_e32 v2, 0
	s_mov_b32 s4, exec_lo
	global_load_b64 v[9:10], v2, s[2:3] offset:24 scope:SCOPE_SYS
	s_wait_loadcnt 0x0
	global_inv scope:SCOPE_SYS
	s_clause 0x1
	global_load_b64 v[7:8], v2, s[2:3] offset:40
	global_load_b64 v[11:12], v2, s[2:3]
	s_wait_loadcnt 0x1
	v_and_b32_e32 v3, v8, v10
	v_and_b32_e32 v7, v7, v9
	s_delay_alu instid0(VALU_DEP_2) | instskip(NEXT) | instid1(VALU_DEP_2)
	v_mul_lo_u32 v3, 24, v3
	v_mul_lo_u32 v8, 0, v7
	v_mul_hi_u32 v13, 24, v7
	v_mul_lo_u32 v7, 24, v7
	s_delay_alu instid0(VALU_DEP_3) | instskip(SKIP_1) | instid1(VALU_DEP_2)
	v_add_nc_u32_e32 v3, v3, v8
	s_wait_loadcnt 0x0
	v_add_co_u32 v7, vcc_lo, v11, v7
	s_delay_alu instid0(VALU_DEP_2) | instskip(SKIP_1) | instid1(VALU_DEP_1)
	v_add_nc_u32_e32 v3, v3, v13
	s_wait_alu 0xfffd
	v_add_co_ci_u32_e32 v8, vcc_lo, v12, v3, vcc_lo
	global_load_b64 v[7:8], v[7:8], off scope:SCOPE_SYS
	s_wait_loadcnt 0x0
	global_atomic_cmpswap_b64 v[11:12], v2, v[7:10], s[2:3] offset:24 th:TH_ATOMIC_RETURN scope:SCOPE_SYS
	s_wait_loadcnt 0x0
	global_inv scope:SCOPE_SYS
	v_cmpx_ne_u64_e64 v[11:12], v[9:10]
	s_cbranch_execz .LBB6_362
; %bb.359:
	s_mov_b32 s5, 0
.LBB6_360:                              ; =>This Inner Loop Header: Depth=1
	s_sleep 1
	s_clause 0x1
	global_load_b64 v[7:8], v2, s[2:3] offset:40
	global_load_b64 v[13:14], v2, s[2:3]
	v_dual_mov_b32 v9, v11 :: v_dual_mov_b32 v10, v12
	s_wait_loadcnt 0x1
	s_delay_alu instid0(VALU_DEP_1) | instskip(NEXT) | instid1(VALU_DEP_2)
	v_and_b32_e32 v3, v7, v9
	v_and_b32_e32 v7, v8, v10
	s_wait_loadcnt 0x0
	s_delay_alu instid0(VALU_DEP_2) | instskip(NEXT) | instid1(VALU_DEP_1)
	v_mad_co_u64_u32 v[11:12], null, v3, 24, v[13:14]
	v_mov_b32_e32 v3, v12
	s_delay_alu instid0(VALU_DEP_1) | instskip(NEXT) | instid1(VALU_DEP_1)
	v_mad_co_u64_u32 v[7:8], null, v7, 24, v[3:4]
	v_mov_b32_e32 v12, v7
	global_load_b64 v[7:8], v[11:12], off scope:SCOPE_SYS
	s_wait_loadcnt 0x0
	global_atomic_cmpswap_b64 v[11:12], v2, v[7:10], s[2:3] offset:24 th:TH_ATOMIC_RETURN scope:SCOPE_SYS
	s_wait_loadcnt 0x0
	global_inv scope:SCOPE_SYS
	v_cmp_eq_u64_e32 vcc_lo, v[11:12], v[9:10]
	s_wait_alu 0xfffe
	s_or_b32 s5, vcc_lo, s5
	s_wait_alu 0xfffe
	s_and_not1_b32 exec_lo, exec_lo, s5
	s_cbranch_execnz .LBB6_360
; %bb.361:
	s_or_b32 exec_lo, exec_lo, s5
.LBB6_362:
	s_wait_alu 0xfffe
	s_or_b32 exec_lo, exec_lo, s4
.LBB6_363:
	s_wait_alu 0xfffe
	s_or_b32 exec_lo, exec_lo, s1
	v_readfirstlane_b32 s4, v11
	v_mov_b32_e32 v2, 0
	v_readfirstlane_b32 s1, v12
	s_mov_b32 s5, exec_lo
	s_clause 0x1
	global_load_b64 v[13:14], v2, s[2:3] offset:40
	global_load_b128 v[7:10], v2, s[2:3]
	s_wait_loadcnt 0x1
	s_wait_alu 0xf1ff
	v_and_b32_e32 v13, s4, v13
	v_and_b32_e32 v14, s1, v14
	s_delay_alu instid0(VALU_DEP_2) | instskip(NEXT) | instid1(VALU_DEP_2)
	v_mul_lo_u32 v11, 0, v13
	v_mul_lo_u32 v3, 24, v14
	v_mul_hi_u32 v12, 24, v13
	v_mul_lo_u32 v15, 24, v13
	s_delay_alu instid0(VALU_DEP_3) | instskip(SKIP_1) | instid1(VALU_DEP_2)
	v_add_nc_u32_e32 v3, v3, v11
	s_wait_loadcnt 0x0
	v_add_co_u32 v11, vcc_lo, v7, v15
	s_delay_alu instid0(VALU_DEP_2) | instskip(SKIP_1) | instid1(VALU_DEP_1)
	v_add_nc_u32_e32 v3, v3, v12
	s_wait_alu 0xfffd
	v_add_co_ci_u32_e32 v12, vcc_lo, v8, v3, vcc_lo
	s_and_saveexec_b32 s6, s0
	s_cbranch_execz .LBB6_365
; %bb.364:
	s_wait_alu 0xfffe
	v_dual_mov_b32 v15, s5 :: v_dual_mov_b32 v16, v2
	v_dual_mov_b32 v17, 2 :: v_dual_mov_b32 v18, 1
	global_store_b128 v[11:12], v[15:18], off offset:8
.LBB6_365:
	s_wait_alu 0xfffe
	s_or_b32 exec_lo, exec_lo, s6
	v_lshlrev_b64_e32 v[13:14], 12, v[13:14]
	s_mov_b32 s16, 0
	v_and_or_b32 v0, 0xffffff1f, v0, 32
	s_wait_alu 0xfffe
	s_mov_b32 s17, s16
	s_mov_b32 s18, s16
	;; [unrolled: 1-line block ×3, first 2 shown]
	v_add_co_u32 v9, vcc_lo, v9, v13
	s_wait_alu 0xfffd
	v_add_co_ci_u32_e32 v10, vcc_lo, v10, v14, vcc_lo
	v_mov_b32_e32 v3, v2
	s_delay_alu instid0(VALU_DEP_3) | instskip(SKIP_1) | instid1(VALU_DEP_4)
	v_readfirstlane_b32 s6, v9
	v_add_co_u32 v9, vcc_lo, v9, v34
	v_readfirstlane_b32 s7, v10
	s_wait_alu 0xfffe
	v_dual_mov_b32 v13, s16 :: v_dual_mov_b32 v16, s19
	s_wait_alu 0xfffd
	v_add_co_ci_u32_e32 v10, vcc_lo, 0, v10, vcc_lo
	v_dual_mov_b32 v14, s17 :: v_dual_mov_b32 v15, s18
	s_clause 0x3
	global_store_b128 v34, v[0:3], s[6:7]
	global_store_b128 v34, v[13:16], s[6:7] offset:16
	global_store_b128 v34, v[13:16], s[6:7] offset:32
	;; [unrolled: 1-line block ×3, first 2 shown]
	s_and_saveexec_b32 s5, s0
	s_cbranch_execz .LBB6_373
; %bb.366:
	v_mov_b32_e32 v13, 0
	v_mov_b32_e32 v15, s1
	s_mov_b32 s6, exec_lo
	s_clause 0x1
	global_load_b64 v[16:17], v13, s[2:3] offset:32 scope:SCOPE_SYS
	global_load_b64 v[0:1], v13, s[2:3] offset:40
	v_mov_b32_e32 v14, s4
	s_wait_loadcnt 0x0
	v_and_b32_e32 v0, s4, v0
	v_and_b32_e32 v1, s1, v1
	s_delay_alu instid0(VALU_DEP_2) | instskip(NEXT) | instid1(VALU_DEP_2)
	v_mul_lo_u32 v2, 0, v0
	v_mul_lo_u32 v1, 24, v1
	v_mul_hi_u32 v3, 24, v0
	v_mul_lo_u32 v0, 24, v0
	s_delay_alu instid0(VALU_DEP_3) | instskip(NEXT) | instid1(VALU_DEP_2)
	v_add_nc_u32_e32 v1, v1, v2
	v_add_co_u32 v7, vcc_lo, v7, v0
	s_delay_alu instid0(VALU_DEP_2) | instskip(SKIP_1) | instid1(VALU_DEP_1)
	v_add_nc_u32_e32 v1, v1, v3
	s_wait_alu 0xfffd
	v_add_co_ci_u32_e32 v8, vcc_lo, v8, v1, vcc_lo
	global_store_b64 v[7:8], v[16:17], off
	global_wb scope:SCOPE_SYS
	s_wait_storecnt 0x0
	global_atomic_cmpswap_b64 v[2:3], v13, v[14:17], s[2:3] offset:32 th:TH_ATOMIC_RETURN scope:SCOPE_SYS
	s_wait_loadcnt 0x0
	v_cmpx_ne_u64_e64 v[2:3], v[16:17]
	s_cbranch_execz .LBB6_369
; %bb.367:
	s_mov_b32 s7, 0
.LBB6_368:                              ; =>This Inner Loop Header: Depth=1
	v_dual_mov_b32 v0, s4 :: v_dual_mov_b32 v1, s1
	s_sleep 1
	global_store_b64 v[7:8], v[2:3], off
	global_wb scope:SCOPE_SYS
	s_wait_storecnt 0x0
	global_atomic_cmpswap_b64 v[0:1], v13, v[0:3], s[2:3] offset:32 th:TH_ATOMIC_RETURN scope:SCOPE_SYS
	s_wait_loadcnt 0x0
	v_cmp_eq_u64_e32 vcc_lo, v[0:1], v[2:3]
	v_dual_mov_b32 v3, v1 :: v_dual_mov_b32 v2, v0
	s_wait_alu 0xfffe
	s_or_b32 s7, vcc_lo, s7
	s_wait_alu 0xfffe
	s_and_not1_b32 exec_lo, exec_lo, s7
	s_cbranch_execnz .LBB6_368
.LBB6_369:
	s_wait_alu 0xfffe
	s_or_b32 exec_lo, exec_lo, s6
	v_mov_b32_e32 v3, 0
	s_mov_b32 s7, exec_lo
	s_mov_b32 s6, exec_lo
	s_wait_alu 0xfffe
	v_mbcnt_lo_u32_b32 v2, s7, 0
	global_load_b64 v[0:1], v3, s[2:3] offset:16
	v_cmpx_eq_u32_e32 0, v2
	s_cbranch_execz .LBB6_371
; %bb.370:
	s_bcnt1_i32_b32 s7, s7
	s_wait_alu 0xfffe
	v_mov_b32_e32 v2, s7
	global_wb scope:SCOPE_SYS
	s_wait_loadcnt 0x0
	global_atomic_add_u64 v[0:1], v[2:3], off offset:8 scope:SCOPE_SYS
.LBB6_371:
	s_or_b32 exec_lo, exec_lo, s6
	s_wait_loadcnt 0x0
	global_load_b64 v[2:3], v[0:1], off offset:16
	s_wait_loadcnt 0x0
	v_cmp_eq_u64_e32 vcc_lo, 0, v[2:3]
	s_cbranch_vccnz .LBB6_373
; %bb.372:
	global_load_b32 v0, v[0:1], off offset:24
	v_mov_b32_e32 v1, 0
	s_wait_loadcnt 0x0
	v_and_b32_e32 v7, 0xffffff, v0
	global_wb scope:SCOPE_SYS
	s_wait_storecnt 0x0
	global_store_b64 v[2:3], v[0:1], off scope:SCOPE_SYS
	v_readfirstlane_b32 m0, v7
	s_sendmsg sendmsg(MSG_INTERRUPT)
.LBB6_373:
	s_wait_alu 0xfffe
	s_or_b32 exec_lo, exec_lo, s5
	s_branch .LBB6_377
.LBB6_374:                              ;   in Loop: Header=BB6_377 Depth=1
	s_wait_alu 0xfffe
	s_or_b32 exec_lo, exec_lo, s5
	s_delay_alu instid0(VALU_DEP_1) | instskip(NEXT) | instid1(VALU_DEP_1)
	v_readfirstlane_b32 s5, v0
	s_cmp_eq_u32 s5, 0
	s_cbranch_scc1 .LBB6_376
; %bb.375:                              ;   in Loop: Header=BB6_377 Depth=1
	s_sleep 1
	s_cbranch_execnz .LBB6_377
	s_branch .LBB6_379
.LBB6_376:
	s_branch .LBB6_379
.LBB6_377:                              ; =>This Inner Loop Header: Depth=1
	v_mov_b32_e32 v0, 1
	s_and_saveexec_b32 s5, s0
	s_cbranch_execz .LBB6_374
; %bb.378:                              ;   in Loop: Header=BB6_377 Depth=1
	global_load_b32 v0, v[11:12], off offset:20 scope:SCOPE_SYS
	s_wait_loadcnt 0x0
	global_inv scope:SCOPE_SYS
	v_and_b32_e32 v0, 1, v0
	s_branch .LBB6_374
.LBB6_379:
	global_load_b64 v[7:8], v[9:10], off
	s_and_saveexec_b32 s5, s0
	s_cbranch_execz .LBB6_383
; %bb.380:
	v_mov_b32_e32 v11, 0
	s_clause 0x2
	global_load_b64 v[2:3], v11, s[2:3] offset:40
	global_load_b64 v[12:13], v11, s[2:3] offset:24 scope:SCOPE_SYS
	global_load_b64 v[9:10], v11, s[2:3]
	s_wait_loadcnt 0x2
	v_add_co_u32 v14, vcc_lo, v2, 1
	s_wait_alu 0xfffd
	v_add_co_ci_u32_e32 v15, vcc_lo, 0, v3, vcc_lo
	s_delay_alu instid0(VALU_DEP_2) | instskip(SKIP_1) | instid1(VALU_DEP_2)
	v_add_co_u32 v0, vcc_lo, v14, s4
	s_wait_alu 0xfffd
	v_add_co_ci_u32_e32 v1, vcc_lo, s1, v15, vcc_lo
	s_delay_alu instid0(VALU_DEP_1) | instskip(SKIP_2) | instid1(VALU_DEP_1)
	v_cmp_eq_u64_e32 vcc_lo, 0, v[0:1]
	s_wait_alu 0xfffd
	v_dual_cndmask_b32 v0, v0, v14 :: v_dual_cndmask_b32 v1, v1, v15
	v_and_b32_e32 v2, v0, v2
	s_delay_alu instid0(VALU_DEP_2) | instskip(NEXT) | instid1(VALU_DEP_2)
	v_and_b32_e32 v3, v1, v3
	v_mul_lo_u32 v14, 0, v2
	v_mul_hi_u32 v15, 24, v2
	v_mul_lo_u32 v2, 24, v2
	s_wait_loadcnt 0x0
	s_delay_alu instid0(VALU_DEP_1) | instskip(SKIP_2) | instid1(VALU_DEP_1)
	v_add_co_u32 v9, vcc_lo, v9, v2
	v_mov_b32_e32 v2, v12
	v_mul_lo_u32 v3, 24, v3
	v_add_nc_u32_e32 v3, v3, v14
	s_delay_alu instid0(VALU_DEP_1) | instskip(SKIP_1) | instid1(VALU_DEP_1)
	v_add_nc_u32_e32 v3, v3, v15
	s_wait_alu 0xfffd
	v_add_co_ci_u32_e32 v10, vcc_lo, v10, v3, vcc_lo
	v_mov_b32_e32 v3, v13
	global_store_b64 v[9:10], v[12:13], off
	global_wb scope:SCOPE_SYS
	s_wait_storecnt 0x0
	global_atomic_cmpswap_b64 v[2:3], v11, v[0:3], s[2:3] offset:24 th:TH_ATOMIC_RETURN scope:SCOPE_SYS
	s_wait_loadcnt 0x0
	v_cmp_ne_u64_e32 vcc_lo, v[2:3], v[12:13]
	s_and_b32 exec_lo, exec_lo, vcc_lo
	s_cbranch_execz .LBB6_383
; %bb.381:
	s_mov_b32 s0, 0
.LBB6_382:                              ; =>This Inner Loop Header: Depth=1
	s_sleep 1
	global_store_b64 v[9:10], v[2:3], off
	global_wb scope:SCOPE_SYS
	s_wait_storecnt 0x0
	global_atomic_cmpswap_b64 v[12:13], v11, v[0:3], s[2:3] offset:24 th:TH_ATOMIC_RETURN scope:SCOPE_SYS
	s_wait_loadcnt 0x0
	v_cmp_eq_u64_e32 vcc_lo, v[12:13], v[2:3]
	v_dual_mov_b32 v2, v12 :: v_dual_mov_b32 v3, v13
	s_wait_alu 0xfffe
	s_or_b32 s0, vcc_lo, s0
	s_wait_alu 0xfffe
	s_and_not1_b32 exec_lo, exec_lo, s0
	s_cbranch_execnz .LBB6_382
.LBB6_383:
	s_wait_alu 0xfffe
	s_or_b32 exec_lo, exec_lo, s5
.LBB6_384:
	v_readfirstlane_b32 s0, v35
	v_mov_b32_e32 v11, 0
	v_mov_b32_e32 v12, 0
	s_wait_alu 0xf1ff
	s_delay_alu instid0(VALU_DEP_3) | instskip(NEXT) | instid1(VALU_DEP_1)
	v_cmp_eq_u32_e64 s0, s0, v35
	s_and_saveexec_b32 s1, s0
	s_cbranch_execz .LBB6_390
; %bb.385:
	s_wait_loadcnt 0x0
	v_mov_b32_e32 v0, 0
	s_mov_b32 s4, exec_lo
	global_load_b64 v[13:14], v0, s[2:3] offset:24 scope:SCOPE_SYS
	s_wait_loadcnt 0x0
	global_inv scope:SCOPE_SYS
	s_clause 0x1
	global_load_b64 v[1:2], v0, s[2:3] offset:40
	global_load_b64 v[9:10], v0, s[2:3]
	s_wait_loadcnt 0x1
	v_and_b32_e32 v1, v1, v13
	v_and_b32_e32 v2, v2, v14
	s_delay_alu instid0(VALU_DEP_2) | instskip(NEXT) | instid1(VALU_DEP_2)
	v_mul_lo_u32 v3, 0, v1
	v_mul_lo_u32 v2, 24, v2
	v_mul_hi_u32 v11, 24, v1
	v_mul_lo_u32 v1, 24, v1
	s_delay_alu instid0(VALU_DEP_3) | instskip(SKIP_1) | instid1(VALU_DEP_2)
	v_add_nc_u32_e32 v2, v2, v3
	s_wait_loadcnt 0x0
	v_add_co_u32 v1, vcc_lo, v9, v1
	s_delay_alu instid0(VALU_DEP_2) | instskip(SKIP_1) | instid1(VALU_DEP_1)
	v_add_nc_u32_e32 v2, v2, v11
	s_wait_alu 0xfffd
	v_add_co_ci_u32_e32 v2, vcc_lo, v10, v2, vcc_lo
	global_load_b64 v[11:12], v[1:2], off scope:SCOPE_SYS
	s_wait_loadcnt 0x0
	global_atomic_cmpswap_b64 v[11:12], v0, v[11:14], s[2:3] offset:24 th:TH_ATOMIC_RETURN scope:SCOPE_SYS
	s_wait_loadcnt 0x0
	global_inv scope:SCOPE_SYS
	v_cmpx_ne_u64_e64 v[11:12], v[13:14]
	s_cbranch_execz .LBB6_389
; %bb.386:
	s_mov_b32 s5, 0
.LBB6_387:                              ; =>This Inner Loop Header: Depth=1
	s_sleep 1
	s_clause 0x1
	global_load_b64 v[1:2], v0, s[2:3] offset:40
	global_load_b64 v[9:10], v0, s[2:3]
	v_dual_mov_b32 v14, v12 :: v_dual_mov_b32 v13, v11
	s_wait_loadcnt 0x1
	s_delay_alu instid0(VALU_DEP_1) | instskip(NEXT) | instid1(VALU_DEP_2)
	v_and_b32_e32 v1, v1, v13
	v_and_b32_e32 v2, v2, v14
	s_wait_loadcnt 0x0
	s_delay_alu instid0(VALU_DEP_2) | instskip(NEXT) | instid1(VALU_DEP_1)
	v_mad_co_u64_u32 v[9:10], null, v1, 24, v[9:10]
	v_mov_b32_e32 v1, v10
	s_delay_alu instid0(VALU_DEP_1) | instskip(NEXT) | instid1(VALU_DEP_1)
	v_mad_co_u64_u32 v[1:2], null, v2, 24, v[1:2]
	v_mov_b32_e32 v10, v1
	global_load_b64 v[11:12], v[9:10], off scope:SCOPE_SYS
	s_wait_loadcnt 0x0
	global_atomic_cmpswap_b64 v[11:12], v0, v[11:14], s[2:3] offset:24 th:TH_ATOMIC_RETURN scope:SCOPE_SYS
	s_wait_loadcnt 0x0
	global_inv scope:SCOPE_SYS
	v_cmp_eq_u64_e32 vcc_lo, v[11:12], v[13:14]
	s_wait_alu 0xfffe
	s_or_b32 s5, vcc_lo, s5
	s_wait_alu 0xfffe
	s_and_not1_b32 exec_lo, exec_lo, s5
	s_cbranch_execnz .LBB6_387
; %bb.388:
	s_or_b32 exec_lo, exec_lo, s5
.LBB6_389:
	s_wait_alu 0xfffe
	s_or_b32 exec_lo, exec_lo, s4
.LBB6_390:
	s_wait_alu 0xfffe
	s_or_b32 exec_lo, exec_lo, s1
	v_readfirstlane_b32 s4, v11
	s_wait_loadcnt 0x0
	v_mov_b32_e32 v10, 0
	v_readfirstlane_b32 s1, v12
	s_mov_b32 s5, exec_lo
	s_clause 0x1
	global_load_b64 v[13:14], v10, s[2:3] offset:40
	global_load_b128 v[0:3], v10, s[2:3]
	s_wait_loadcnt 0x1
	s_wait_alu 0xf1ff
	v_and_b32_e32 v13, s4, v13
	v_and_b32_e32 v14, s1, v14
	s_delay_alu instid0(VALU_DEP_2) | instskip(NEXT) | instid1(VALU_DEP_2)
	v_mul_lo_u32 v11, 0, v13
	v_mul_lo_u32 v9, 24, v14
	v_mul_hi_u32 v12, 24, v13
	v_mul_lo_u32 v15, 24, v13
	s_delay_alu instid0(VALU_DEP_3) | instskip(SKIP_1) | instid1(VALU_DEP_2)
	v_add_nc_u32_e32 v9, v9, v11
	s_wait_loadcnt 0x0
	v_add_co_u32 v11, vcc_lo, v0, v15
	s_delay_alu instid0(VALU_DEP_2) | instskip(SKIP_1) | instid1(VALU_DEP_1)
	v_add_nc_u32_e32 v9, v9, v12
	s_wait_alu 0xfffd
	v_add_co_ci_u32_e32 v12, vcc_lo, v1, v9, vcc_lo
	s_and_saveexec_b32 s6, s0
	s_cbranch_execz .LBB6_392
; %bb.391:
	s_wait_alu 0xfffe
	v_dual_mov_b32 v9, s5 :: v_dual_mov_b32 v18, 1
	v_dual_mov_b32 v17, 2 :: v_dual_mov_b32 v16, v10
	s_delay_alu instid0(VALU_DEP_2)
	v_mov_b32_e32 v15, v9
	global_store_b128 v[11:12], v[15:18], off offset:8
.LBB6_392:
	s_wait_alu 0xfffe
	s_or_b32 exec_lo, exec_lo, s6
	v_lshlrev_b64_e32 v[13:14], 12, v[13:14]
	s_mov_b32 s16, 0
	v_and_or_b32 v7, 0xffffff1d, v7, 34
	s_wait_alu 0xfffe
	s_mov_b32 s17, s16
	s_mov_b32 s18, s16
	;; [unrolled: 1-line block ×3, first 2 shown]
	v_add_co_u32 v2, vcc_lo, v2, v13
	s_wait_alu 0xfffd
	v_add_co_ci_u32_e32 v3, vcc_lo, v3, v14, vcc_lo
	v_mov_b32_e32 v9, 10
	s_delay_alu instid0(VALU_DEP_3)
	v_readfirstlane_b32 s6, v2
	s_wait_alu 0xfffe
	v_dual_mov_b32 v13, s16 :: v_dual_mov_b32 v16, s19
	v_readfirstlane_b32 s7, v3
	v_dual_mov_b32 v14, s17 :: v_dual_mov_b32 v15, s18
	s_clause 0x3
	global_store_b128 v34, v[7:10], s[6:7]
	global_store_b128 v34, v[13:16], s[6:7] offset:16
	global_store_b128 v34, v[13:16], s[6:7] offset:32
	global_store_b128 v34, v[13:16], s[6:7] offset:48
	s_and_saveexec_b32 s5, s0
	s_cbranch_execz .LBB6_400
; %bb.393:
	v_mov_b32_e32 v9, 0
	v_mov_b32_e32 v13, s4
	s_mov_b32 s6, exec_lo
	s_clause 0x1
	global_load_b64 v[15:16], v9, s[2:3] offset:32 scope:SCOPE_SYS
	global_load_b64 v[2:3], v9, s[2:3] offset:40
	v_mov_b32_e32 v14, s1
	s_wait_loadcnt 0x0
	v_and_b32_e32 v2, s4, v2
	v_and_b32_e32 v3, s1, v3
	s_delay_alu instid0(VALU_DEP_2) | instskip(NEXT) | instid1(VALU_DEP_2)
	v_mul_lo_u32 v7, 0, v2
	v_mul_lo_u32 v3, 24, v3
	v_mul_hi_u32 v8, 24, v2
	v_mul_lo_u32 v2, 24, v2
	s_delay_alu instid0(VALU_DEP_3) | instskip(NEXT) | instid1(VALU_DEP_2)
	v_add_nc_u32_e32 v3, v3, v7
	v_add_co_u32 v7, vcc_lo, v0, v2
	s_delay_alu instid0(VALU_DEP_2) | instskip(SKIP_1) | instid1(VALU_DEP_1)
	v_add_nc_u32_e32 v3, v3, v8
	s_wait_alu 0xfffd
	v_add_co_ci_u32_e32 v8, vcc_lo, v1, v3, vcc_lo
	global_store_b64 v[7:8], v[15:16], off
	global_wb scope:SCOPE_SYS
	s_wait_storecnt 0x0
	global_atomic_cmpswap_b64 v[2:3], v9, v[13:16], s[2:3] offset:32 th:TH_ATOMIC_RETURN scope:SCOPE_SYS
	s_wait_loadcnt 0x0
	v_cmpx_ne_u64_e64 v[2:3], v[15:16]
	s_cbranch_execz .LBB6_396
; %bb.394:
	s_mov_b32 s7, 0
.LBB6_395:                              ; =>This Inner Loop Header: Depth=1
	v_dual_mov_b32 v0, s4 :: v_dual_mov_b32 v1, s1
	s_sleep 1
	global_store_b64 v[7:8], v[2:3], off
	global_wb scope:SCOPE_SYS
	s_wait_storecnt 0x0
	global_atomic_cmpswap_b64 v[0:1], v9, v[0:3], s[2:3] offset:32 th:TH_ATOMIC_RETURN scope:SCOPE_SYS
	s_wait_loadcnt 0x0
	v_cmp_eq_u64_e32 vcc_lo, v[0:1], v[2:3]
	v_dual_mov_b32 v3, v1 :: v_dual_mov_b32 v2, v0
	s_wait_alu 0xfffe
	s_or_b32 s7, vcc_lo, s7
	s_wait_alu 0xfffe
	s_and_not1_b32 exec_lo, exec_lo, s7
	s_cbranch_execnz .LBB6_395
.LBB6_396:
	s_wait_alu 0xfffe
	s_or_b32 exec_lo, exec_lo, s6
	v_mov_b32_e32 v3, 0
	s_mov_b32 s7, exec_lo
	s_mov_b32 s6, exec_lo
	s_wait_alu 0xfffe
	v_mbcnt_lo_u32_b32 v2, s7, 0
	global_load_b64 v[0:1], v3, s[2:3] offset:16
	v_cmpx_eq_u32_e32 0, v2
	s_cbranch_execz .LBB6_398
; %bb.397:
	s_bcnt1_i32_b32 s7, s7
	s_wait_alu 0xfffe
	v_mov_b32_e32 v2, s7
	global_wb scope:SCOPE_SYS
	s_wait_loadcnt 0x0
	global_atomic_add_u64 v[0:1], v[2:3], off offset:8 scope:SCOPE_SYS
.LBB6_398:
	s_or_b32 exec_lo, exec_lo, s6
	s_wait_loadcnt 0x0
	global_load_b64 v[2:3], v[0:1], off offset:16
	s_wait_loadcnt 0x0
	v_cmp_eq_u64_e32 vcc_lo, 0, v[2:3]
	s_cbranch_vccnz .LBB6_400
; %bb.399:
	global_load_b32 v0, v[0:1], off offset:24
	v_mov_b32_e32 v1, 0
	s_wait_loadcnt 0x0
	v_and_b32_e32 v7, 0xffffff, v0
	global_wb scope:SCOPE_SYS
	s_wait_storecnt 0x0
	global_store_b64 v[2:3], v[0:1], off scope:SCOPE_SYS
	v_readfirstlane_b32 m0, v7
	s_sendmsg sendmsg(MSG_INTERRUPT)
.LBB6_400:
	s_wait_alu 0xfffe
	s_or_b32 exec_lo, exec_lo, s5
	s_branch .LBB6_404
.LBB6_401:                              ;   in Loop: Header=BB6_404 Depth=1
	s_wait_alu 0xfffe
	s_or_b32 exec_lo, exec_lo, s5
	s_delay_alu instid0(VALU_DEP_1) | instskip(NEXT) | instid1(VALU_DEP_1)
	v_readfirstlane_b32 s5, v0
	s_cmp_eq_u32 s5, 0
	s_cbranch_scc1 .LBB6_403
; %bb.402:                              ;   in Loop: Header=BB6_404 Depth=1
	s_sleep 1
	s_cbranch_execnz .LBB6_404
	s_branch .LBB6_406
.LBB6_403:
	s_branch .LBB6_406
.LBB6_404:                              ; =>This Inner Loop Header: Depth=1
	v_mov_b32_e32 v0, 1
	s_and_saveexec_b32 s5, s0
	s_cbranch_execz .LBB6_401
; %bb.405:                              ;   in Loop: Header=BB6_404 Depth=1
	global_load_b32 v0, v[11:12], off offset:20 scope:SCOPE_SYS
	s_wait_loadcnt 0x0
	global_inv scope:SCOPE_SYS
	v_and_b32_e32 v0, 1, v0
	s_branch .LBB6_401
.LBB6_406:
	s_and_saveexec_b32 s5, s0
	s_cbranch_execz .LBB6_410
; %bb.407:
	v_mov_b32_e32 v9, 0
	s_clause 0x2
	global_load_b64 v[2:3], v9, s[2:3] offset:40
	global_load_b64 v[10:11], v9, s[2:3] offset:24 scope:SCOPE_SYS
	global_load_b64 v[7:8], v9, s[2:3]
	s_wait_loadcnt 0x2
	v_add_co_u32 v12, vcc_lo, v2, 1
	s_wait_alu 0xfffd
	v_add_co_ci_u32_e32 v13, vcc_lo, 0, v3, vcc_lo
	s_delay_alu instid0(VALU_DEP_2) | instskip(SKIP_1) | instid1(VALU_DEP_2)
	v_add_co_u32 v0, vcc_lo, v12, s4
	s_wait_alu 0xfffd
	v_add_co_ci_u32_e32 v1, vcc_lo, s1, v13, vcc_lo
	s_delay_alu instid0(VALU_DEP_1) | instskip(SKIP_2) | instid1(VALU_DEP_1)
	v_cmp_eq_u64_e32 vcc_lo, 0, v[0:1]
	s_wait_alu 0xfffd
	v_dual_cndmask_b32 v0, v0, v12 :: v_dual_cndmask_b32 v1, v1, v13
	v_and_b32_e32 v2, v0, v2
	s_delay_alu instid0(VALU_DEP_2) | instskip(NEXT) | instid1(VALU_DEP_2)
	v_and_b32_e32 v3, v1, v3
	v_mul_lo_u32 v12, 0, v2
	v_mul_hi_u32 v13, 24, v2
	v_mul_lo_u32 v2, 24, v2
	s_wait_loadcnt 0x0
	s_delay_alu instid0(VALU_DEP_1) | instskip(SKIP_2) | instid1(VALU_DEP_1)
	v_add_co_u32 v7, vcc_lo, v7, v2
	v_mov_b32_e32 v2, v10
	v_mul_lo_u32 v3, 24, v3
	v_add_nc_u32_e32 v3, v3, v12
	s_delay_alu instid0(VALU_DEP_1) | instskip(SKIP_1) | instid1(VALU_DEP_1)
	v_add_nc_u32_e32 v3, v3, v13
	s_wait_alu 0xfffd
	v_add_co_ci_u32_e32 v8, vcc_lo, v8, v3, vcc_lo
	v_mov_b32_e32 v3, v11
	global_store_b64 v[7:8], v[10:11], off
	global_wb scope:SCOPE_SYS
	s_wait_storecnt 0x0
	global_atomic_cmpswap_b64 v[2:3], v9, v[0:3], s[2:3] offset:24 th:TH_ATOMIC_RETURN scope:SCOPE_SYS
	s_wait_loadcnt 0x0
	v_cmp_ne_u64_e32 vcc_lo, v[2:3], v[10:11]
	s_and_b32 exec_lo, exec_lo, vcc_lo
	s_cbranch_execz .LBB6_410
; %bb.408:
	s_mov_b32 s0, 0
.LBB6_409:                              ; =>This Inner Loop Header: Depth=1
	s_sleep 1
	global_store_b64 v[7:8], v[2:3], off
	global_wb scope:SCOPE_SYS
	s_wait_storecnt 0x0
	global_atomic_cmpswap_b64 v[10:11], v9, v[0:3], s[2:3] offset:24 th:TH_ATOMIC_RETURN scope:SCOPE_SYS
	s_wait_loadcnt 0x0
	v_cmp_eq_u64_e32 vcc_lo, v[10:11], v[2:3]
	v_dual_mov_b32 v2, v10 :: v_dual_mov_b32 v3, v11
	s_wait_alu 0xfffe
	s_or_b32 s0, vcc_lo, s0
	s_wait_alu 0xfffe
	s_and_not1_b32 exec_lo, exec_lo, s0
	s_cbranch_execnz .LBB6_409
.LBB6_410:
	s_wait_alu 0xfffe
	s_or_b32 exec_lo, exec_lo, s5
	v_readfirstlane_b32 s0, v35
	v_mov_b32_e32 v9, 0
	v_mov_b32_e32 v10, 0
	s_wait_alu 0xf1ff
	s_delay_alu instid0(VALU_DEP_3) | instskip(NEXT) | instid1(VALU_DEP_1)
	v_cmp_eq_u32_e64 s0, s0, v35
	s_and_saveexec_b32 s1, s0
	s_cbranch_execz .LBB6_416
; %bb.411:
	v_mov_b32_e32 v0, 0
	s_mov_b32 s4, exec_lo
	global_load_b64 v[11:12], v0, s[2:3] offset:24 scope:SCOPE_SYS
	s_wait_loadcnt 0x0
	global_inv scope:SCOPE_SYS
	s_clause 0x1
	global_load_b64 v[1:2], v0, s[2:3] offset:40
	global_load_b64 v[7:8], v0, s[2:3]
	s_wait_loadcnt 0x1
	v_and_b32_e32 v1, v1, v11
	v_and_b32_e32 v2, v2, v12
	s_delay_alu instid0(VALU_DEP_2) | instskip(NEXT) | instid1(VALU_DEP_2)
	v_mul_lo_u32 v3, 0, v1
	v_mul_lo_u32 v2, 24, v2
	v_mul_hi_u32 v9, 24, v1
	v_mul_lo_u32 v1, 24, v1
	s_delay_alu instid0(VALU_DEP_3) | instskip(SKIP_1) | instid1(VALU_DEP_2)
	v_add_nc_u32_e32 v2, v2, v3
	s_wait_loadcnt 0x0
	v_add_co_u32 v1, vcc_lo, v7, v1
	s_delay_alu instid0(VALU_DEP_2) | instskip(SKIP_1) | instid1(VALU_DEP_1)
	v_add_nc_u32_e32 v2, v2, v9
	s_wait_alu 0xfffd
	v_add_co_ci_u32_e32 v2, vcc_lo, v8, v2, vcc_lo
	global_load_b64 v[9:10], v[1:2], off scope:SCOPE_SYS
	s_wait_loadcnt 0x0
	global_atomic_cmpswap_b64 v[9:10], v0, v[9:12], s[2:3] offset:24 th:TH_ATOMIC_RETURN scope:SCOPE_SYS
	s_wait_loadcnt 0x0
	global_inv scope:SCOPE_SYS
	v_cmpx_ne_u64_e64 v[9:10], v[11:12]
	s_cbranch_execz .LBB6_415
; %bb.412:
	s_mov_b32 s5, 0
.LBB6_413:                              ; =>This Inner Loop Header: Depth=1
	s_sleep 1
	s_clause 0x1
	global_load_b64 v[1:2], v0, s[2:3] offset:40
	global_load_b64 v[7:8], v0, s[2:3]
	v_dual_mov_b32 v12, v10 :: v_dual_mov_b32 v11, v9
	s_wait_loadcnt 0x1
	s_delay_alu instid0(VALU_DEP_1) | instskip(SKIP_1) | instid1(VALU_DEP_1)
	v_and_b32_e32 v1, v1, v11
	s_wait_loadcnt 0x0
	v_mad_co_u64_u32 v[7:8], null, v1, 24, v[7:8]
	s_delay_alu instid0(VALU_DEP_1) | instskip(NEXT) | instid1(VALU_DEP_1)
	v_dual_mov_b32 v1, v8 :: v_dual_and_b32 v2, v2, v12
	v_mad_co_u64_u32 v[1:2], null, v2, 24, v[1:2]
	s_delay_alu instid0(VALU_DEP_1)
	v_mov_b32_e32 v8, v1
	global_load_b64 v[9:10], v[7:8], off scope:SCOPE_SYS
	s_wait_loadcnt 0x0
	global_atomic_cmpswap_b64 v[9:10], v0, v[9:12], s[2:3] offset:24 th:TH_ATOMIC_RETURN scope:SCOPE_SYS
	s_wait_loadcnt 0x0
	global_inv scope:SCOPE_SYS
	v_cmp_eq_u64_e32 vcc_lo, v[9:10], v[11:12]
	s_wait_alu 0xfffe
	s_or_b32 s5, vcc_lo, s5
	s_wait_alu 0xfffe
	s_and_not1_b32 exec_lo, exec_lo, s5
	s_cbranch_execnz .LBB6_413
; %bb.414:
	s_or_b32 exec_lo, exec_lo, s5
.LBB6_415:
	s_wait_alu 0xfffe
	s_or_b32 exec_lo, exec_lo, s4
.LBB6_416:
	s_wait_alu 0xfffe
	s_or_b32 exec_lo, exec_lo, s1
	v_readfirstlane_b32 s4, v9
	v_mov_b32_e32 v8, 0
	v_readfirstlane_b32 s1, v10
	s_mov_b32 s5, exec_lo
	s_clause 0x1
	global_load_b64 v[11:12], v8, s[2:3] offset:40
	global_load_b128 v[0:3], v8, s[2:3]
	s_wait_loadcnt 0x1
	s_wait_alu 0xf1ff
	v_and_b32_e32 v13, s4, v11
	v_and_b32_e32 v14, s1, v12
	s_delay_alu instid0(VALU_DEP_2) | instskip(NEXT) | instid1(VALU_DEP_2)
	v_mul_lo_u32 v9, 0, v13
	v_mul_lo_u32 v7, 24, v14
	v_mul_hi_u32 v10, 24, v13
	v_mul_lo_u32 v11, 24, v13
	s_delay_alu instid0(VALU_DEP_3) | instskip(SKIP_1) | instid1(VALU_DEP_2)
	v_add_nc_u32_e32 v7, v7, v9
	s_wait_loadcnt 0x0
	v_add_co_u32 v11, vcc_lo, v0, v11
	s_delay_alu instid0(VALU_DEP_2) | instskip(SKIP_1) | instid1(VALU_DEP_1)
	v_add_nc_u32_e32 v7, v7, v10
	s_wait_alu 0xfffd
	v_add_co_ci_u32_e32 v12, vcc_lo, v1, v7, vcc_lo
	s_and_saveexec_b32 s6, s0
	s_cbranch_execz .LBB6_418
; %bb.417:
	s_wait_alu 0xfffe
	v_dual_mov_b32 v7, s5 :: v_dual_mov_b32 v10, 1
	v_mov_b32_e32 v9, 2
	global_store_b128 v[11:12], v[7:10], off offset:8
.LBB6_418:
	s_wait_alu 0xfffe
	s_or_b32 exec_lo, exec_lo, s6
	v_lshlrev_b64_e32 v[13:14], 12, v[13:14]
	s_mov_b32 s16, 0
	v_dual_mov_b32 v7, 33 :: v_dual_mov_b32 v10, v8
	s_wait_alu 0xfffe
	s_mov_b32 s17, s16
	s_mov_b32 s18, s16
	v_add_co_u32 v2, vcc_lo, v2, v13
	s_wait_alu 0xfffd
	v_add_co_ci_u32_e32 v3, vcc_lo, v3, v14, vcc_lo
	s_mov_b32 s19, s16
	s_delay_alu instid0(VALU_DEP_2)
	v_add_co_u32 v13, vcc_lo, v2, v34
	v_mov_b32_e32 v9, v8
	v_readfirstlane_b32 s6, v2
	v_readfirstlane_b32 s7, v3
	s_wait_alu 0xfffe
	v_dual_mov_b32 v15, s16 :: v_dual_mov_b32 v18, s19
	s_wait_alu 0xfffd
	v_add_co_ci_u32_e32 v14, vcc_lo, 0, v3, vcc_lo
	v_dual_mov_b32 v16, s17 :: v_dual_mov_b32 v17, s18
	s_clause 0x3
	global_store_b128 v34, v[7:10], s[6:7]
	global_store_b128 v34, v[15:18], s[6:7] offset:16
	global_store_b128 v34, v[15:18], s[6:7] offset:32
	;; [unrolled: 1-line block ×3, first 2 shown]
	s_and_saveexec_b32 s5, s0
	s_cbranch_execz .LBB6_426
; %bb.419:
	v_mov_b32_e32 v9, 0
	v_mov_b32_e32 v15, s4
	s_mov_b32 s6, exec_lo
	s_clause 0x1
	global_load_b64 v[17:18], v9, s[2:3] offset:32 scope:SCOPE_SYS
	global_load_b64 v[2:3], v9, s[2:3] offset:40
	v_mov_b32_e32 v16, s1
	s_wait_loadcnt 0x0
	v_and_b32_e32 v2, s4, v2
	v_and_b32_e32 v3, s1, v3
	s_delay_alu instid0(VALU_DEP_2) | instskip(NEXT) | instid1(VALU_DEP_2)
	v_mul_lo_u32 v7, 0, v2
	v_mul_lo_u32 v3, 24, v3
	v_mul_hi_u32 v8, 24, v2
	v_mul_lo_u32 v2, 24, v2
	s_delay_alu instid0(VALU_DEP_3) | instskip(NEXT) | instid1(VALU_DEP_2)
	v_add_nc_u32_e32 v3, v3, v7
	v_add_co_u32 v7, vcc_lo, v0, v2
	s_delay_alu instid0(VALU_DEP_2) | instskip(SKIP_1) | instid1(VALU_DEP_1)
	v_add_nc_u32_e32 v3, v3, v8
	s_wait_alu 0xfffd
	v_add_co_ci_u32_e32 v8, vcc_lo, v1, v3, vcc_lo
	global_store_b64 v[7:8], v[17:18], off
	global_wb scope:SCOPE_SYS
	s_wait_storecnt 0x0
	global_atomic_cmpswap_b64 v[2:3], v9, v[15:18], s[2:3] offset:32 th:TH_ATOMIC_RETURN scope:SCOPE_SYS
	s_wait_loadcnt 0x0
	v_cmpx_ne_u64_e64 v[2:3], v[17:18]
	s_cbranch_execz .LBB6_422
; %bb.420:
	s_mov_b32 s7, 0
.LBB6_421:                              ; =>This Inner Loop Header: Depth=1
	v_dual_mov_b32 v0, s4 :: v_dual_mov_b32 v1, s1
	s_sleep 1
	global_store_b64 v[7:8], v[2:3], off
	global_wb scope:SCOPE_SYS
	s_wait_storecnt 0x0
	global_atomic_cmpswap_b64 v[0:1], v9, v[0:3], s[2:3] offset:32 th:TH_ATOMIC_RETURN scope:SCOPE_SYS
	s_wait_loadcnt 0x0
	v_cmp_eq_u64_e32 vcc_lo, v[0:1], v[2:3]
	v_dual_mov_b32 v3, v1 :: v_dual_mov_b32 v2, v0
	s_wait_alu 0xfffe
	s_or_b32 s7, vcc_lo, s7
	s_wait_alu 0xfffe
	s_and_not1_b32 exec_lo, exec_lo, s7
	s_cbranch_execnz .LBB6_421
.LBB6_422:
	s_wait_alu 0xfffe
	s_or_b32 exec_lo, exec_lo, s6
	v_mov_b32_e32 v3, 0
	s_mov_b32 s7, exec_lo
	s_mov_b32 s6, exec_lo
	s_wait_alu 0xfffe
	v_mbcnt_lo_u32_b32 v2, s7, 0
	global_load_b64 v[0:1], v3, s[2:3] offset:16
	v_cmpx_eq_u32_e32 0, v2
	s_cbranch_execz .LBB6_424
; %bb.423:
	s_bcnt1_i32_b32 s7, s7
	s_wait_alu 0xfffe
	v_mov_b32_e32 v2, s7
	global_wb scope:SCOPE_SYS
	s_wait_loadcnt 0x0
	global_atomic_add_u64 v[0:1], v[2:3], off offset:8 scope:SCOPE_SYS
.LBB6_424:
	s_or_b32 exec_lo, exec_lo, s6
	s_wait_loadcnt 0x0
	global_load_b64 v[2:3], v[0:1], off offset:16
	s_wait_loadcnt 0x0
	v_cmp_eq_u64_e32 vcc_lo, 0, v[2:3]
	s_cbranch_vccnz .LBB6_426
; %bb.425:
	global_load_b32 v0, v[0:1], off offset:24
	v_mov_b32_e32 v1, 0
	s_wait_loadcnt 0x0
	v_and_b32_e32 v7, 0xffffff, v0
	global_wb scope:SCOPE_SYS
	s_wait_storecnt 0x0
	global_store_b64 v[2:3], v[0:1], off scope:SCOPE_SYS
	v_readfirstlane_b32 m0, v7
	s_sendmsg sendmsg(MSG_INTERRUPT)
.LBB6_426:
	s_wait_alu 0xfffe
	s_or_b32 exec_lo, exec_lo, s5
	s_branch .LBB6_430
.LBB6_427:                              ;   in Loop: Header=BB6_430 Depth=1
	s_wait_alu 0xfffe
	s_or_b32 exec_lo, exec_lo, s5
	s_delay_alu instid0(VALU_DEP_1) | instskip(NEXT) | instid1(VALU_DEP_1)
	v_readfirstlane_b32 s5, v0
	s_cmp_eq_u32 s5, 0
	s_cbranch_scc1 .LBB6_429
; %bb.428:                              ;   in Loop: Header=BB6_430 Depth=1
	s_sleep 1
	s_cbranch_execnz .LBB6_430
	s_branch .LBB6_432
.LBB6_429:
	s_branch .LBB6_432
.LBB6_430:                              ; =>This Inner Loop Header: Depth=1
	v_mov_b32_e32 v0, 1
	s_and_saveexec_b32 s5, s0
	s_cbranch_execz .LBB6_427
; %bb.431:                              ;   in Loop: Header=BB6_430 Depth=1
	global_load_b32 v0, v[11:12], off offset:20 scope:SCOPE_SYS
	s_wait_loadcnt 0x0
	global_inv scope:SCOPE_SYS
	v_and_b32_e32 v0, 1, v0
	s_branch .LBB6_427
.LBB6_432:
	global_load_b64 v[7:8], v[13:14], off
	s_and_saveexec_b32 s5, s0
	s_cbranch_execz .LBB6_436
; %bb.433:
	v_mov_b32_e32 v11, 0
	s_clause 0x2
	global_load_b64 v[2:3], v11, s[2:3] offset:40
	global_load_b64 v[12:13], v11, s[2:3] offset:24 scope:SCOPE_SYS
	global_load_b64 v[9:10], v11, s[2:3]
	s_wait_loadcnt 0x2
	v_add_co_u32 v14, vcc_lo, v2, 1
	s_wait_alu 0xfffd
	v_add_co_ci_u32_e32 v15, vcc_lo, 0, v3, vcc_lo
	s_delay_alu instid0(VALU_DEP_2) | instskip(SKIP_1) | instid1(VALU_DEP_2)
	v_add_co_u32 v0, vcc_lo, v14, s4
	s_wait_alu 0xfffd
	v_add_co_ci_u32_e32 v1, vcc_lo, s1, v15, vcc_lo
	s_delay_alu instid0(VALU_DEP_1) | instskip(SKIP_2) | instid1(VALU_DEP_1)
	v_cmp_eq_u64_e32 vcc_lo, 0, v[0:1]
	s_wait_alu 0xfffd
	v_dual_cndmask_b32 v0, v0, v14 :: v_dual_cndmask_b32 v1, v1, v15
	v_and_b32_e32 v2, v0, v2
	s_delay_alu instid0(VALU_DEP_2) | instskip(NEXT) | instid1(VALU_DEP_2)
	v_and_b32_e32 v3, v1, v3
	v_mul_lo_u32 v14, 0, v2
	v_mul_hi_u32 v15, 24, v2
	v_mul_lo_u32 v2, 24, v2
	s_wait_loadcnt 0x0
	s_delay_alu instid0(VALU_DEP_1) | instskip(SKIP_2) | instid1(VALU_DEP_1)
	v_add_co_u32 v9, vcc_lo, v9, v2
	v_mov_b32_e32 v2, v12
	v_mul_lo_u32 v3, 24, v3
	v_add_nc_u32_e32 v3, v3, v14
	s_delay_alu instid0(VALU_DEP_1) | instskip(SKIP_1) | instid1(VALU_DEP_1)
	v_add_nc_u32_e32 v3, v3, v15
	s_wait_alu 0xfffd
	v_add_co_ci_u32_e32 v10, vcc_lo, v10, v3, vcc_lo
	v_mov_b32_e32 v3, v13
	global_store_b64 v[9:10], v[12:13], off
	global_wb scope:SCOPE_SYS
	s_wait_storecnt 0x0
	global_atomic_cmpswap_b64 v[2:3], v11, v[0:3], s[2:3] offset:24 th:TH_ATOMIC_RETURN scope:SCOPE_SYS
	s_wait_loadcnt 0x0
	v_cmp_ne_u64_e32 vcc_lo, v[2:3], v[12:13]
	s_and_b32 exec_lo, exec_lo, vcc_lo
	s_cbranch_execz .LBB6_436
; %bb.434:
	s_mov_b32 s0, 0
.LBB6_435:                              ; =>This Inner Loop Header: Depth=1
	s_sleep 1
	global_store_b64 v[9:10], v[2:3], off
	global_wb scope:SCOPE_SYS
	s_wait_storecnt 0x0
	global_atomic_cmpswap_b64 v[12:13], v11, v[0:3], s[2:3] offset:24 th:TH_ATOMIC_RETURN scope:SCOPE_SYS
	s_wait_loadcnt 0x0
	v_cmp_eq_u64_e32 vcc_lo, v[12:13], v[2:3]
	v_dual_mov_b32 v2, v12 :: v_dual_mov_b32 v3, v13
	s_wait_alu 0xfffe
	s_or_b32 s0, vcc_lo, s0
	s_wait_alu 0xfffe
	s_and_not1_b32 exec_lo, exec_lo, s0
	s_cbranch_execnz .LBB6_435
.LBB6_436:
	s_wait_alu 0xfffe
	s_or_b32 exec_lo, exec_lo, s5
	s_delay_alu instid0(SALU_CYCLE_1)
	s_and_b32 vcc_lo, exec_lo, s15
	s_wait_alu 0xfffe
	s_cbranch_vccz .LBB6_515
; %bb.437:
	s_wait_loadcnt 0x0
	v_dual_mov_b32 v10, 0 :: v_dual_and_b32 v33, 2, v7
	v_dual_mov_b32 v1, v8 :: v_dual_and_b32 v0, -3, v7
	v_dual_mov_b32 v11, 2 :: v_dual_mov_b32 v12, 1
	s_mov_b64 s[6:7], 3
	s_getpc_b64 s[4:5]
	s_wait_alu 0xfffe
	s_sext_i32_i16 s5, s5
	s_add_co_u32 s4, s4, .str.7@rel32@lo+12
	s_wait_alu 0xfffe
	s_add_co_ci_u32 s5, s5, .str.7@rel32@hi+24
	s_branch .LBB6_439
.LBB6_438:                              ;   in Loop: Header=BB6_439 Depth=1
	s_wait_alu 0xfffe
	s_or_b32 exec_lo, exec_lo, s17
	s_sub_nc_u64 s[6:7], s[6:7], s[10:11]
	s_add_nc_u64 s[4:5], s[4:5], s[10:11]
	s_wait_alu 0xfffe
	s_cmp_lg_u64 s[6:7], 0
	s_cbranch_scc0 .LBB6_514
.LBB6_439:                              ; =>This Loop Header: Depth=1
                                        ;     Child Loop BB6_448 Depth 2
                                        ;     Child Loop BB6_444 Depth 2
	;; [unrolled: 1-line block ×11, first 2 shown]
	v_cmp_lt_u64_e64 s0, s[6:7], 56
	v_cmp_gt_u64_e64 s1, s[6:7], 7
                                        ; implicit-def: $vgpr2_vgpr3
                                        ; implicit-def: $sgpr21
	s_delay_alu instid0(VALU_DEP_2) | instskip(SKIP_2) | instid1(VALU_DEP_1)
	s_and_b32 s0, s0, exec_lo
	s_cselect_b32 s11, s7, 0
	s_cselect_b32 s10, s6, 56
	s_and_b32 vcc_lo, exec_lo, s1
	s_mov_b32 s0, -1
	s_wait_alu 0xfffe
	s_cbranch_vccz .LBB6_446
; %bb.440:                              ;   in Loop: Header=BB6_439 Depth=1
	s_and_not1_b32 vcc_lo, exec_lo, s0
	s_mov_b64 s[0:1], s[4:5]
	s_wait_alu 0xfffe
	s_cbranch_vccz .LBB6_450
.LBB6_441:                              ;   in Loop: Header=BB6_439 Depth=1
	s_wait_alu 0xfffe
	s_cmp_gt_u32 s21, 7
	s_cbranch_scc1 .LBB6_451
.LBB6_442:                              ;   in Loop: Header=BB6_439 Depth=1
	v_mov_b32_e32 v13, 0
	v_mov_b32_e32 v14, 0
	s_cmp_eq_u32 s21, 0
	s_cbranch_scc1 .LBB6_445
; %bb.443:                              ;   in Loop: Header=BB6_439 Depth=1
	s_mov_b64 s[16:17], 0
	s_mov_b64 s[18:19], 0
.LBB6_444:                              ;   Parent Loop BB6_439 Depth=1
                                        ; =>  This Inner Loop Header: Depth=2
	s_wait_alu 0xfffe
	s_add_nc_u64 s[22:23], s[0:1], s[18:19]
	s_add_nc_u64 s[18:19], s[18:19], 1
	global_load_u8 v9, v10, s[22:23]
	s_wait_alu 0xfffe
	s_cmp_lg_u32 s21, s18
	s_wait_loadcnt 0x0
	v_and_b32_e32 v9, 0xffff, v9
	s_delay_alu instid0(VALU_DEP_1) | instskip(SKIP_1) | instid1(VALU_DEP_1)
	v_lshlrev_b64_e32 v[15:16], s16, v[9:10]
	s_add_nc_u64 s[16:17], s[16:17], 8
	v_or_b32_e32 v13, v15, v13
	s_delay_alu instid0(VALU_DEP_2)
	v_or_b32_e32 v14, v16, v14
	s_cbranch_scc1 .LBB6_444
.LBB6_445:                              ;   in Loop: Header=BB6_439 Depth=1
	s_mov_b32 s22, 0
	s_cbranch_execz .LBB6_452
	s_branch .LBB6_453
.LBB6_446:                              ;   in Loop: Header=BB6_439 Depth=1
	s_wait_loadcnt 0x0
	v_mov_b32_e32 v2, 0
	v_mov_b32_e32 v3, 0
	s_cmp_eq_u64 s[6:7], 0
	s_mov_b64 s[0:1], 0
	s_cbranch_scc1 .LBB6_449
; %bb.447:                              ;   in Loop: Header=BB6_439 Depth=1
	v_mov_b32_e32 v2, 0
	v_mov_b32_e32 v3, 0
	s_mov_b64 s[16:17], 0
.LBB6_448:                              ;   Parent Loop BB6_439 Depth=1
                                        ; =>  This Inner Loop Header: Depth=2
	s_wait_alu 0xfffe
	s_add_nc_u64 s[18:19], s[4:5], s[16:17]
	s_add_nc_u64 s[16:17], s[16:17], 1
	global_load_u8 v9, v10, s[18:19]
	s_wait_alu 0xfffe
	s_cmp_lg_u32 s10, s16
	s_wait_loadcnt 0x0
	v_and_b32_e32 v9, 0xffff, v9
	s_delay_alu instid0(VALU_DEP_1) | instskip(SKIP_1) | instid1(VALU_DEP_1)
	v_lshlrev_b64_e32 v[13:14], s0, v[9:10]
	s_add_nc_u64 s[0:1], s[0:1], 8
	v_or_b32_e32 v2, v13, v2
	s_delay_alu instid0(VALU_DEP_2)
	v_or_b32_e32 v3, v14, v3
	s_cbranch_scc1 .LBB6_448
.LBB6_449:                              ;   in Loop: Header=BB6_439 Depth=1
	s_mov_b32 s21, 0
	s_mov_b64 s[0:1], s[4:5]
	s_cbranch_execnz .LBB6_441
.LBB6_450:                              ;   in Loop: Header=BB6_439 Depth=1
	global_load_b64 v[2:3], v10, s[4:5]
	s_add_co_i32 s21, s10, -8
	s_add_nc_u64 s[0:1], s[4:5], 8
	s_wait_alu 0xfffe
	s_cmp_gt_u32 s21, 7
	s_cbranch_scc0 .LBB6_442
.LBB6_451:                              ;   in Loop: Header=BB6_439 Depth=1
                                        ; implicit-def: $vgpr13_vgpr14
                                        ; implicit-def: $sgpr22
.LBB6_452:                              ;   in Loop: Header=BB6_439 Depth=1
	global_load_b64 v[13:14], v10, s[0:1]
	s_add_co_i32 s22, s21, -8
	s_add_nc_u64 s[0:1], s[0:1], 8
.LBB6_453:                              ;   in Loop: Header=BB6_439 Depth=1
	s_wait_alu 0xfffe
	s_cmp_gt_u32 s22, 7
	s_cbranch_scc1 .LBB6_458
; %bb.454:                              ;   in Loop: Header=BB6_439 Depth=1
	v_mov_b32_e32 v15, 0
	v_mov_b32_e32 v16, 0
	s_cmp_eq_u32 s22, 0
	s_cbranch_scc1 .LBB6_457
; %bb.455:                              ;   in Loop: Header=BB6_439 Depth=1
	s_mov_b64 s[16:17], 0
	s_mov_b64 s[18:19], 0
.LBB6_456:                              ;   Parent Loop BB6_439 Depth=1
                                        ; =>  This Inner Loop Header: Depth=2
	s_wait_alu 0xfffe
	s_add_nc_u64 s[24:25], s[0:1], s[18:19]
	s_add_nc_u64 s[18:19], s[18:19], 1
	global_load_u8 v9, v10, s[24:25]
	s_wait_alu 0xfffe
	s_cmp_lg_u32 s22, s18
	s_wait_loadcnt 0x0
	v_and_b32_e32 v9, 0xffff, v9
	s_delay_alu instid0(VALU_DEP_1) | instskip(SKIP_1) | instid1(VALU_DEP_1)
	v_lshlrev_b64_e32 v[17:18], s16, v[9:10]
	s_add_nc_u64 s[16:17], s[16:17], 8
	v_or_b32_e32 v15, v17, v15
	s_delay_alu instid0(VALU_DEP_2)
	v_or_b32_e32 v16, v18, v16
	s_cbranch_scc1 .LBB6_456
.LBB6_457:                              ;   in Loop: Header=BB6_439 Depth=1
	s_mov_b32 s21, 0
	s_cbranch_execz .LBB6_459
	s_branch .LBB6_460
.LBB6_458:                              ;   in Loop: Header=BB6_439 Depth=1
                                        ; implicit-def: $sgpr21
.LBB6_459:                              ;   in Loop: Header=BB6_439 Depth=1
	global_load_b64 v[15:16], v10, s[0:1]
	s_add_co_i32 s21, s22, -8
	s_add_nc_u64 s[0:1], s[0:1], 8
.LBB6_460:                              ;   in Loop: Header=BB6_439 Depth=1
	s_wait_alu 0xfffe
	s_cmp_gt_u32 s21, 7
	s_cbranch_scc1 .LBB6_465
; %bb.461:                              ;   in Loop: Header=BB6_439 Depth=1
	v_mov_b32_e32 v17, 0
	v_mov_b32_e32 v18, 0
	s_cmp_eq_u32 s21, 0
	s_cbranch_scc1 .LBB6_464
; %bb.462:                              ;   in Loop: Header=BB6_439 Depth=1
	s_mov_b64 s[16:17], 0
	s_mov_b64 s[18:19], 0
.LBB6_463:                              ;   Parent Loop BB6_439 Depth=1
                                        ; =>  This Inner Loop Header: Depth=2
	s_wait_alu 0xfffe
	s_add_nc_u64 s[22:23], s[0:1], s[18:19]
	s_add_nc_u64 s[18:19], s[18:19], 1
	global_load_u8 v9, v10, s[22:23]
	s_wait_alu 0xfffe
	s_cmp_lg_u32 s21, s18
	s_wait_loadcnt 0x0
	v_and_b32_e32 v9, 0xffff, v9
	s_delay_alu instid0(VALU_DEP_1) | instskip(SKIP_1) | instid1(VALU_DEP_1)
	v_lshlrev_b64_e32 v[19:20], s16, v[9:10]
	s_add_nc_u64 s[16:17], s[16:17], 8
	v_or_b32_e32 v17, v19, v17
	s_delay_alu instid0(VALU_DEP_2)
	v_or_b32_e32 v18, v20, v18
	s_cbranch_scc1 .LBB6_463
.LBB6_464:                              ;   in Loop: Header=BB6_439 Depth=1
	s_mov_b32 s22, 0
	s_cbranch_execz .LBB6_466
	s_branch .LBB6_467
.LBB6_465:                              ;   in Loop: Header=BB6_439 Depth=1
                                        ; implicit-def: $vgpr17_vgpr18
                                        ; implicit-def: $sgpr22
.LBB6_466:                              ;   in Loop: Header=BB6_439 Depth=1
	global_load_b64 v[17:18], v10, s[0:1]
	s_add_co_i32 s22, s21, -8
	s_add_nc_u64 s[0:1], s[0:1], 8
.LBB6_467:                              ;   in Loop: Header=BB6_439 Depth=1
	s_wait_alu 0xfffe
	s_cmp_gt_u32 s22, 7
	s_cbranch_scc1 .LBB6_472
; %bb.468:                              ;   in Loop: Header=BB6_439 Depth=1
	v_mov_b32_e32 v19, 0
	v_mov_b32_e32 v20, 0
	s_cmp_eq_u32 s22, 0
	s_cbranch_scc1 .LBB6_471
; %bb.469:                              ;   in Loop: Header=BB6_439 Depth=1
	s_mov_b64 s[16:17], 0
	s_mov_b64 s[18:19], 0
.LBB6_470:                              ;   Parent Loop BB6_439 Depth=1
                                        ; =>  This Inner Loop Header: Depth=2
	s_wait_alu 0xfffe
	s_add_nc_u64 s[24:25], s[0:1], s[18:19]
	s_add_nc_u64 s[18:19], s[18:19], 1
	global_load_u8 v9, v10, s[24:25]
	s_wait_alu 0xfffe
	s_cmp_lg_u32 s22, s18
	s_wait_loadcnt 0x0
	v_and_b32_e32 v9, 0xffff, v9
	s_delay_alu instid0(VALU_DEP_1) | instskip(SKIP_1) | instid1(VALU_DEP_1)
	v_lshlrev_b64_e32 v[21:22], s16, v[9:10]
	s_add_nc_u64 s[16:17], s[16:17], 8
	v_or_b32_e32 v19, v21, v19
	s_delay_alu instid0(VALU_DEP_2)
	v_or_b32_e32 v20, v22, v20
	s_cbranch_scc1 .LBB6_470
.LBB6_471:                              ;   in Loop: Header=BB6_439 Depth=1
	s_mov_b32 s21, 0
	s_cbranch_execz .LBB6_473
	s_branch .LBB6_474
.LBB6_472:                              ;   in Loop: Header=BB6_439 Depth=1
                                        ; implicit-def: $sgpr21
.LBB6_473:                              ;   in Loop: Header=BB6_439 Depth=1
	global_load_b64 v[19:20], v10, s[0:1]
	s_add_co_i32 s21, s22, -8
	s_add_nc_u64 s[0:1], s[0:1], 8
.LBB6_474:                              ;   in Loop: Header=BB6_439 Depth=1
	s_wait_alu 0xfffe
	s_cmp_gt_u32 s21, 7
	s_cbranch_scc1 .LBB6_479
; %bb.475:                              ;   in Loop: Header=BB6_439 Depth=1
	v_mov_b32_e32 v21, 0
	v_mov_b32_e32 v22, 0
	s_cmp_eq_u32 s21, 0
	s_cbranch_scc1 .LBB6_478
; %bb.476:                              ;   in Loop: Header=BB6_439 Depth=1
	s_mov_b64 s[16:17], 0
	s_mov_b64 s[18:19], 0
.LBB6_477:                              ;   Parent Loop BB6_439 Depth=1
                                        ; =>  This Inner Loop Header: Depth=2
	s_wait_alu 0xfffe
	s_add_nc_u64 s[22:23], s[0:1], s[18:19]
	s_add_nc_u64 s[18:19], s[18:19], 1
	global_load_u8 v9, v10, s[22:23]
	s_wait_alu 0xfffe
	s_cmp_lg_u32 s21, s18
	s_wait_loadcnt 0x0
	v_and_b32_e32 v9, 0xffff, v9
	s_delay_alu instid0(VALU_DEP_1) | instskip(SKIP_1) | instid1(VALU_DEP_1)
	v_lshlrev_b64_e32 v[23:24], s16, v[9:10]
	s_add_nc_u64 s[16:17], s[16:17], 8
	v_or_b32_e32 v21, v23, v21
	s_delay_alu instid0(VALU_DEP_2)
	v_or_b32_e32 v22, v24, v22
	s_cbranch_scc1 .LBB6_477
.LBB6_478:                              ;   in Loop: Header=BB6_439 Depth=1
	s_mov_b32 s22, 0
	s_cbranch_execz .LBB6_480
	s_branch .LBB6_481
.LBB6_479:                              ;   in Loop: Header=BB6_439 Depth=1
                                        ; implicit-def: $vgpr21_vgpr22
                                        ; implicit-def: $sgpr22
.LBB6_480:                              ;   in Loop: Header=BB6_439 Depth=1
	global_load_b64 v[21:22], v10, s[0:1]
	s_add_co_i32 s22, s21, -8
	s_add_nc_u64 s[0:1], s[0:1], 8
.LBB6_481:                              ;   in Loop: Header=BB6_439 Depth=1
	s_wait_alu 0xfffe
	s_cmp_gt_u32 s22, 7
	s_cbranch_scc1 .LBB6_486
; %bb.482:                              ;   in Loop: Header=BB6_439 Depth=1
	v_mov_b32_e32 v23, 0
	v_mov_b32_e32 v24, 0
	s_cmp_eq_u32 s22, 0
	s_cbranch_scc1 .LBB6_485
; %bb.483:                              ;   in Loop: Header=BB6_439 Depth=1
	s_mov_b64 s[16:17], 0
	s_mov_b64 s[18:19], s[0:1]
.LBB6_484:                              ;   Parent Loop BB6_439 Depth=1
                                        ; =>  This Inner Loop Header: Depth=2
	global_load_u8 v9, v10, s[18:19]
	s_add_co_i32 s22, s22, -1
	s_wait_alu 0xfffe
	s_add_nc_u64 s[18:19], s[18:19], 1
	s_cmp_lg_u32 s22, 0
	s_wait_loadcnt 0x0
	v_and_b32_e32 v9, 0xffff, v9
	s_delay_alu instid0(VALU_DEP_1) | instskip(SKIP_1) | instid1(VALU_DEP_1)
	v_lshlrev_b64_e32 v[25:26], s16, v[9:10]
	s_add_nc_u64 s[16:17], s[16:17], 8
	v_or_b32_e32 v23, v25, v23
	s_delay_alu instid0(VALU_DEP_2)
	v_or_b32_e32 v24, v26, v24
	s_cbranch_scc1 .LBB6_484
.LBB6_485:                              ;   in Loop: Header=BB6_439 Depth=1
	s_cbranch_execz .LBB6_487
	s_branch .LBB6_488
.LBB6_486:                              ;   in Loop: Header=BB6_439 Depth=1
.LBB6_487:                              ;   in Loop: Header=BB6_439 Depth=1
	global_load_b64 v[23:24], v10, s[0:1]
.LBB6_488:                              ;   in Loop: Header=BB6_439 Depth=1
	v_readfirstlane_b32 s0, v35
	v_mov_b32_e32 v29, 0
	v_mov_b32_e32 v30, 0
	s_wait_alu 0xf1ff
	s_delay_alu instid0(VALU_DEP_3) | instskip(NEXT) | instid1(VALU_DEP_1)
	v_cmp_eq_u32_e64 s0, s0, v35
	s_and_saveexec_b32 s1, s0
	s_cbranch_execz .LBB6_494
; %bb.489:                              ;   in Loop: Header=BB6_439 Depth=1
	global_load_b64 v[27:28], v10, s[2:3] offset:24 scope:SCOPE_SYS
	s_wait_loadcnt 0x0
	global_inv scope:SCOPE_SYS
	s_clause 0x1
	global_load_b64 v[25:26], v10, s[2:3] offset:40
	global_load_b64 v[29:30], v10, s[2:3]
	s_mov_b32 s16, exec_lo
	s_wait_loadcnt 0x1
	v_and_b32_e32 v9, v26, v28
	v_and_b32_e32 v25, v25, v27
	s_delay_alu instid0(VALU_DEP_2) | instskip(NEXT) | instid1(VALU_DEP_2)
	v_mul_lo_u32 v9, 24, v9
	v_mul_lo_u32 v26, 0, v25
	v_mul_hi_u32 v31, 24, v25
	v_mul_lo_u32 v25, 24, v25
	s_delay_alu instid0(VALU_DEP_3) | instskip(SKIP_1) | instid1(VALU_DEP_2)
	v_add_nc_u32_e32 v9, v9, v26
	s_wait_loadcnt 0x0
	v_add_co_u32 v25, vcc_lo, v29, v25
	s_delay_alu instid0(VALU_DEP_2) | instskip(SKIP_1) | instid1(VALU_DEP_1)
	v_add_nc_u32_e32 v9, v9, v31
	s_wait_alu 0xfffd
	v_add_co_ci_u32_e32 v26, vcc_lo, v30, v9, vcc_lo
	global_load_b64 v[25:26], v[25:26], off scope:SCOPE_SYS
	s_wait_loadcnt 0x0
	global_atomic_cmpswap_b64 v[29:30], v10, v[25:28], s[2:3] offset:24 th:TH_ATOMIC_RETURN scope:SCOPE_SYS
	s_wait_loadcnt 0x0
	global_inv scope:SCOPE_SYS
	v_cmpx_ne_u64_e64 v[29:30], v[27:28]
	s_cbranch_execz .LBB6_493
; %bb.490:                              ;   in Loop: Header=BB6_439 Depth=1
	s_mov_b32 s17, 0
.LBB6_491:                              ;   Parent Loop BB6_439 Depth=1
                                        ; =>  This Inner Loop Header: Depth=2
	s_sleep 1
	s_clause 0x1
	global_load_b64 v[25:26], v10, s[2:3] offset:40
	global_load_b64 v[31:32], v10, s[2:3]
	v_dual_mov_b32 v27, v29 :: v_dual_mov_b32 v28, v30
	s_wait_loadcnt 0x1
	s_delay_alu instid0(VALU_DEP_1) | instskip(NEXT) | instid1(VALU_DEP_2)
	v_and_b32_e32 v9, v25, v27
	v_and_b32_e32 v25, v26, v28
	s_wait_loadcnt 0x0
	s_delay_alu instid0(VALU_DEP_2) | instskip(NEXT) | instid1(VALU_DEP_1)
	v_mad_co_u64_u32 v[29:30], null, v9, 24, v[31:32]
	v_mov_b32_e32 v9, v30
	s_delay_alu instid0(VALU_DEP_1) | instskip(NEXT) | instid1(VALU_DEP_1)
	v_mad_co_u64_u32 v[25:26], null, v25, 24, v[9:10]
	v_mov_b32_e32 v30, v25
	global_load_b64 v[25:26], v[29:30], off scope:SCOPE_SYS
	s_wait_loadcnt 0x0
	global_atomic_cmpswap_b64 v[29:30], v10, v[25:28], s[2:3] offset:24 th:TH_ATOMIC_RETURN scope:SCOPE_SYS
	s_wait_loadcnt 0x0
	global_inv scope:SCOPE_SYS
	v_cmp_eq_u64_e32 vcc_lo, v[29:30], v[27:28]
	s_wait_alu 0xfffe
	s_or_b32 s17, vcc_lo, s17
	s_wait_alu 0xfffe
	s_and_not1_b32 exec_lo, exec_lo, s17
	s_cbranch_execnz .LBB6_491
; %bb.492:                              ;   in Loop: Header=BB6_439 Depth=1
	s_or_b32 exec_lo, exec_lo, s17
.LBB6_493:                              ;   in Loop: Header=BB6_439 Depth=1
	s_wait_alu 0xfffe
	s_or_b32 exec_lo, exec_lo, s16
.LBB6_494:                              ;   in Loop: Header=BB6_439 Depth=1
	s_wait_alu 0xfffe
	s_or_b32 exec_lo, exec_lo, s1
	s_clause 0x1
	global_load_b64 v[31:32], v10, s[2:3] offset:40
	global_load_b128 v[25:28], v10, s[2:3]
	v_readfirstlane_b32 s1, v30
	v_readfirstlane_b32 s16, v29
	s_mov_b32 s17, exec_lo
	s_wait_loadcnt 0x1
	s_wait_alu 0xf1ff
	v_and_b32_e32 v32, s1, v32
	v_and_b32_e32 v31, s16, v31
	s_delay_alu instid0(VALU_DEP_2) | instskip(NEXT) | instid1(VALU_DEP_2)
	v_mul_lo_u32 v9, 24, v32
	v_mul_lo_u32 v29, 0, v31
	v_mul_hi_u32 v30, 24, v31
	v_mul_lo_u32 v36, 24, v31
	s_delay_alu instid0(VALU_DEP_3) | instskip(SKIP_1) | instid1(VALU_DEP_2)
	v_add_nc_u32_e32 v9, v9, v29
	s_wait_loadcnt 0x0
	v_add_co_u32 v29, vcc_lo, v25, v36
	s_delay_alu instid0(VALU_DEP_2) | instskip(SKIP_1) | instid1(VALU_DEP_1)
	v_add_nc_u32_e32 v9, v9, v30
	s_wait_alu 0xfffd
	v_add_co_ci_u32_e32 v30, vcc_lo, v26, v9, vcc_lo
	s_and_saveexec_b32 s18, s0
	s_cbranch_execz .LBB6_496
; %bb.495:                              ;   in Loop: Header=BB6_439 Depth=1
	s_wait_alu 0xfffe
	v_mov_b32_e32 v9, s17
	global_store_b128 v[29:30], v[9:12], off offset:8
.LBB6_496:                              ;   in Loop: Header=BB6_439 Depth=1
	s_wait_alu 0xfffe
	s_or_b32 exec_lo, exec_lo, s18
	v_cmp_gt_u64_e64 vcc_lo, s[6:7], 56
	v_lshlrev_b64_e32 v[31:32], 12, v[31:32]
	v_or_b32_e32 v9, 0, v1
	v_or_b32_e32 v36, v0, v33
	s_lshl_b32 s17, s10, 2
	s_wait_alu 0xfffe
	s_add_co_i32 s17, s17, 28
	s_wait_alu 0xfffd
	v_dual_cndmask_b32 v1, v9, v1 :: v_dual_cndmask_b32 v0, v36, v0
	v_add_co_u32 v27, vcc_lo, v27, v31
	s_wait_alu 0xfffd
	v_add_co_ci_u32_e32 v28, vcc_lo, v28, v32, vcc_lo
	s_wait_alu 0xfffe
	s_and_b32 s17, s17, 0x1e0
	v_readfirstlane_b32 s18, v27
	s_wait_alu 0xfffe
	v_and_or_b32 v0, 0xffffff1f, v0, s17
	v_readfirstlane_b32 s19, v28
	s_clause 0x3
	global_store_b128 v34, v[0:3], s[18:19]
	global_store_b128 v34, v[13:16], s[18:19] offset:16
	global_store_b128 v34, v[17:20], s[18:19] offset:32
	;; [unrolled: 1-line block ×3, first 2 shown]
	s_and_saveexec_b32 s17, s0
	s_cbranch_execz .LBB6_504
; %bb.497:                              ;   in Loop: Header=BB6_439 Depth=1
	s_clause 0x1
	global_load_b64 v[17:18], v10, s[2:3] offset:32 scope:SCOPE_SYS
	global_load_b64 v[0:1], v10, s[2:3] offset:40
	s_mov_b32 s18, exec_lo
	v_dual_mov_b32 v15, s16 :: v_dual_mov_b32 v16, s1
	s_wait_loadcnt 0x0
	v_and_b32_e32 v1, s1, v1
	v_and_b32_e32 v0, s16, v0
	s_delay_alu instid0(VALU_DEP_2) | instskip(NEXT) | instid1(VALU_DEP_2)
	v_mul_lo_u32 v1, 24, v1
	v_mul_lo_u32 v2, 0, v0
	v_mul_hi_u32 v3, 24, v0
	v_mul_lo_u32 v0, 24, v0
	s_delay_alu instid0(VALU_DEP_3) | instskip(NEXT) | instid1(VALU_DEP_2)
	v_add_nc_u32_e32 v1, v1, v2
	v_add_co_u32 v13, vcc_lo, v25, v0
	s_delay_alu instid0(VALU_DEP_2) | instskip(SKIP_1) | instid1(VALU_DEP_1)
	v_add_nc_u32_e32 v1, v1, v3
	s_wait_alu 0xfffd
	v_add_co_ci_u32_e32 v14, vcc_lo, v26, v1, vcc_lo
	global_store_b64 v[13:14], v[17:18], off
	global_wb scope:SCOPE_SYS
	s_wait_storecnt 0x0
	global_atomic_cmpswap_b64 v[2:3], v10, v[15:18], s[2:3] offset:32 th:TH_ATOMIC_RETURN scope:SCOPE_SYS
	s_wait_loadcnt 0x0
	v_cmpx_ne_u64_e64 v[2:3], v[17:18]
	s_cbranch_execz .LBB6_500
; %bb.498:                              ;   in Loop: Header=BB6_439 Depth=1
	s_mov_b32 s19, 0
.LBB6_499:                              ;   Parent Loop BB6_439 Depth=1
                                        ; =>  This Inner Loop Header: Depth=2
	v_dual_mov_b32 v0, s16 :: v_dual_mov_b32 v1, s1
	s_sleep 1
	global_store_b64 v[13:14], v[2:3], off
	global_wb scope:SCOPE_SYS
	s_wait_storecnt 0x0
	global_atomic_cmpswap_b64 v[0:1], v10, v[0:3], s[2:3] offset:32 th:TH_ATOMIC_RETURN scope:SCOPE_SYS
	s_wait_loadcnt 0x0
	v_cmp_eq_u64_e32 vcc_lo, v[0:1], v[2:3]
	v_dual_mov_b32 v3, v1 :: v_dual_mov_b32 v2, v0
	s_wait_alu 0xfffe
	s_or_b32 s19, vcc_lo, s19
	s_wait_alu 0xfffe
	s_and_not1_b32 exec_lo, exec_lo, s19
	s_cbranch_execnz .LBB6_499
.LBB6_500:                              ;   in Loop: Header=BB6_439 Depth=1
	s_wait_alu 0xfffe
	s_or_b32 exec_lo, exec_lo, s18
	global_load_b64 v[0:1], v10, s[2:3] offset:16
	s_mov_b32 s19, exec_lo
	s_mov_b32 s18, exec_lo
	s_wait_alu 0xfffe
	v_mbcnt_lo_u32_b32 v2, s19, 0
	s_delay_alu instid0(VALU_DEP_1)
	v_cmpx_eq_u32_e32 0, v2
	s_cbranch_execz .LBB6_502
; %bb.501:                              ;   in Loop: Header=BB6_439 Depth=1
	s_bcnt1_i32_b32 s19, s19
	s_wait_alu 0xfffe
	v_mov_b32_e32 v9, s19
	global_wb scope:SCOPE_SYS
	s_wait_loadcnt 0x0
	global_atomic_add_u64 v[0:1], v[9:10], off offset:8 scope:SCOPE_SYS
.LBB6_502:                              ;   in Loop: Header=BB6_439 Depth=1
	s_or_b32 exec_lo, exec_lo, s18
	s_wait_loadcnt 0x0
	global_load_b64 v[2:3], v[0:1], off offset:16
	s_wait_loadcnt 0x0
	v_cmp_eq_u64_e32 vcc_lo, 0, v[2:3]
	s_cbranch_vccnz .LBB6_504
; %bb.503:                              ;   in Loop: Header=BB6_439 Depth=1
	global_load_b32 v9, v[0:1], off offset:24
	s_wait_loadcnt 0x0
	v_and_b32_e32 v0, 0xffffff, v9
	global_wb scope:SCOPE_SYS
	s_wait_storecnt 0x0
	global_store_b64 v[2:3], v[9:10], off scope:SCOPE_SYS
	v_readfirstlane_b32 m0, v0
	s_sendmsg sendmsg(MSG_INTERRUPT)
.LBB6_504:                              ;   in Loop: Header=BB6_439 Depth=1
	s_wait_alu 0xfffe
	s_or_b32 exec_lo, exec_lo, s17
	v_add_co_u32 v0, vcc_lo, v27, v34
	s_wait_alu 0xfffd
	v_add_co_ci_u32_e32 v1, vcc_lo, 0, v28, vcc_lo
	s_branch .LBB6_508
.LBB6_505:                              ;   in Loop: Header=BB6_508 Depth=2
	s_wait_alu 0xfffe
	s_or_b32 exec_lo, exec_lo, s17
	s_delay_alu instid0(VALU_DEP_1) | instskip(NEXT) | instid1(VALU_DEP_1)
	v_readfirstlane_b32 s17, v2
	s_cmp_eq_u32 s17, 0
	s_cbranch_scc1 .LBB6_507
; %bb.506:                              ;   in Loop: Header=BB6_508 Depth=2
	s_sleep 1
	s_cbranch_execnz .LBB6_508
	s_branch .LBB6_510
.LBB6_507:                              ;   in Loop: Header=BB6_439 Depth=1
	s_branch .LBB6_510
.LBB6_508:                              ;   Parent Loop BB6_439 Depth=1
                                        ; =>  This Inner Loop Header: Depth=2
	v_mov_b32_e32 v2, 1
	s_and_saveexec_b32 s17, s0
	s_cbranch_execz .LBB6_505
; %bb.509:                              ;   in Loop: Header=BB6_508 Depth=2
	global_load_b32 v2, v[29:30], off offset:20 scope:SCOPE_SYS
	s_wait_loadcnt 0x0
	global_inv scope:SCOPE_SYS
	v_and_b32_e32 v2, 1, v2
	s_branch .LBB6_505
.LBB6_510:                              ;   in Loop: Header=BB6_439 Depth=1
	global_load_b128 v[0:3], v[0:1], off
	s_and_saveexec_b32 s17, s0
	s_cbranch_execz .LBB6_438
; %bb.511:                              ;   in Loop: Header=BB6_439 Depth=1
	s_clause 0x2
	global_load_b64 v[2:3], v10, s[2:3] offset:40
	global_load_b64 v[17:18], v10, s[2:3] offset:24 scope:SCOPE_SYS
	global_load_b64 v[15:16], v10, s[2:3]
	s_wait_loadcnt 0x2
	v_add_co_u32 v9, vcc_lo, v2, 1
	s_wait_alu 0xfffd
	v_add_co_ci_u32_e32 v19, vcc_lo, 0, v3, vcc_lo
	s_delay_alu instid0(VALU_DEP_2) | instskip(SKIP_1) | instid1(VALU_DEP_2)
	v_add_co_u32 v13, vcc_lo, v9, s16
	s_wait_alu 0xfffd
	v_add_co_ci_u32_e32 v14, vcc_lo, s1, v19, vcc_lo
	s_delay_alu instid0(VALU_DEP_1) | instskip(SKIP_2) | instid1(VALU_DEP_1)
	v_cmp_eq_u64_e32 vcc_lo, 0, v[13:14]
	s_wait_alu 0xfffd
	v_dual_cndmask_b32 v14, v14, v19 :: v_dual_cndmask_b32 v13, v13, v9
	v_and_b32_e32 v3, v14, v3
	s_delay_alu instid0(VALU_DEP_2) | instskip(NEXT) | instid1(VALU_DEP_2)
	v_and_b32_e32 v2, v13, v2
	v_mul_lo_u32 v3, 24, v3
	s_delay_alu instid0(VALU_DEP_2) | instskip(SKIP_2) | instid1(VALU_DEP_3)
	v_mul_lo_u32 v9, 0, v2
	v_mul_hi_u32 v19, 24, v2
	v_mul_lo_u32 v2, 24, v2
	v_add_nc_u32_e32 v3, v3, v9
	s_wait_loadcnt 0x0
	s_delay_alu instid0(VALU_DEP_2) | instskip(SKIP_1) | instid1(VALU_DEP_3)
	v_add_co_u32 v2, vcc_lo, v15, v2
	v_mov_b32_e32 v15, v17
	v_add_nc_u32_e32 v3, v3, v19
	s_wait_alu 0xfffd
	s_delay_alu instid0(VALU_DEP_1)
	v_add_co_ci_u32_e32 v3, vcc_lo, v16, v3, vcc_lo
	v_mov_b32_e32 v16, v18
	global_store_b64 v[2:3], v[17:18], off
	global_wb scope:SCOPE_SYS
	s_wait_storecnt 0x0
	global_atomic_cmpswap_b64 v[15:16], v10, v[13:16], s[2:3] offset:24 th:TH_ATOMIC_RETURN scope:SCOPE_SYS
	s_wait_loadcnt 0x0
	v_cmp_ne_u64_e32 vcc_lo, v[15:16], v[17:18]
	s_and_b32 exec_lo, exec_lo, vcc_lo
	s_cbranch_execz .LBB6_438
; %bb.512:                              ;   in Loop: Header=BB6_439 Depth=1
	s_mov_b32 s0, 0
.LBB6_513:                              ;   Parent Loop BB6_439 Depth=1
                                        ; =>  This Inner Loop Header: Depth=2
	s_sleep 1
	global_store_b64 v[2:3], v[15:16], off
	global_wb scope:SCOPE_SYS
	s_wait_storecnt 0x0
	global_atomic_cmpswap_b64 v[17:18], v10, v[13:16], s[2:3] offset:24 th:TH_ATOMIC_RETURN scope:SCOPE_SYS
	s_wait_loadcnt 0x0
	v_cmp_eq_u64_e32 vcc_lo, v[17:18], v[15:16]
	v_dual_mov_b32 v15, v17 :: v_dual_mov_b32 v16, v18
	s_wait_alu 0xfffe
	s_or_b32 s0, vcc_lo, s0
	s_wait_alu 0xfffe
	s_and_not1_b32 exec_lo, exec_lo, s0
	s_cbranch_execnz .LBB6_513
	s_branch .LBB6_438
.LBB6_514:
	s_branch .LBB6_543
.LBB6_515:
                                        ; implicit-def: $vgpr0_vgpr1
	s_cbranch_execz .LBB6_543
; %bb.516:
	v_readfirstlane_b32 s0, v35
	v_mov_b32_e32 v10, 0
	v_mov_b32_e32 v11, 0
	s_wait_alu 0xf1ff
	s_delay_alu instid0(VALU_DEP_3) | instskip(NEXT) | instid1(VALU_DEP_1)
	v_cmp_eq_u32_e64 s0, s0, v35
	s_and_saveexec_b32 s1, s0
	s_cbranch_execz .LBB6_522
; %bb.517:
	s_wait_loadcnt 0x0
	v_mov_b32_e32 v0, 0
	s_mov_b32 s4, exec_lo
	global_load_b64 v[12:13], v0, s[2:3] offset:24 scope:SCOPE_SYS
	s_wait_loadcnt 0x0
	global_inv scope:SCOPE_SYS
	s_clause 0x1
	global_load_b64 v[1:2], v0, s[2:3] offset:40
	global_load_b64 v[9:10], v0, s[2:3]
	s_wait_loadcnt 0x1
	v_and_b32_e32 v1, v1, v12
	v_and_b32_e32 v2, v2, v13
	s_delay_alu instid0(VALU_DEP_2) | instskip(NEXT) | instid1(VALU_DEP_2)
	v_mul_lo_u32 v3, 0, v1
	v_mul_lo_u32 v2, 24, v2
	v_mul_hi_u32 v11, 24, v1
	v_mul_lo_u32 v1, 24, v1
	s_delay_alu instid0(VALU_DEP_3) | instskip(SKIP_1) | instid1(VALU_DEP_2)
	v_add_nc_u32_e32 v2, v2, v3
	s_wait_loadcnt 0x0
	v_add_co_u32 v1, vcc_lo, v9, v1
	s_delay_alu instid0(VALU_DEP_2) | instskip(SKIP_1) | instid1(VALU_DEP_1)
	v_add_nc_u32_e32 v2, v2, v11
	s_wait_alu 0xfffd
	v_add_co_ci_u32_e32 v2, vcc_lo, v10, v2, vcc_lo
	global_load_b64 v[10:11], v[1:2], off scope:SCOPE_SYS
	s_wait_loadcnt 0x0
	global_atomic_cmpswap_b64 v[10:11], v0, v[10:13], s[2:3] offset:24 th:TH_ATOMIC_RETURN scope:SCOPE_SYS
	s_wait_loadcnt 0x0
	global_inv scope:SCOPE_SYS
	v_cmpx_ne_u64_e64 v[10:11], v[12:13]
	s_cbranch_execz .LBB6_521
; %bb.518:
	s_mov_b32 s5, 0
.LBB6_519:                              ; =>This Inner Loop Header: Depth=1
	s_sleep 1
	s_clause 0x1
	global_load_b64 v[1:2], v0, s[2:3] offset:40
	global_load_b64 v[14:15], v0, s[2:3]
	v_dual_mov_b32 v13, v11 :: v_dual_mov_b32 v12, v10
	s_wait_loadcnt 0x1
	s_delay_alu instid0(VALU_DEP_1) | instskip(NEXT) | instid1(VALU_DEP_2)
	v_and_b32_e32 v1, v1, v12
	v_and_b32_e32 v2, v2, v13
	s_wait_loadcnt 0x0
	s_delay_alu instid0(VALU_DEP_2) | instskip(NEXT) | instid1(VALU_DEP_1)
	v_mad_co_u64_u32 v[9:10], null, v1, 24, v[14:15]
	v_mov_b32_e32 v1, v10
	s_delay_alu instid0(VALU_DEP_1) | instskip(NEXT) | instid1(VALU_DEP_1)
	v_mad_co_u64_u32 v[1:2], null, v2, 24, v[1:2]
	v_mov_b32_e32 v10, v1
	global_load_b64 v[10:11], v[9:10], off scope:SCOPE_SYS
	s_wait_loadcnt 0x0
	global_atomic_cmpswap_b64 v[10:11], v0, v[10:13], s[2:3] offset:24 th:TH_ATOMIC_RETURN scope:SCOPE_SYS
	s_wait_loadcnt 0x0
	global_inv scope:SCOPE_SYS
	v_cmp_eq_u64_e32 vcc_lo, v[10:11], v[12:13]
	s_wait_alu 0xfffe
	s_or_b32 s5, vcc_lo, s5
	s_wait_alu 0xfffe
	s_and_not1_b32 exec_lo, exec_lo, s5
	s_cbranch_execnz .LBB6_519
; %bb.520:
	s_or_b32 exec_lo, exec_lo, s5
.LBB6_521:
	s_wait_alu 0xfffe
	s_or_b32 exec_lo, exec_lo, s4
.LBB6_522:
	s_wait_alu 0xfffe
	s_or_b32 exec_lo, exec_lo, s1
	v_readfirstlane_b32 s1, v11
	v_mov_b32_e32 v9, 0
	v_readfirstlane_b32 s4, v10
	s_mov_b32 s5, exec_lo
	s_clause 0x1
	global_load_b64 v[12:13], v9, s[2:3] offset:40
	global_load_b128 v[0:3], v9, s[2:3]
	s_wait_loadcnt 0x1
	s_wait_alu 0xf1ff
	v_and_b32_e32 v14, s1, v13
	v_and_b32_e32 v13, s4, v12
	s_delay_alu instid0(VALU_DEP_2) | instskip(NEXT) | instid1(VALU_DEP_2)
	v_mul_lo_u32 v10, 24, v14
	v_mul_lo_u32 v11, 0, v13
	v_mul_hi_u32 v12, 24, v13
	v_mul_lo_u32 v15, 24, v13
	s_delay_alu instid0(VALU_DEP_3) | instskip(SKIP_1) | instid1(VALU_DEP_2)
	v_add_nc_u32_e32 v10, v10, v11
	s_wait_loadcnt 0x0
	v_add_co_u32 v11, vcc_lo, v0, v15
	s_delay_alu instid0(VALU_DEP_2) | instskip(SKIP_1) | instid1(VALU_DEP_1)
	v_add_nc_u32_e32 v10, v10, v12
	s_wait_alu 0xfffd
	v_add_co_ci_u32_e32 v12, vcc_lo, v1, v10, vcc_lo
	s_and_saveexec_b32 s6, s0
	s_cbranch_execz .LBB6_524
; %bb.523:
	s_wait_alu 0xfffe
	v_dual_mov_b32 v15, s5 :: v_dual_mov_b32 v16, v9
	v_dual_mov_b32 v17, 2 :: v_dual_mov_b32 v18, 1
	global_store_b128 v[11:12], v[15:18], off offset:8
.LBB6_524:
	s_wait_alu 0xfffe
	s_or_b32 exec_lo, exec_lo, s6
	v_lshlrev_b64_e32 v[13:14], 12, v[13:14]
	s_mov_b32 s16, 0
	v_and_or_b32 v7, 0xffffff1f, v7, 32
	s_wait_alu 0xfffe
	s_mov_b32 s17, s16
	s_mov_b32 s18, s16
	;; [unrolled: 1-line block ×3, first 2 shown]
	v_add_co_u32 v2, vcc_lo, v2, v13
	s_wait_alu 0xfffd
	v_add_co_ci_u32_e32 v3, vcc_lo, v3, v14, vcc_lo
	v_dual_mov_b32 v10, v9 :: v_dual_mov_b32 v15, s16
	s_delay_alu instid0(VALU_DEP_3) | instskip(SKIP_1) | instid1(VALU_DEP_4)
	v_add_co_u32 v13, vcc_lo, v2, v34
	v_readfirstlane_b32 s6, v2
	v_readfirstlane_b32 s7, v3
	s_wait_alu 0xfffd
	v_add_co_ci_u32_e32 v14, vcc_lo, 0, v3, vcc_lo
	s_wait_alu 0xfffe
	v_dual_mov_b32 v16, s17 :: v_dual_mov_b32 v17, s18
	v_mov_b32_e32 v18, s19
	s_clause 0x3
	global_store_b128 v34, v[7:10], s[6:7]
	global_store_b128 v34, v[15:18], s[6:7] offset:16
	global_store_b128 v34, v[15:18], s[6:7] offset:32
	;; [unrolled: 1-line block ×3, first 2 shown]
	s_and_saveexec_b32 s5, s0
	s_cbranch_execz .LBB6_532
; %bb.525:
	v_mov_b32_e32 v9, 0
	v_mov_b32_e32 v15, s4
	s_mov_b32 s6, exec_lo
	s_clause 0x1
	global_load_b64 v[17:18], v9, s[2:3] offset:32 scope:SCOPE_SYS
	global_load_b64 v[2:3], v9, s[2:3] offset:40
	v_mov_b32_e32 v16, s1
	s_wait_loadcnt 0x0
	v_and_b32_e32 v2, s4, v2
	v_and_b32_e32 v3, s1, v3
	s_delay_alu instid0(VALU_DEP_2) | instskip(NEXT) | instid1(VALU_DEP_2)
	v_mul_lo_u32 v7, 0, v2
	v_mul_lo_u32 v3, 24, v3
	v_mul_hi_u32 v8, 24, v2
	v_mul_lo_u32 v2, 24, v2
	s_delay_alu instid0(VALU_DEP_3) | instskip(NEXT) | instid1(VALU_DEP_2)
	v_add_nc_u32_e32 v3, v3, v7
	v_add_co_u32 v7, vcc_lo, v0, v2
	s_delay_alu instid0(VALU_DEP_2) | instskip(SKIP_1) | instid1(VALU_DEP_1)
	v_add_nc_u32_e32 v3, v3, v8
	s_wait_alu 0xfffd
	v_add_co_ci_u32_e32 v8, vcc_lo, v1, v3, vcc_lo
	global_store_b64 v[7:8], v[17:18], off
	global_wb scope:SCOPE_SYS
	s_wait_storecnt 0x0
	global_atomic_cmpswap_b64 v[2:3], v9, v[15:18], s[2:3] offset:32 th:TH_ATOMIC_RETURN scope:SCOPE_SYS
	s_wait_loadcnt 0x0
	v_cmpx_ne_u64_e64 v[2:3], v[17:18]
	s_cbranch_execz .LBB6_528
; %bb.526:
	s_mov_b32 s7, 0
.LBB6_527:                              ; =>This Inner Loop Header: Depth=1
	v_dual_mov_b32 v0, s4 :: v_dual_mov_b32 v1, s1
	s_sleep 1
	global_store_b64 v[7:8], v[2:3], off
	global_wb scope:SCOPE_SYS
	s_wait_storecnt 0x0
	global_atomic_cmpswap_b64 v[0:1], v9, v[0:3], s[2:3] offset:32 th:TH_ATOMIC_RETURN scope:SCOPE_SYS
	s_wait_loadcnt 0x0
	v_cmp_eq_u64_e32 vcc_lo, v[0:1], v[2:3]
	v_dual_mov_b32 v3, v1 :: v_dual_mov_b32 v2, v0
	s_wait_alu 0xfffe
	s_or_b32 s7, vcc_lo, s7
	s_wait_alu 0xfffe
	s_and_not1_b32 exec_lo, exec_lo, s7
	s_cbranch_execnz .LBB6_527
.LBB6_528:
	s_wait_alu 0xfffe
	s_or_b32 exec_lo, exec_lo, s6
	v_mov_b32_e32 v3, 0
	s_mov_b32 s7, exec_lo
	s_mov_b32 s6, exec_lo
	s_wait_alu 0xfffe
	v_mbcnt_lo_u32_b32 v2, s7, 0
	global_load_b64 v[0:1], v3, s[2:3] offset:16
	v_cmpx_eq_u32_e32 0, v2
	s_cbranch_execz .LBB6_530
; %bb.529:
	s_bcnt1_i32_b32 s7, s7
	s_wait_alu 0xfffe
	v_mov_b32_e32 v2, s7
	global_wb scope:SCOPE_SYS
	s_wait_loadcnt 0x0
	global_atomic_add_u64 v[0:1], v[2:3], off offset:8 scope:SCOPE_SYS
.LBB6_530:
	s_or_b32 exec_lo, exec_lo, s6
	s_wait_loadcnt 0x0
	global_load_b64 v[2:3], v[0:1], off offset:16
	s_wait_loadcnt 0x0
	v_cmp_eq_u64_e32 vcc_lo, 0, v[2:3]
	s_cbranch_vccnz .LBB6_532
; %bb.531:
	global_load_b32 v0, v[0:1], off offset:24
	v_mov_b32_e32 v1, 0
	s_wait_loadcnt 0x0
	v_and_b32_e32 v7, 0xffffff, v0
	global_wb scope:SCOPE_SYS
	s_wait_storecnt 0x0
	global_store_b64 v[2:3], v[0:1], off scope:SCOPE_SYS
	v_readfirstlane_b32 m0, v7
	s_sendmsg sendmsg(MSG_INTERRUPT)
.LBB6_532:
	s_wait_alu 0xfffe
	s_or_b32 exec_lo, exec_lo, s5
	s_branch .LBB6_536
.LBB6_533:                              ;   in Loop: Header=BB6_536 Depth=1
	s_wait_alu 0xfffe
	s_or_b32 exec_lo, exec_lo, s5
	s_delay_alu instid0(VALU_DEP_1) | instskip(NEXT) | instid1(VALU_DEP_1)
	v_readfirstlane_b32 s5, v0
	s_cmp_eq_u32 s5, 0
	s_cbranch_scc1 .LBB6_535
; %bb.534:                              ;   in Loop: Header=BB6_536 Depth=1
	s_sleep 1
	s_cbranch_execnz .LBB6_536
	s_branch .LBB6_538
.LBB6_535:
	s_branch .LBB6_538
.LBB6_536:                              ; =>This Inner Loop Header: Depth=1
	v_mov_b32_e32 v0, 1
	s_and_saveexec_b32 s5, s0
	s_cbranch_execz .LBB6_533
; %bb.537:                              ;   in Loop: Header=BB6_536 Depth=1
	global_load_b32 v0, v[11:12], off offset:20 scope:SCOPE_SYS
	s_wait_loadcnt 0x0
	global_inv scope:SCOPE_SYS
	v_and_b32_e32 v0, 1, v0
	s_branch .LBB6_533
.LBB6_538:
	global_load_b64 v[0:1], v[13:14], off
	s_and_saveexec_b32 s5, s0
	s_cbranch_execz .LBB6_542
; %bb.539:
	v_mov_b32_e32 v11, 0
	s_clause 0x2
	global_load_b64 v[2:3], v11, s[2:3] offset:40
	global_load_b64 v[12:13], v11, s[2:3] offset:24 scope:SCOPE_SYS
	global_load_b64 v[9:10], v11, s[2:3]
	s_wait_loadcnt 0x2
	v_add_co_u32 v14, vcc_lo, v2, 1
	s_wait_alu 0xfffd
	v_add_co_ci_u32_e32 v15, vcc_lo, 0, v3, vcc_lo
	s_delay_alu instid0(VALU_DEP_2) | instskip(SKIP_1) | instid1(VALU_DEP_2)
	v_add_co_u32 v7, vcc_lo, v14, s4
	s_wait_alu 0xfffd
	v_add_co_ci_u32_e32 v8, vcc_lo, s1, v15, vcc_lo
	s_delay_alu instid0(VALU_DEP_1) | instskip(SKIP_2) | instid1(VALU_DEP_1)
	v_cmp_eq_u64_e32 vcc_lo, 0, v[7:8]
	s_wait_alu 0xfffd
	v_dual_cndmask_b32 v8, v8, v15 :: v_dual_cndmask_b32 v7, v7, v14
	v_and_b32_e32 v3, v8, v3
	s_delay_alu instid0(VALU_DEP_2) | instskip(NEXT) | instid1(VALU_DEP_2)
	v_and_b32_e32 v2, v7, v2
	v_mul_lo_u32 v3, 24, v3
	s_delay_alu instid0(VALU_DEP_2) | instskip(SKIP_2) | instid1(VALU_DEP_3)
	v_mul_lo_u32 v14, 0, v2
	v_mul_hi_u32 v15, 24, v2
	v_mul_lo_u32 v2, 24, v2
	v_add_nc_u32_e32 v3, v3, v14
	s_wait_loadcnt 0x0
	s_delay_alu instid0(VALU_DEP_2) | instskip(SKIP_1) | instid1(VALU_DEP_3)
	v_add_co_u32 v2, vcc_lo, v9, v2
	v_mov_b32_e32 v9, v12
	v_add_nc_u32_e32 v3, v3, v15
	s_wait_alu 0xfffd
	s_delay_alu instid0(VALU_DEP_1)
	v_add_co_ci_u32_e32 v3, vcc_lo, v10, v3, vcc_lo
	v_mov_b32_e32 v10, v13
	global_store_b64 v[2:3], v[12:13], off
	global_wb scope:SCOPE_SYS
	s_wait_storecnt 0x0
	global_atomic_cmpswap_b64 v[9:10], v11, v[7:10], s[2:3] offset:24 th:TH_ATOMIC_RETURN scope:SCOPE_SYS
	s_wait_loadcnt 0x0
	v_cmp_ne_u64_e32 vcc_lo, v[9:10], v[12:13]
	s_and_b32 exec_lo, exec_lo, vcc_lo
	s_cbranch_execz .LBB6_542
; %bb.540:
	s_mov_b32 s0, 0
.LBB6_541:                              ; =>This Inner Loop Header: Depth=1
	s_sleep 1
	global_store_b64 v[2:3], v[9:10], off
	global_wb scope:SCOPE_SYS
	s_wait_storecnt 0x0
	global_atomic_cmpswap_b64 v[12:13], v11, v[7:10], s[2:3] offset:24 th:TH_ATOMIC_RETURN scope:SCOPE_SYS
	s_wait_loadcnt 0x0
	v_cmp_eq_u64_e32 vcc_lo, v[12:13], v[9:10]
	v_dual_mov_b32 v9, v12 :: v_dual_mov_b32 v10, v13
	s_wait_alu 0xfffe
	s_or_b32 s0, vcc_lo, s0
	s_wait_alu 0xfffe
	s_and_not1_b32 exec_lo, exec_lo, s0
	s_cbranch_execnz .LBB6_541
.LBB6_542:
	s_wait_alu 0xfffe
	s_or_b32 exec_lo, exec_lo, s5
.LBB6_543:
	s_getpc_b64 s[4:5]
	s_wait_alu 0xfffe
	s_sext_i32_i16 s5, s5
	s_add_co_u32 s4, s4, .str.1@rel32@lo+12
	s_wait_alu 0xfffe
	s_add_co_ci_u32 s5, s5, .str.1@rel32@hi+24
	s_wait_alu 0xfffe
	s_cmp_lg_u64 s[4:5], 0
	s_cbranch_scc0 .LBB6_622
; %bb.544:
	s_wait_loadcnt 0x0
	v_dual_mov_b32 v12, v1 :: v_dual_and_b32 v11, -3, v0
	v_dual_mov_b32 v8, 0 :: v_dual_mov_b32 v9, 2
	v_mov_b32_e32 v10, 1
	s_mov_b64 s[6:7], 0x4f
	s_branch .LBB6_546
.LBB6_545:                              ;   in Loop: Header=BB6_546 Depth=1
	s_wait_alu 0xfffe
	s_or_b32 exec_lo, exec_lo, s17
	s_sub_nc_u64 s[6:7], s[6:7], s[10:11]
	s_add_nc_u64 s[4:5], s[4:5], s[10:11]
	s_wait_alu 0xfffe
	s_cmp_lg_u64 s[6:7], 0
	s_cbranch_scc0 .LBB6_621
.LBB6_546:                              ; =>This Loop Header: Depth=1
                                        ;     Child Loop BB6_555 Depth 2
                                        ;     Child Loop BB6_551 Depth 2
	;; [unrolled: 1-line block ×11, first 2 shown]
	s_wait_alu 0xfffe
	v_cmp_lt_u64_e64 s0, s[6:7], 56
	v_cmp_gt_u64_e64 s1, s[6:7], 7
                                        ; implicit-def: $sgpr21
	s_delay_alu instid0(VALU_DEP_2) | instskip(SKIP_2) | instid1(VALU_DEP_1)
	s_and_b32 s0, s0, exec_lo
	s_cselect_b32 s11, s7, 0
	s_cselect_b32 s10, s6, 56
	s_and_b32 vcc_lo, exec_lo, s1
	s_mov_b32 s0, -1
	s_wait_alu 0xfffe
	s_cbranch_vccz .LBB6_553
; %bb.547:                              ;   in Loop: Header=BB6_546 Depth=1
	s_and_not1_b32 vcc_lo, exec_lo, s0
	s_mov_b64 s[0:1], s[4:5]
	s_wait_alu 0xfffe
	s_cbranch_vccz .LBB6_557
.LBB6_548:                              ;   in Loop: Header=BB6_546 Depth=1
	s_wait_alu 0xfffe
	s_cmp_gt_u32 s21, 7
	s_cbranch_scc1 .LBB6_558
.LBB6_549:                              ;   in Loop: Header=BB6_546 Depth=1
	v_mov_b32_e32 v15, 0
	v_mov_b32_e32 v16, 0
	s_cmp_eq_u32 s21, 0
	s_cbranch_scc1 .LBB6_552
; %bb.550:                              ;   in Loop: Header=BB6_546 Depth=1
	s_mov_b64 s[16:17], 0
	s_mov_b64 s[18:19], 0
.LBB6_551:                              ;   Parent Loop BB6_546 Depth=1
                                        ; =>  This Inner Loop Header: Depth=2
	s_wait_alu 0xfffe
	s_add_nc_u64 s[22:23], s[0:1], s[18:19]
	s_add_nc_u64 s[18:19], s[18:19], 1
	global_load_u8 v2, v8, s[22:23]
	s_wait_alu 0xfffe
	s_cmp_lg_u32 s21, s18
	s_wait_loadcnt 0x0
	v_and_b32_e32 v7, 0xffff, v2
	s_delay_alu instid0(VALU_DEP_1) | instskip(SKIP_1) | instid1(VALU_DEP_1)
	v_lshlrev_b64_e32 v[2:3], s16, v[7:8]
	s_add_nc_u64 s[16:17], s[16:17], 8
	v_or_b32_e32 v15, v2, v15
	s_delay_alu instid0(VALU_DEP_2)
	v_or_b32_e32 v16, v3, v16
	s_cbranch_scc1 .LBB6_551
.LBB6_552:                              ;   in Loop: Header=BB6_546 Depth=1
	s_mov_b32 s22, 0
	s_cbranch_execz .LBB6_559
	s_branch .LBB6_560
.LBB6_553:                              ;   in Loop: Header=BB6_546 Depth=1
	s_wait_loadcnt 0x0
	v_mov_b32_e32 v13, 0
	v_mov_b32_e32 v14, 0
	s_cmp_eq_u64 s[6:7], 0
	s_mov_b64 s[0:1], 0
	s_cbranch_scc1 .LBB6_556
; %bb.554:                              ;   in Loop: Header=BB6_546 Depth=1
	v_mov_b32_e32 v13, 0
	v_mov_b32_e32 v14, 0
	s_mov_b64 s[16:17], 0
.LBB6_555:                              ;   Parent Loop BB6_546 Depth=1
                                        ; =>  This Inner Loop Header: Depth=2
	s_wait_alu 0xfffe
	s_add_nc_u64 s[18:19], s[4:5], s[16:17]
	s_add_nc_u64 s[16:17], s[16:17], 1
	global_load_u8 v2, v8, s[18:19]
	s_wait_alu 0xfffe
	s_cmp_lg_u32 s10, s16
	s_wait_loadcnt 0x0
	v_and_b32_e32 v7, 0xffff, v2
	s_delay_alu instid0(VALU_DEP_1) | instskip(SKIP_1) | instid1(VALU_DEP_1)
	v_lshlrev_b64_e32 v[2:3], s0, v[7:8]
	s_add_nc_u64 s[0:1], s[0:1], 8
	v_or_b32_e32 v13, v2, v13
	s_delay_alu instid0(VALU_DEP_2)
	v_or_b32_e32 v14, v3, v14
	s_cbranch_scc1 .LBB6_555
.LBB6_556:                              ;   in Loop: Header=BB6_546 Depth=1
	s_mov_b32 s21, 0
	s_mov_b64 s[0:1], s[4:5]
	s_cbranch_execnz .LBB6_548
.LBB6_557:                              ;   in Loop: Header=BB6_546 Depth=1
	global_load_b64 v[13:14], v8, s[4:5]
	s_add_co_i32 s21, s10, -8
	s_add_nc_u64 s[0:1], s[4:5], 8
	s_wait_alu 0xfffe
	s_cmp_gt_u32 s21, 7
	s_cbranch_scc0 .LBB6_549
.LBB6_558:                              ;   in Loop: Header=BB6_546 Depth=1
                                        ; implicit-def: $vgpr15_vgpr16
                                        ; implicit-def: $sgpr22
.LBB6_559:                              ;   in Loop: Header=BB6_546 Depth=1
	global_load_b64 v[15:16], v8, s[0:1]
	s_add_co_i32 s22, s21, -8
	s_add_nc_u64 s[0:1], s[0:1], 8
.LBB6_560:                              ;   in Loop: Header=BB6_546 Depth=1
	s_wait_alu 0xfffe
	s_cmp_gt_u32 s22, 7
	s_cbranch_scc1 .LBB6_565
; %bb.561:                              ;   in Loop: Header=BB6_546 Depth=1
	v_mov_b32_e32 v17, 0
	v_mov_b32_e32 v18, 0
	s_cmp_eq_u32 s22, 0
	s_cbranch_scc1 .LBB6_564
; %bb.562:                              ;   in Loop: Header=BB6_546 Depth=1
	s_mov_b64 s[16:17], 0
	s_mov_b64 s[18:19], 0
.LBB6_563:                              ;   Parent Loop BB6_546 Depth=1
                                        ; =>  This Inner Loop Header: Depth=2
	s_wait_alu 0xfffe
	s_add_nc_u64 s[24:25], s[0:1], s[18:19]
	s_add_nc_u64 s[18:19], s[18:19], 1
	global_load_u8 v2, v8, s[24:25]
	s_wait_alu 0xfffe
	s_cmp_lg_u32 s22, s18
	s_wait_loadcnt 0x0
	v_and_b32_e32 v7, 0xffff, v2
	s_delay_alu instid0(VALU_DEP_1) | instskip(SKIP_1) | instid1(VALU_DEP_1)
	v_lshlrev_b64_e32 v[2:3], s16, v[7:8]
	s_add_nc_u64 s[16:17], s[16:17], 8
	v_or_b32_e32 v17, v2, v17
	s_delay_alu instid0(VALU_DEP_2)
	v_or_b32_e32 v18, v3, v18
	s_cbranch_scc1 .LBB6_563
.LBB6_564:                              ;   in Loop: Header=BB6_546 Depth=1
	s_mov_b32 s21, 0
	s_cbranch_execz .LBB6_566
	s_branch .LBB6_567
.LBB6_565:                              ;   in Loop: Header=BB6_546 Depth=1
                                        ; implicit-def: $sgpr21
.LBB6_566:                              ;   in Loop: Header=BB6_546 Depth=1
	global_load_b64 v[17:18], v8, s[0:1]
	s_add_co_i32 s21, s22, -8
	s_add_nc_u64 s[0:1], s[0:1], 8
.LBB6_567:                              ;   in Loop: Header=BB6_546 Depth=1
	s_wait_alu 0xfffe
	s_cmp_gt_u32 s21, 7
	s_cbranch_scc1 .LBB6_572
; %bb.568:                              ;   in Loop: Header=BB6_546 Depth=1
	v_mov_b32_e32 v19, 0
	v_mov_b32_e32 v20, 0
	s_cmp_eq_u32 s21, 0
	s_cbranch_scc1 .LBB6_571
; %bb.569:                              ;   in Loop: Header=BB6_546 Depth=1
	s_mov_b64 s[16:17], 0
	s_mov_b64 s[18:19], 0
.LBB6_570:                              ;   Parent Loop BB6_546 Depth=1
                                        ; =>  This Inner Loop Header: Depth=2
	s_wait_alu 0xfffe
	s_add_nc_u64 s[22:23], s[0:1], s[18:19]
	s_add_nc_u64 s[18:19], s[18:19], 1
	global_load_u8 v2, v8, s[22:23]
	s_wait_alu 0xfffe
	s_cmp_lg_u32 s21, s18
	s_wait_loadcnt 0x0
	v_and_b32_e32 v7, 0xffff, v2
	s_delay_alu instid0(VALU_DEP_1) | instskip(SKIP_1) | instid1(VALU_DEP_1)
	v_lshlrev_b64_e32 v[2:3], s16, v[7:8]
	s_add_nc_u64 s[16:17], s[16:17], 8
	v_or_b32_e32 v19, v2, v19
	s_delay_alu instid0(VALU_DEP_2)
	v_or_b32_e32 v20, v3, v20
	s_cbranch_scc1 .LBB6_570
.LBB6_571:                              ;   in Loop: Header=BB6_546 Depth=1
	s_mov_b32 s22, 0
	s_cbranch_execz .LBB6_573
	s_branch .LBB6_574
.LBB6_572:                              ;   in Loop: Header=BB6_546 Depth=1
                                        ; implicit-def: $vgpr19_vgpr20
                                        ; implicit-def: $sgpr22
.LBB6_573:                              ;   in Loop: Header=BB6_546 Depth=1
	global_load_b64 v[19:20], v8, s[0:1]
	s_add_co_i32 s22, s21, -8
	s_add_nc_u64 s[0:1], s[0:1], 8
.LBB6_574:                              ;   in Loop: Header=BB6_546 Depth=1
	s_wait_alu 0xfffe
	s_cmp_gt_u32 s22, 7
	s_cbranch_scc1 .LBB6_579
; %bb.575:                              ;   in Loop: Header=BB6_546 Depth=1
	v_mov_b32_e32 v21, 0
	v_mov_b32_e32 v22, 0
	s_cmp_eq_u32 s22, 0
	s_cbranch_scc1 .LBB6_578
; %bb.576:                              ;   in Loop: Header=BB6_546 Depth=1
	s_mov_b64 s[16:17], 0
	s_mov_b64 s[18:19], 0
.LBB6_577:                              ;   Parent Loop BB6_546 Depth=1
                                        ; =>  This Inner Loop Header: Depth=2
	s_wait_alu 0xfffe
	s_add_nc_u64 s[24:25], s[0:1], s[18:19]
	s_add_nc_u64 s[18:19], s[18:19], 1
	global_load_u8 v2, v8, s[24:25]
	s_wait_alu 0xfffe
	s_cmp_lg_u32 s22, s18
	s_wait_loadcnt 0x0
	v_and_b32_e32 v7, 0xffff, v2
	s_delay_alu instid0(VALU_DEP_1) | instskip(SKIP_1) | instid1(VALU_DEP_1)
	v_lshlrev_b64_e32 v[2:3], s16, v[7:8]
	s_add_nc_u64 s[16:17], s[16:17], 8
	v_or_b32_e32 v21, v2, v21
	s_delay_alu instid0(VALU_DEP_2)
	v_or_b32_e32 v22, v3, v22
	s_cbranch_scc1 .LBB6_577
.LBB6_578:                              ;   in Loop: Header=BB6_546 Depth=1
	s_mov_b32 s21, 0
	s_cbranch_execz .LBB6_580
	s_branch .LBB6_581
.LBB6_579:                              ;   in Loop: Header=BB6_546 Depth=1
                                        ; implicit-def: $sgpr21
.LBB6_580:                              ;   in Loop: Header=BB6_546 Depth=1
	global_load_b64 v[21:22], v8, s[0:1]
	s_add_co_i32 s21, s22, -8
	s_add_nc_u64 s[0:1], s[0:1], 8
.LBB6_581:                              ;   in Loop: Header=BB6_546 Depth=1
	s_wait_alu 0xfffe
	s_cmp_gt_u32 s21, 7
	s_cbranch_scc1 .LBB6_586
; %bb.582:                              ;   in Loop: Header=BB6_546 Depth=1
	v_mov_b32_e32 v23, 0
	v_mov_b32_e32 v24, 0
	s_cmp_eq_u32 s21, 0
	s_cbranch_scc1 .LBB6_585
; %bb.583:                              ;   in Loop: Header=BB6_546 Depth=1
	s_mov_b64 s[16:17], 0
	s_mov_b64 s[18:19], 0
.LBB6_584:                              ;   Parent Loop BB6_546 Depth=1
                                        ; =>  This Inner Loop Header: Depth=2
	s_wait_alu 0xfffe
	s_add_nc_u64 s[22:23], s[0:1], s[18:19]
	s_add_nc_u64 s[18:19], s[18:19], 1
	global_load_u8 v2, v8, s[22:23]
	s_wait_alu 0xfffe
	s_cmp_lg_u32 s21, s18
	s_wait_loadcnt 0x0
	v_and_b32_e32 v7, 0xffff, v2
	s_delay_alu instid0(VALU_DEP_1) | instskip(SKIP_1) | instid1(VALU_DEP_1)
	v_lshlrev_b64_e32 v[2:3], s16, v[7:8]
	s_add_nc_u64 s[16:17], s[16:17], 8
	v_or_b32_e32 v23, v2, v23
	s_delay_alu instid0(VALU_DEP_2)
	v_or_b32_e32 v24, v3, v24
	s_cbranch_scc1 .LBB6_584
.LBB6_585:                              ;   in Loop: Header=BB6_546 Depth=1
	s_mov_b32 s22, 0
	s_cbranch_execz .LBB6_587
	s_branch .LBB6_588
.LBB6_586:                              ;   in Loop: Header=BB6_546 Depth=1
                                        ; implicit-def: $vgpr23_vgpr24
                                        ; implicit-def: $sgpr22
.LBB6_587:                              ;   in Loop: Header=BB6_546 Depth=1
	global_load_b64 v[23:24], v8, s[0:1]
	s_add_co_i32 s22, s21, -8
	s_add_nc_u64 s[0:1], s[0:1], 8
.LBB6_588:                              ;   in Loop: Header=BB6_546 Depth=1
	s_wait_alu 0xfffe
	s_cmp_gt_u32 s22, 7
	s_cbranch_scc1 .LBB6_593
; %bb.589:                              ;   in Loop: Header=BB6_546 Depth=1
	v_mov_b32_e32 v25, 0
	v_mov_b32_e32 v26, 0
	s_cmp_eq_u32 s22, 0
	s_cbranch_scc1 .LBB6_592
; %bb.590:                              ;   in Loop: Header=BB6_546 Depth=1
	s_mov_b64 s[16:17], 0
	s_mov_b64 s[18:19], s[0:1]
.LBB6_591:                              ;   Parent Loop BB6_546 Depth=1
                                        ; =>  This Inner Loop Header: Depth=2
	global_load_u8 v2, v8, s[18:19]
	s_add_co_i32 s22, s22, -1
	s_wait_alu 0xfffe
	s_add_nc_u64 s[18:19], s[18:19], 1
	s_cmp_lg_u32 s22, 0
	s_wait_loadcnt 0x0
	v_and_b32_e32 v7, 0xffff, v2
	s_delay_alu instid0(VALU_DEP_1) | instskip(SKIP_1) | instid1(VALU_DEP_1)
	v_lshlrev_b64_e32 v[2:3], s16, v[7:8]
	s_add_nc_u64 s[16:17], s[16:17], 8
	v_or_b32_e32 v25, v2, v25
	s_delay_alu instid0(VALU_DEP_2)
	v_or_b32_e32 v26, v3, v26
	s_cbranch_scc1 .LBB6_591
.LBB6_592:                              ;   in Loop: Header=BB6_546 Depth=1
	s_cbranch_execz .LBB6_594
	s_branch .LBB6_595
.LBB6_593:                              ;   in Loop: Header=BB6_546 Depth=1
.LBB6_594:                              ;   in Loop: Header=BB6_546 Depth=1
	global_load_b64 v[25:26], v8, s[0:1]
.LBB6_595:                              ;   in Loop: Header=BB6_546 Depth=1
	v_readfirstlane_b32 s0, v35
	v_mov_b32_e32 v2, 0
	v_mov_b32_e32 v3, 0
	s_wait_alu 0xf1ff
	s_delay_alu instid0(VALU_DEP_3) | instskip(NEXT) | instid1(VALU_DEP_1)
	v_cmp_eq_u32_e64 s0, s0, v35
	s_and_saveexec_b32 s1, s0
	s_cbranch_execz .LBB6_601
; %bb.596:                              ;   in Loop: Header=BB6_546 Depth=1
	global_load_b64 v[29:30], v8, s[2:3] offset:24 scope:SCOPE_SYS
	s_wait_loadcnt 0x0
	global_inv scope:SCOPE_SYS
	s_clause 0x1
	global_load_b64 v[2:3], v8, s[2:3] offset:40
	global_load_b64 v[27:28], v8, s[2:3]
	s_mov_b32 s16, exec_lo
	s_wait_loadcnt 0x1
	v_and_b32_e32 v3, v3, v30
	v_and_b32_e32 v2, v2, v29
	s_delay_alu instid0(VALU_DEP_2) | instskip(NEXT) | instid1(VALU_DEP_2)
	v_mul_lo_u32 v3, 24, v3
	v_mul_lo_u32 v7, 0, v2
	v_mul_hi_u32 v31, 24, v2
	v_mul_lo_u32 v2, 24, v2
	s_delay_alu instid0(VALU_DEP_3) | instskip(SKIP_1) | instid1(VALU_DEP_2)
	v_add_nc_u32_e32 v3, v3, v7
	s_wait_loadcnt 0x0
	v_add_co_u32 v2, vcc_lo, v27, v2
	s_delay_alu instid0(VALU_DEP_2) | instskip(SKIP_1) | instid1(VALU_DEP_1)
	v_add_nc_u32_e32 v3, v3, v31
	s_wait_alu 0xfffd
	v_add_co_ci_u32_e32 v3, vcc_lo, v28, v3, vcc_lo
	global_load_b64 v[27:28], v[2:3], off scope:SCOPE_SYS
	s_wait_loadcnt 0x0
	global_atomic_cmpswap_b64 v[2:3], v8, v[27:30], s[2:3] offset:24 th:TH_ATOMIC_RETURN scope:SCOPE_SYS
	s_wait_loadcnt 0x0
	global_inv scope:SCOPE_SYS
	v_cmpx_ne_u64_e64 v[2:3], v[29:30]
	s_cbranch_execz .LBB6_600
; %bb.597:                              ;   in Loop: Header=BB6_546 Depth=1
	s_mov_b32 s17, 0
.LBB6_598:                              ;   Parent Loop BB6_546 Depth=1
                                        ; =>  This Inner Loop Header: Depth=2
	s_sleep 1
	s_clause 0x1
	global_load_b64 v[27:28], v8, s[2:3] offset:40
	global_load_b64 v[31:32], v8, s[2:3]
	v_dual_mov_b32 v30, v3 :: v_dual_mov_b32 v29, v2
	s_wait_loadcnt 0x1
	s_delay_alu instid0(VALU_DEP_1) | instskip(NEXT) | instid1(VALU_DEP_2)
	v_and_b32_e32 v2, v27, v29
	v_and_b32_e32 v7, v28, v30
	s_wait_loadcnt 0x0
	s_delay_alu instid0(VALU_DEP_2) | instskip(NEXT) | instid1(VALU_DEP_1)
	v_mad_co_u64_u32 v[2:3], null, v2, 24, v[31:32]
	v_mad_co_u64_u32 v[27:28], null, v7, 24, v[3:4]
	s_delay_alu instid0(VALU_DEP_1)
	v_mov_b32_e32 v3, v27
	global_load_b64 v[27:28], v[2:3], off scope:SCOPE_SYS
	s_wait_loadcnt 0x0
	global_atomic_cmpswap_b64 v[2:3], v8, v[27:30], s[2:3] offset:24 th:TH_ATOMIC_RETURN scope:SCOPE_SYS
	s_wait_loadcnt 0x0
	global_inv scope:SCOPE_SYS
	v_cmp_eq_u64_e32 vcc_lo, v[2:3], v[29:30]
	s_wait_alu 0xfffe
	s_or_b32 s17, vcc_lo, s17
	s_wait_alu 0xfffe
	s_and_not1_b32 exec_lo, exec_lo, s17
	s_cbranch_execnz .LBB6_598
; %bb.599:                              ;   in Loop: Header=BB6_546 Depth=1
	s_or_b32 exec_lo, exec_lo, s17
.LBB6_600:                              ;   in Loop: Header=BB6_546 Depth=1
	s_wait_alu 0xfffe
	s_or_b32 exec_lo, exec_lo, s16
.LBB6_601:                              ;   in Loop: Header=BB6_546 Depth=1
	s_wait_alu 0xfffe
	s_or_b32 exec_lo, exec_lo, s1
	s_clause 0x1
	global_load_b64 v[31:32], v8, s[2:3] offset:40
	global_load_b128 v[27:30], v8, s[2:3]
	v_readfirstlane_b32 s1, v3
	v_readfirstlane_b32 s16, v2
	s_mov_b32 s17, exec_lo
	s_wait_loadcnt 0x1
	s_wait_alu 0xf1ff
	v_and_b32_e32 v32, s1, v32
	v_and_b32_e32 v31, s16, v31
	s_delay_alu instid0(VALU_DEP_2) | instskip(NEXT) | instid1(VALU_DEP_2)
	v_mul_lo_u32 v2, 24, v32
	v_mul_lo_u32 v3, 0, v31
	v_mul_hi_u32 v7, 24, v31
	v_mul_lo_u32 v33, 24, v31
	s_delay_alu instid0(VALU_DEP_3) | instskip(NEXT) | instid1(VALU_DEP_1)
	v_add_nc_u32_e32 v2, v2, v3
	v_add_nc_u32_e32 v3, v2, v7
	s_wait_loadcnt 0x0
	s_delay_alu instid0(VALU_DEP_3) | instskip(SKIP_1) | instid1(VALU_DEP_2)
	v_add_co_u32 v2, vcc_lo, v27, v33
	s_wait_alu 0xfffd
	v_add_co_ci_u32_e32 v3, vcc_lo, v28, v3, vcc_lo
	s_and_saveexec_b32 s18, s0
	s_cbranch_execz .LBB6_603
; %bb.602:                              ;   in Loop: Header=BB6_546 Depth=1
	s_wait_alu 0xfffe
	v_mov_b32_e32 v7, s17
	global_store_b128 v[2:3], v[7:10], off offset:8
.LBB6_603:                              ;   in Loop: Header=BB6_546 Depth=1
	s_wait_alu 0xfffe
	s_or_b32 exec_lo, exec_lo, s18
	v_lshlrev_b64_e32 v[31:32], 12, v[31:32]
	v_cmp_gt_u64_e64 vcc_lo, s[6:7], 56
	v_or_b32_e32 v7, 2, v11
	s_lshl_b32 s17, s10, 2
	s_wait_alu 0xfffe
	s_add_co_i32 s17, s17, 28
	s_wait_alu 0xfffd
	v_cndmask_b32_e32 v7, v7, v11, vcc_lo
	v_add_co_u32 v29, vcc_lo, v29, v31
	s_wait_alu 0xfffd
	v_add_co_ci_u32_e32 v30, vcc_lo, v30, v32, vcc_lo
	s_wait_alu 0xfffe
	s_and_b32 s17, s17, 0x1e0
	v_readfirstlane_b32 s18, v29
	s_wait_alu 0xfffe
	v_and_or_b32 v11, 0xffffff1f, v7, s17
	v_readfirstlane_b32 s19, v30
	s_clause 0x3
	global_store_b128 v34, v[11:14], s[18:19]
	global_store_b128 v34, v[15:18], s[18:19] offset:16
	global_store_b128 v34, v[19:22], s[18:19] offset:32
	;; [unrolled: 1-line block ×3, first 2 shown]
	s_and_saveexec_b32 s17, s0
	s_cbranch_execz .LBB6_611
; %bb.604:                              ;   in Loop: Header=BB6_546 Depth=1
	s_clause 0x1
	global_load_b64 v[19:20], v8, s[2:3] offset:32 scope:SCOPE_SYS
	global_load_b64 v[11:12], v8, s[2:3] offset:40
	v_mov_b32_e32 v17, s16
	s_mov_b32 s18, exec_lo
	s_wait_loadcnt 0x0
	v_dual_mov_b32 v18, s1 :: v_dual_and_b32 v7, s1, v12
	v_and_b32_e32 v11, s16, v11
	s_delay_alu instid0(VALU_DEP_2) | instskip(NEXT) | instid1(VALU_DEP_2)
	v_mul_lo_u32 v7, 24, v7
	v_mul_lo_u32 v12, 0, v11
	v_mul_hi_u32 v13, 24, v11
	v_mul_lo_u32 v11, 24, v11
	s_delay_alu instid0(VALU_DEP_3) | instskip(NEXT) | instid1(VALU_DEP_2)
	v_add_nc_u32_e32 v7, v7, v12
	v_add_co_u32 v15, vcc_lo, v27, v11
	s_delay_alu instid0(VALU_DEP_2) | instskip(SKIP_1) | instid1(VALU_DEP_1)
	v_add_nc_u32_e32 v7, v7, v13
	s_wait_alu 0xfffd
	v_add_co_ci_u32_e32 v16, vcc_lo, v28, v7, vcc_lo
	global_store_b64 v[15:16], v[19:20], off
	global_wb scope:SCOPE_SYS
	s_wait_storecnt 0x0
	global_atomic_cmpswap_b64 v[13:14], v8, v[17:20], s[2:3] offset:32 th:TH_ATOMIC_RETURN scope:SCOPE_SYS
	s_wait_loadcnt 0x0
	v_cmpx_ne_u64_e64 v[13:14], v[19:20]
	s_cbranch_execz .LBB6_607
; %bb.605:                              ;   in Loop: Header=BB6_546 Depth=1
	s_mov_b32 s19, 0
.LBB6_606:                              ;   Parent Loop BB6_546 Depth=1
                                        ; =>  This Inner Loop Header: Depth=2
	v_dual_mov_b32 v11, s16 :: v_dual_mov_b32 v12, s1
	s_sleep 1
	global_store_b64 v[15:16], v[13:14], off
	global_wb scope:SCOPE_SYS
	s_wait_storecnt 0x0
	global_atomic_cmpswap_b64 v[11:12], v8, v[11:14], s[2:3] offset:32 th:TH_ATOMIC_RETURN scope:SCOPE_SYS
	s_wait_loadcnt 0x0
	v_cmp_eq_u64_e32 vcc_lo, v[11:12], v[13:14]
	v_dual_mov_b32 v14, v12 :: v_dual_mov_b32 v13, v11
	s_wait_alu 0xfffe
	s_or_b32 s19, vcc_lo, s19
	s_wait_alu 0xfffe
	s_and_not1_b32 exec_lo, exec_lo, s19
	s_cbranch_execnz .LBB6_606
.LBB6_607:                              ;   in Loop: Header=BB6_546 Depth=1
	s_wait_alu 0xfffe
	s_or_b32 exec_lo, exec_lo, s18
	global_load_b64 v[11:12], v8, s[2:3] offset:16
	s_mov_b32 s19, exec_lo
	s_mov_b32 s18, exec_lo
	s_wait_alu 0xfffe
	v_mbcnt_lo_u32_b32 v7, s19, 0
	s_delay_alu instid0(VALU_DEP_1)
	v_cmpx_eq_u32_e32 0, v7
	s_cbranch_execz .LBB6_609
; %bb.608:                              ;   in Loop: Header=BB6_546 Depth=1
	s_bcnt1_i32_b32 s19, s19
	s_wait_alu 0xfffe
	v_mov_b32_e32 v7, s19
	global_wb scope:SCOPE_SYS
	s_wait_loadcnt 0x0
	global_atomic_add_u64 v[11:12], v[7:8], off offset:8 scope:SCOPE_SYS
.LBB6_609:                              ;   in Loop: Header=BB6_546 Depth=1
	s_or_b32 exec_lo, exec_lo, s18
	s_wait_loadcnt 0x0
	global_load_b64 v[13:14], v[11:12], off offset:16
	s_wait_loadcnt 0x0
	v_cmp_eq_u64_e32 vcc_lo, 0, v[13:14]
	s_cbranch_vccnz .LBB6_611
; %bb.610:                              ;   in Loop: Header=BB6_546 Depth=1
	global_load_b32 v7, v[11:12], off offset:24
	s_wait_loadcnt 0x0
	v_and_b32_e32 v11, 0xffffff, v7
	global_wb scope:SCOPE_SYS
	s_wait_storecnt 0x0
	global_store_b64 v[13:14], v[7:8], off scope:SCOPE_SYS
	v_readfirstlane_b32 m0, v11
	s_sendmsg sendmsg(MSG_INTERRUPT)
.LBB6_611:                              ;   in Loop: Header=BB6_546 Depth=1
	s_wait_alu 0xfffe
	s_or_b32 exec_lo, exec_lo, s17
	v_add_co_u32 v11, vcc_lo, v29, v34
	s_wait_alu 0xfffd
	v_add_co_ci_u32_e32 v12, vcc_lo, 0, v30, vcc_lo
	s_branch .LBB6_615
.LBB6_612:                              ;   in Loop: Header=BB6_615 Depth=2
	s_wait_alu 0xfffe
	s_or_b32 exec_lo, exec_lo, s17
	s_delay_alu instid0(VALU_DEP_1) | instskip(NEXT) | instid1(VALU_DEP_1)
	v_readfirstlane_b32 s17, v7
	s_cmp_eq_u32 s17, 0
	s_cbranch_scc1 .LBB6_614
; %bb.613:                              ;   in Loop: Header=BB6_615 Depth=2
	s_sleep 1
	s_cbranch_execnz .LBB6_615
	s_branch .LBB6_617
.LBB6_614:                              ;   in Loop: Header=BB6_546 Depth=1
	s_branch .LBB6_617
.LBB6_615:                              ;   Parent Loop BB6_546 Depth=1
                                        ; =>  This Inner Loop Header: Depth=2
	v_mov_b32_e32 v7, 1
	s_and_saveexec_b32 s17, s0
	s_cbranch_execz .LBB6_612
; %bb.616:                              ;   in Loop: Header=BB6_615 Depth=2
	global_load_b32 v7, v[2:3], off offset:20 scope:SCOPE_SYS
	s_wait_loadcnt 0x0
	global_inv scope:SCOPE_SYS
	v_and_b32_e32 v7, 1, v7
	s_branch .LBB6_612
.LBB6_617:                              ;   in Loop: Header=BB6_546 Depth=1
	global_load_b128 v[11:14], v[11:12], off
	s_and_saveexec_b32 s17, s0
	s_cbranch_execz .LBB6_545
; %bb.618:                              ;   in Loop: Header=BB6_546 Depth=1
	s_clause 0x2
	global_load_b64 v[2:3], v8, s[2:3] offset:40
	global_load_b64 v[17:18], v8, s[2:3] offset:24 scope:SCOPE_SYS
	global_load_b64 v[15:16], v8, s[2:3]
	s_wait_loadcnt 0x2
	v_add_co_u32 v7, vcc_lo, v2, 1
	s_wait_alu 0xfffd
	v_add_co_ci_u32_e32 v19, vcc_lo, 0, v3, vcc_lo
	s_delay_alu instid0(VALU_DEP_2) | instskip(SKIP_1) | instid1(VALU_DEP_2)
	v_add_co_u32 v13, vcc_lo, v7, s16
	s_wait_alu 0xfffd
	v_add_co_ci_u32_e32 v14, vcc_lo, s1, v19, vcc_lo
	s_delay_alu instid0(VALU_DEP_1) | instskip(SKIP_3) | instid1(VALU_DEP_2)
	v_cmp_eq_u64_e32 vcc_lo, 0, v[13:14]
	s_wait_alu 0xfffd
	v_cndmask_b32_e32 v13, v13, v7, vcc_lo
	v_cndmask_b32_e32 v14, v14, v19, vcc_lo
	v_and_b32_e32 v2, v13, v2
	s_delay_alu instid0(VALU_DEP_1) | instskip(SKIP_3) | instid1(VALU_DEP_1)
	v_mul_lo_u32 v7, 0, v2
	v_mul_hi_u32 v19, 24, v2
	v_mul_lo_u32 v2, 24, v2
	s_wait_loadcnt 0x0
	v_add_co_u32 v2, vcc_lo, v15, v2
	v_mov_b32_e32 v15, v17
	v_and_b32_e32 v3, v14, v3
	s_delay_alu instid0(VALU_DEP_1) | instskip(NEXT) | instid1(VALU_DEP_1)
	v_mul_lo_u32 v3, 24, v3
	v_add_nc_u32_e32 v3, v3, v7
	s_delay_alu instid0(VALU_DEP_1) | instskip(SKIP_1) | instid1(VALU_DEP_1)
	v_add_nc_u32_e32 v3, v3, v19
	s_wait_alu 0xfffd
	v_add_co_ci_u32_e32 v3, vcc_lo, v16, v3, vcc_lo
	v_mov_b32_e32 v16, v18
	global_store_b64 v[2:3], v[17:18], off
	global_wb scope:SCOPE_SYS
	s_wait_storecnt 0x0
	global_atomic_cmpswap_b64 v[15:16], v8, v[13:16], s[2:3] offset:24 th:TH_ATOMIC_RETURN scope:SCOPE_SYS
	s_wait_loadcnt 0x0
	v_cmp_ne_u64_e32 vcc_lo, v[15:16], v[17:18]
	s_and_b32 exec_lo, exec_lo, vcc_lo
	s_cbranch_execz .LBB6_545
; %bb.619:                              ;   in Loop: Header=BB6_546 Depth=1
	s_mov_b32 s0, 0
.LBB6_620:                              ;   Parent Loop BB6_546 Depth=1
                                        ; =>  This Inner Loop Header: Depth=2
	s_sleep 1
	global_store_b64 v[2:3], v[15:16], off
	global_wb scope:SCOPE_SYS
	s_wait_storecnt 0x0
	global_atomic_cmpswap_b64 v[17:18], v8, v[13:16], s[2:3] offset:24 th:TH_ATOMIC_RETURN scope:SCOPE_SYS
	s_wait_loadcnt 0x0
	v_cmp_eq_u64_e32 vcc_lo, v[17:18], v[15:16]
	v_dual_mov_b32 v15, v17 :: v_dual_mov_b32 v16, v18
	s_wait_alu 0xfffe
	s_or_b32 s0, vcc_lo, s0
	s_wait_alu 0xfffe
	s_and_not1_b32 exec_lo, exec_lo, s0
	s_cbranch_execnz .LBB6_620
	s_branch .LBB6_545
.LBB6_621:
	s_branch .LBB6_650
.LBB6_622:
	s_cbranch_execz .LBB6_650
; %bb.623:
	v_readfirstlane_b32 s0, v35
	s_wait_loadcnt 0x0
	v_mov_b32_e32 v11, 0
	v_mov_b32_e32 v12, 0
	s_wait_alu 0xf1ff
	v_cmp_eq_u32_e64 s0, s0, v35
	s_delay_alu instid0(VALU_DEP_1)
	s_and_saveexec_b32 s1, s0
	s_cbranch_execz .LBB6_629
; %bb.624:
	v_mov_b32_e32 v2, 0
	s_mov_b32 s4, exec_lo
	global_load_b64 v[9:10], v2, s[2:3] offset:24 scope:SCOPE_SYS
	s_wait_loadcnt 0x0
	global_inv scope:SCOPE_SYS
	s_clause 0x1
	global_load_b64 v[7:8], v2, s[2:3] offset:40
	global_load_b64 v[11:12], v2, s[2:3]
	s_wait_loadcnt 0x1
	v_and_b32_e32 v3, v8, v10
	v_and_b32_e32 v7, v7, v9
	s_delay_alu instid0(VALU_DEP_2) | instskip(NEXT) | instid1(VALU_DEP_2)
	v_mul_lo_u32 v3, 24, v3
	v_mul_lo_u32 v8, 0, v7
	v_mul_hi_u32 v13, 24, v7
	v_mul_lo_u32 v7, 24, v7
	s_delay_alu instid0(VALU_DEP_3) | instskip(SKIP_1) | instid1(VALU_DEP_2)
	v_add_nc_u32_e32 v3, v3, v8
	s_wait_loadcnt 0x0
	v_add_co_u32 v7, vcc_lo, v11, v7
	s_delay_alu instid0(VALU_DEP_2) | instskip(SKIP_1) | instid1(VALU_DEP_1)
	v_add_nc_u32_e32 v3, v3, v13
	s_wait_alu 0xfffd
	v_add_co_ci_u32_e32 v8, vcc_lo, v12, v3, vcc_lo
	global_load_b64 v[7:8], v[7:8], off scope:SCOPE_SYS
	s_wait_loadcnt 0x0
	global_atomic_cmpswap_b64 v[11:12], v2, v[7:10], s[2:3] offset:24 th:TH_ATOMIC_RETURN scope:SCOPE_SYS
	s_wait_loadcnt 0x0
	global_inv scope:SCOPE_SYS
	v_cmpx_ne_u64_e64 v[11:12], v[9:10]
	s_cbranch_execz .LBB6_628
; %bb.625:
	s_mov_b32 s5, 0
.LBB6_626:                              ; =>This Inner Loop Header: Depth=1
	s_sleep 1
	s_clause 0x1
	global_load_b64 v[7:8], v2, s[2:3] offset:40
	global_load_b64 v[13:14], v2, s[2:3]
	v_dual_mov_b32 v9, v11 :: v_dual_mov_b32 v10, v12
	s_wait_loadcnt 0x1
	s_delay_alu instid0(VALU_DEP_1) | instskip(NEXT) | instid1(VALU_DEP_2)
	v_and_b32_e32 v3, v7, v9
	v_and_b32_e32 v7, v8, v10
	s_wait_loadcnt 0x0
	s_delay_alu instid0(VALU_DEP_2) | instskip(NEXT) | instid1(VALU_DEP_1)
	v_mad_co_u64_u32 v[11:12], null, v3, 24, v[13:14]
	v_mov_b32_e32 v3, v12
	s_delay_alu instid0(VALU_DEP_1) | instskip(NEXT) | instid1(VALU_DEP_1)
	v_mad_co_u64_u32 v[7:8], null, v7, 24, v[3:4]
	v_mov_b32_e32 v12, v7
	global_load_b64 v[7:8], v[11:12], off scope:SCOPE_SYS
	s_wait_loadcnt 0x0
	global_atomic_cmpswap_b64 v[11:12], v2, v[7:10], s[2:3] offset:24 th:TH_ATOMIC_RETURN scope:SCOPE_SYS
	s_wait_loadcnt 0x0
	global_inv scope:SCOPE_SYS
	v_cmp_eq_u64_e32 vcc_lo, v[11:12], v[9:10]
	s_wait_alu 0xfffe
	s_or_b32 s5, vcc_lo, s5
	s_wait_alu 0xfffe
	s_and_not1_b32 exec_lo, exec_lo, s5
	s_cbranch_execnz .LBB6_626
; %bb.627:
	s_or_b32 exec_lo, exec_lo, s5
.LBB6_628:
	s_wait_alu 0xfffe
	s_or_b32 exec_lo, exec_lo, s4
.LBB6_629:
	s_wait_alu 0xfffe
	s_or_b32 exec_lo, exec_lo, s1
	v_readfirstlane_b32 s4, v11
	v_mov_b32_e32 v2, 0
	v_readfirstlane_b32 s1, v12
	s_mov_b32 s5, exec_lo
	s_clause 0x1
	global_load_b64 v[13:14], v2, s[2:3] offset:40
	global_load_b128 v[7:10], v2, s[2:3]
	s_wait_loadcnt 0x1
	s_wait_alu 0xf1ff
	v_and_b32_e32 v13, s4, v13
	v_and_b32_e32 v14, s1, v14
	s_delay_alu instid0(VALU_DEP_2) | instskip(NEXT) | instid1(VALU_DEP_2)
	v_mul_lo_u32 v11, 0, v13
	v_mul_lo_u32 v3, 24, v14
	v_mul_hi_u32 v12, 24, v13
	v_mul_lo_u32 v15, 24, v13
	s_delay_alu instid0(VALU_DEP_3) | instskip(SKIP_1) | instid1(VALU_DEP_2)
	v_add_nc_u32_e32 v3, v3, v11
	s_wait_loadcnt 0x0
	v_add_co_u32 v11, vcc_lo, v7, v15
	s_delay_alu instid0(VALU_DEP_2) | instskip(SKIP_1) | instid1(VALU_DEP_1)
	v_add_nc_u32_e32 v3, v3, v12
	s_wait_alu 0xfffd
	v_add_co_ci_u32_e32 v12, vcc_lo, v8, v3, vcc_lo
	s_and_saveexec_b32 s6, s0
	s_cbranch_execz .LBB6_631
; %bb.630:
	s_wait_alu 0xfffe
	v_dual_mov_b32 v15, s5 :: v_dual_mov_b32 v16, v2
	v_dual_mov_b32 v17, 2 :: v_dual_mov_b32 v18, 1
	global_store_b128 v[11:12], v[15:18], off offset:8
.LBB6_631:
	s_wait_alu 0xfffe
	s_or_b32 exec_lo, exec_lo, s6
	v_lshlrev_b64_e32 v[13:14], 12, v[13:14]
	s_mov_b32 s16, 0
	v_and_or_b32 v0, 0xffffff1d, v0, 34
	s_wait_alu 0xfffe
	s_mov_b32 s17, s16
	s_mov_b32 s18, s16
	;; [unrolled: 1-line block ×3, first 2 shown]
	v_add_co_u32 v9, vcc_lo, v9, v13
	s_wait_alu 0xfffd
	v_add_co_ci_u32_e32 v10, vcc_lo, v10, v14, vcc_lo
	v_mov_b32_e32 v3, v2
	s_delay_alu instid0(VALU_DEP_3)
	v_readfirstlane_b32 s6, v9
	s_wait_alu 0xfffe
	v_dual_mov_b32 v13, s16 :: v_dual_mov_b32 v16, s19
	v_readfirstlane_b32 s7, v10
	v_dual_mov_b32 v14, s17 :: v_dual_mov_b32 v15, s18
	s_clause 0x3
	global_store_b128 v34, v[0:3], s[6:7]
	global_store_b128 v34, v[13:16], s[6:7] offset:16
	global_store_b128 v34, v[13:16], s[6:7] offset:32
	;; [unrolled: 1-line block ×3, first 2 shown]
	s_and_saveexec_b32 s5, s0
	s_cbranch_execz .LBB6_639
; %bb.632:
	v_mov_b32_e32 v9, 0
	v_mov_b32_e32 v13, s4
	s_mov_b32 s6, exec_lo
	s_clause 0x1
	global_load_b64 v[15:16], v9, s[2:3] offset:32 scope:SCOPE_SYS
	global_load_b64 v[0:1], v9, s[2:3] offset:40
	v_mov_b32_e32 v14, s1
	s_wait_loadcnt 0x0
	v_and_b32_e32 v0, s4, v0
	v_and_b32_e32 v1, s1, v1
	s_delay_alu instid0(VALU_DEP_2) | instskip(NEXT) | instid1(VALU_DEP_2)
	v_mul_lo_u32 v2, 0, v0
	v_mul_lo_u32 v1, 24, v1
	v_mul_hi_u32 v3, 24, v0
	v_mul_lo_u32 v0, 24, v0
	s_delay_alu instid0(VALU_DEP_3) | instskip(NEXT) | instid1(VALU_DEP_2)
	v_add_nc_u32_e32 v1, v1, v2
	v_add_co_u32 v7, vcc_lo, v7, v0
	s_delay_alu instid0(VALU_DEP_2) | instskip(SKIP_1) | instid1(VALU_DEP_1)
	v_add_nc_u32_e32 v1, v1, v3
	s_wait_alu 0xfffd
	v_add_co_ci_u32_e32 v8, vcc_lo, v8, v1, vcc_lo
	global_store_b64 v[7:8], v[15:16], off
	global_wb scope:SCOPE_SYS
	s_wait_storecnt 0x0
	global_atomic_cmpswap_b64 v[2:3], v9, v[13:16], s[2:3] offset:32 th:TH_ATOMIC_RETURN scope:SCOPE_SYS
	s_wait_loadcnt 0x0
	v_cmpx_ne_u64_e64 v[2:3], v[15:16]
	s_cbranch_execz .LBB6_635
; %bb.633:
	s_mov_b32 s7, 0
.LBB6_634:                              ; =>This Inner Loop Header: Depth=1
	v_dual_mov_b32 v0, s4 :: v_dual_mov_b32 v1, s1
	s_sleep 1
	global_store_b64 v[7:8], v[2:3], off
	global_wb scope:SCOPE_SYS
	s_wait_storecnt 0x0
	global_atomic_cmpswap_b64 v[0:1], v9, v[0:3], s[2:3] offset:32 th:TH_ATOMIC_RETURN scope:SCOPE_SYS
	s_wait_loadcnt 0x0
	v_cmp_eq_u64_e32 vcc_lo, v[0:1], v[2:3]
	v_dual_mov_b32 v3, v1 :: v_dual_mov_b32 v2, v0
	s_wait_alu 0xfffe
	s_or_b32 s7, vcc_lo, s7
	s_wait_alu 0xfffe
	s_and_not1_b32 exec_lo, exec_lo, s7
	s_cbranch_execnz .LBB6_634
.LBB6_635:
	s_wait_alu 0xfffe
	s_or_b32 exec_lo, exec_lo, s6
	v_mov_b32_e32 v3, 0
	s_mov_b32 s7, exec_lo
	s_mov_b32 s6, exec_lo
	s_wait_alu 0xfffe
	v_mbcnt_lo_u32_b32 v2, s7, 0
	global_load_b64 v[0:1], v3, s[2:3] offset:16
	v_cmpx_eq_u32_e32 0, v2
	s_cbranch_execz .LBB6_637
; %bb.636:
	s_bcnt1_i32_b32 s7, s7
	s_wait_alu 0xfffe
	v_mov_b32_e32 v2, s7
	global_wb scope:SCOPE_SYS
	s_wait_loadcnt 0x0
	global_atomic_add_u64 v[0:1], v[2:3], off offset:8 scope:SCOPE_SYS
.LBB6_637:
	s_or_b32 exec_lo, exec_lo, s6
	s_wait_loadcnt 0x0
	global_load_b64 v[2:3], v[0:1], off offset:16
	s_wait_loadcnt 0x0
	v_cmp_eq_u64_e32 vcc_lo, 0, v[2:3]
	s_cbranch_vccnz .LBB6_639
; %bb.638:
	global_load_b32 v0, v[0:1], off offset:24
	v_mov_b32_e32 v1, 0
	s_wait_loadcnt 0x0
	v_and_b32_e32 v7, 0xffffff, v0
	global_wb scope:SCOPE_SYS
	s_wait_storecnt 0x0
	global_store_b64 v[2:3], v[0:1], off scope:SCOPE_SYS
	v_readfirstlane_b32 m0, v7
	s_sendmsg sendmsg(MSG_INTERRUPT)
.LBB6_639:
	s_wait_alu 0xfffe
	s_or_b32 exec_lo, exec_lo, s5
	s_branch .LBB6_643
.LBB6_640:                              ;   in Loop: Header=BB6_643 Depth=1
	s_wait_alu 0xfffe
	s_or_b32 exec_lo, exec_lo, s5
	s_delay_alu instid0(VALU_DEP_1) | instskip(NEXT) | instid1(VALU_DEP_1)
	v_readfirstlane_b32 s5, v0
	s_cmp_eq_u32 s5, 0
	s_cbranch_scc1 .LBB6_642
; %bb.641:                              ;   in Loop: Header=BB6_643 Depth=1
	s_sleep 1
	s_cbranch_execnz .LBB6_643
	s_branch .LBB6_645
.LBB6_642:
	s_branch .LBB6_645
.LBB6_643:                              ; =>This Inner Loop Header: Depth=1
	v_mov_b32_e32 v0, 1
	s_and_saveexec_b32 s5, s0
	s_cbranch_execz .LBB6_640
; %bb.644:                              ;   in Loop: Header=BB6_643 Depth=1
	global_load_b32 v0, v[11:12], off offset:20 scope:SCOPE_SYS
	s_wait_loadcnt 0x0
	global_inv scope:SCOPE_SYS
	v_and_b32_e32 v0, 1, v0
	s_branch .LBB6_640
.LBB6_645:
	s_and_saveexec_b32 s5, s0
	s_cbranch_execz .LBB6_649
; %bb.646:
	v_mov_b32_e32 v9, 0
	s_clause 0x2
	global_load_b64 v[2:3], v9, s[2:3] offset:40
	global_load_b64 v[10:11], v9, s[2:3] offset:24 scope:SCOPE_SYS
	global_load_b64 v[7:8], v9, s[2:3]
	s_wait_loadcnt 0x2
	v_add_co_u32 v12, vcc_lo, v2, 1
	s_wait_alu 0xfffd
	v_add_co_ci_u32_e32 v13, vcc_lo, 0, v3, vcc_lo
	s_delay_alu instid0(VALU_DEP_2) | instskip(SKIP_1) | instid1(VALU_DEP_2)
	v_add_co_u32 v0, vcc_lo, v12, s4
	s_wait_alu 0xfffd
	v_add_co_ci_u32_e32 v1, vcc_lo, s1, v13, vcc_lo
	s_delay_alu instid0(VALU_DEP_1) | instskip(SKIP_2) | instid1(VALU_DEP_1)
	v_cmp_eq_u64_e32 vcc_lo, 0, v[0:1]
	s_wait_alu 0xfffd
	v_dual_cndmask_b32 v0, v0, v12 :: v_dual_cndmask_b32 v1, v1, v13
	v_and_b32_e32 v2, v0, v2
	s_delay_alu instid0(VALU_DEP_2) | instskip(NEXT) | instid1(VALU_DEP_2)
	v_and_b32_e32 v3, v1, v3
	v_mul_lo_u32 v12, 0, v2
	v_mul_hi_u32 v13, 24, v2
	v_mul_lo_u32 v2, 24, v2
	s_wait_loadcnt 0x0
	s_delay_alu instid0(VALU_DEP_1) | instskip(SKIP_2) | instid1(VALU_DEP_1)
	v_add_co_u32 v7, vcc_lo, v7, v2
	v_mov_b32_e32 v2, v10
	v_mul_lo_u32 v3, 24, v3
	v_add_nc_u32_e32 v3, v3, v12
	s_delay_alu instid0(VALU_DEP_1) | instskip(SKIP_1) | instid1(VALU_DEP_1)
	v_add_nc_u32_e32 v3, v3, v13
	s_wait_alu 0xfffd
	v_add_co_ci_u32_e32 v8, vcc_lo, v8, v3, vcc_lo
	v_mov_b32_e32 v3, v11
	global_store_b64 v[7:8], v[10:11], off
	global_wb scope:SCOPE_SYS
	s_wait_storecnt 0x0
	global_atomic_cmpswap_b64 v[2:3], v9, v[0:3], s[2:3] offset:24 th:TH_ATOMIC_RETURN scope:SCOPE_SYS
	s_wait_loadcnt 0x0
	v_cmp_ne_u64_e32 vcc_lo, v[2:3], v[10:11]
	s_and_b32 exec_lo, exec_lo, vcc_lo
	s_cbranch_execz .LBB6_649
; %bb.647:
	s_mov_b32 s0, 0
.LBB6_648:                              ; =>This Inner Loop Header: Depth=1
	s_sleep 1
	global_store_b64 v[7:8], v[2:3], off
	global_wb scope:SCOPE_SYS
	s_wait_storecnt 0x0
	global_atomic_cmpswap_b64 v[10:11], v9, v[0:3], s[2:3] offset:24 th:TH_ATOMIC_RETURN scope:SCOPE_SYS
	s_wait_loadcnt 0x0
	v_cmp_eq_u64_e32 vcc_lo, v[10:11], v[2:3]
	v_dual_mov_b32 v2, v10 :: v_dual_mov_b32 v3, v11
	s_wait_alu 0xfffe
	s_or_b32 s0, vcc_lo, s0
	s_wait_alu 0xfffe
	s_and_not1_b32 exec_lo, exec_lo, s0
	s_cbranch_execnz .LBB6_648
.LBB6_649:
	s_wait_alu 0xfffe
	s_or_b32 exec_lo, exec_lo, s5
.LBB6_650:
	v_readfirstlane_b32 s0, v35
	v_mov_b32_e32 v9, 0
	v_mov_b32_e32 v10, 0
	s_wait_alu 0xf1ff
	s_delay_alu instid0(VALU_DEP_3) | instskip(NEXT) | instid1(VALU_DEP_1)
	v_cmp_eq_u32_e64 s0, s0, v35
	s_and_saveexec_b32 s1, s0
	s_cbranch_execz .LBB6_656
; %bb.651:
	s_wait_loadcnt 0x0
	v_mov_b32_e32 v0, 0
	s_mov_b32 s4, exec_lo
	global_load_b64 v[11:12], v0, s[2:3] offset:24 scope:SCOPE_SYS
	s_wait_loadcnt 0x0
	global_inv scope:SCOPE_SYS
	s_clause 0x1
	global_load_b64 v[1:2], v0, s[2:3] offset:40
	global_load_b64 v[7:8], v0, s[2:3]
	s_wait_loadcnt 0x1
	v_and_b32_e32 v1, v1, v11
	v_and_b32_e32 v2, v2, v12
	s_delay_alu instid0(VALU_DEP_2) | instskip(NEXT) | instid1(VALU_DEP_2)
	v_mul_lo_u32 v3, 0, v1
	v_mul_lo_u32 v2, 24, v2
	v_mul_hi_u32 v9, 24, v1
	v_mul_lo_u32 v1, 24, v1
	s_delay_alu instid0(VALU_DEP_3) | instskip(SKIP_1) | instid1(VALU_DEP_2)
	v_add_nc_u32_e32 v2, v2, v3
	s_wait_loadcnt 0x0
	v_add_co_u32 v1, vcc_lo, v7, v1
	s_delay_alu instid0(VALU_DEP_2) | instskip(SKIP_1) | instid1(VALU_DEP_1)
	v_add_nc_u32_e32 v2, v2, v9
	s_wait_alu 0xfffd
	v_add_co_ci_u32_e32 v2, vcc_lo, v8, v2, vcc_lo
	global_load_b64 v[9:10], v[1:2], off scope:SCOPE_SYS
	s_wait_loadcnt 0x0
	global_atomic_cmpswap_b64 v[9:10], v0, v[9:12], s[2:3] offset:24 th:TH_ATOMIC_RETURN scope:SCOPE_SYS
	s_wait_loadcnt 0x0
	global_inv scope:SCOPE_SYS
	v_cmpx_ne_u64_e64 v[9:10], v[11:12]
	s_cbranch_execz .LBB6_655
; %bb.652:
	s_mov_b32 s5, 0
.LBB6_653:                              ; =>This Inner Loop Header: Depth=1
	s_sleep 1
	s_clause 0x1
	global_load_b64 v[1:2], v0, s[2:3] offset:40
	global_load_b64 v[7:8], v0, s[2:3]
	v_dual_mov_b32 v12, v10 :: v_dual_mov_b32 v11, v9
	s_wait_loadcnt 0x1
	s_delay_alu instid0(VALU_DEP_1) | instskip(SKIP_1) | instid1(VALU_DEP_1)
	v_and_b32_e32 v1, v1, v11
	s_wait_loadcnt 0x0
	v_mad_co_u64_u32 v[7:8], null, v1, 24, v[7:8]
	s_delay_alu instid0(VALU_DEP_1) | instskip(NEXT) | instid1(VALU_DEP_1)
	v_dual_mov_b32 v1, v8 :: v_dual_and_b32 v2, v2, v12
	v_mad_co_u64_u32 v[1:2], null, v2, 24, v[1:2]
	s_delay_alu instid0(VALU_DEP_1)
	v_mov_b32_e32 v8, v1
	global_load_b64 v[9:10], v[7:8], off scope:SCOPE_SYS
	s_wait_loadcnt 0x0
	global_atomic_cmpswap_b64 v[9:10], v0, v[9:12], s[2:3] offset:24 th:TH_ATOMIC_RETURN scope:SCOPE_SYS
	s_wait_loadcnt 0x0
	global_inv scope:SCOPE_SYS
	v_cmp_eq_u64_e32 vcc_lo, v[9:10], v[11:12]
	s_wait_alu 0xfffe
	s_or_b32 s5, vcc_lo, s5
	s_wait_alu 0xfffe
	s_and_not1_b32 exec_lo, exec_lo, s5
	s_cbranch_execnz .LBB6_653
; %bb.654:
	s_or_b32 exec_lo, exec_lo, s5
.LBB6_655:
	s_wait_alu 0xfffe
	s_or_b32 exec_lo, exec_lo, s4
.LBB6_656:
	s_wait_alu 0xfffe
	s_or_b32 exec_lo, exec_lo, s1
	v_readfirstlane_b32 s4, v9
	s_wait_loadcnt 0x0
	v_mov_b32_e32 v8, 0
	v_readfirstlane_b32 s1, v10
	s_mov_b32 s5, exec_lo
	s_clause 0x1
	global_load_b64 v[11:12], v8, s[2:3] offset:40
	global_load_b128 v[0:3], v8, s[2:3]
	s_wait_loadcnt 0x1
	s_wait_alu 0xf1ff
	v_and_b32_e32 v13, s4, v11
	v_and_b32_e32 v14, s1, v12
	s_delay_alu instid0(VALU_DEP_2) | instskip(NEXT) | instid1(VALU_DEP_2)
	v_mul_lo_u32 v9, 0, v13
	v_mul_lo_u32 v7, 24, v14
	v_mul_hi_u32 v10, 24, v13
	v_mul_lo_u32 v11, 24, v13
	s_delay_alu instid0(VALU_DEP_3) | instskip(SKIP_1) | instid1(VALU_DEP_2)
	v_add_nc_u32_e32 v7, v7, v9
	s_wait_loadcnt 0x0
	v_add_co_u32 v11, vcc_lo, v0, v11
	s_delay_alu instid0(VALU_DEP_2) | instskip(SKIP_1) | instid1(VALU_DEP_1)
	v_add_nc_u32_e32 v7, v7, v10
	s_wait_alu 0xfffd
	v_add_co_ci_u32_e32 v12, vcc_lo, v1, v7, vcc_lo
	s_and_saveexec_b32 s6, s0
	s_cbranch_execz .LBB6_658
; %bb.657:
	s_wait_alu 0xfffe
	v_dual_mov_b32 v7, s5 :: v_dual_mov_b32 v10, 1
	v_mov_b32_e32 v9, 2
	global_store_b128 v[11:12], v[7:10], off offset:8
.LBB6_658:
	s_wait_alu 0xfffe
	s_or_b32 exec_lo, exec_lo, s6
	v_lshlrev_b64_e32 v[13:14], 12, v[13:14]
	s_mov_b32 s16, 0
	v_dual_mov_b32 v7, 33 :: v_dual_mov_b32 v10, v8
	s_wait_alu 0xfffe
	s_mov_b32 s17, s16
	s_mov_b32 s18, s16
	v_add_co_u32 v2, vcc_lo, v2, v13
	s_wait_alu 0xfffd
	v_add_co_ci_u32_e32 v3, vcc_lo, v3, v14, vcc_lo
	s_mov_b32 s19, s16
	s_delay_alu instid0(VALU_DEP_2)
	v_add_co_u32 v13, vcc_lo, v2, v34
	v_mov_b32_e32 v9, v8
	v_readfirstlane_b32 s6, v2
	v_readfirstlane_b32 s7, v3
	s_wait_alu 0xfffe
	v_dual_mov_b32 v15, s16 :: v_dual_mov_b32 v18, s19
	s_wait_alu 0xfffd
	v_add_co_ci_u32_e32 v14, vcc_lo, 0, v3, vcc_lo
	v_dual_mov_b32 v16, s17 :: v_dual_mov_b32 v17, s18
	s_clause 0x3
	global_store_b128 v34, v[7:10], s[6:7]
	global_store_b128 v34, v[15:18], s[6:7] offset:16
	global_store_b128 v34, v[15:18], s[6:7] offset:32
	;; [unrolled: 1-line block ×3, first 2 shown]
	s_and_saveexec_b32 s5, s0
	s_cbranch_execz .LBB6_666
; %bb.659:
	v_mov_b32_e32 v9, 0
	v_mov_b32_e32 v15, s4
	s_mov_b32 s6, exec_lo
	s_clause 0x1
	global_load_b64 v[17:18], v9, s[2:3] offset:32 scope:SCOPE_SYS
	global_load_b64 v[2:3], v9, s[2:3] offset:40
	v_mov_b32_e32 v16, s1
	s_wait_loadcnt 0x0
	v_and_b32_e32 v2, s4, v2
	v_and_b32_e32 v3, s1, v3
	s_delay_alu instid0(VALU_DEP_2) | instskip(NEXT) | instid1(VALU_DEP_2)
	v_mul_lo_u32 v7, 0, v2
	v_mul_lo_u32 v3, 24, v3
	v_mul_hi_u32 v8, 24, v2
	v_mul_lo_u32 v2, 24, v2
	s_delay_alu instid0(VALU_DEP_3) | instskip(NEXT) | instid1(VALU_DEP_2)
	v_add_nc_u32_e32 v3, v3, v7
	v_add_co_u32 v7, vcc_lo, v0, v2
	s_delay_alu instid0(VALU_DEP_2) | instskip(SKIP_1) | instid1(VALU_DEP_1)
	v_add_nc_u32_e32 v3, v3, v8
	s_wait_alu 0xfffd
	v_add_co_ci_u32_e32 v8, vcc_lo, v1, v3, vcc_lo
	global_store_b64 v[7:8], v[17:18], off
	global_wb scope:SCOPE_SYS
	s_wait_storecnt 0x0
	global_atomic_cmpswap_b64 v[2:3], v9, v[15:18], s[2:3] offset:32 th:TH_ATOMIC_RETURN scope:SCOPE_SYS
	s_wait_loadcnt 0x0
	v_cmpx_ne_u64_e64 v[2:3], v[17:18]
	s_cbranch_execz .LBB6_662
; %bb.660:
	s_mov_b32 s7, 0
.LBB6_661:                              ; =>This Inner Loop Header: Depth=1
	v_dual_mov_b32 v0, s4 :: v_dual_mov_b32 v1, s1
	s_sleep 1
	global_store_b64 v[7:8], v[2:3], off
	global_wb scope:SCOPE_SYS
	s_wait_storecnt 0x0
	global_atomic_cmpswap_b64 v[0:1], v9, v[0:3], s[2:3] offset:32 th:TH_ATOMIC_RETURN scope:SCOPE_SYS
	s_wait_loadcnt 0x0
	v_cmp_eq_u64_e32 vcc_lo, v[0:1], v[2:3]
	v_dual_mov_b32 v3, v1 :: v_dual_mov_b32 v2, v0
	s_wait_alu 0xfffe
	s_or_b32 s7, vcc_lo, s7
	s_wait_alu 0xfffe
	s_and_not1_b32 exec_lo, exec_lo, s7
	s_cbranch_execnz .LBB6_661
.LBB6_662:
	s_wait_alu 0xfffe
	s_or_b32 exec_lo, exec_lo, s6
	v_mov_b32_e32 v3, 0
	s_mov_b32 s7, exec_lo
	s_mov_b32 s6, exec_lo
	s_wait_alu 0xfffe
	v_mbcnt_lo_u32_b32 v2, s7, 0
	global_load_b64 v[0:1], v3, s[2:3] offset:16
	v_cmpx_eq_u32_e32 0, v2
	s_cbranch_execz .LBB6_664
; %bb.663:
	s_bcnt1_i32_b32 s7, s7
	s_wait_alu 0xfffe
	v_mov_b32_e32 v2, s7
	global_wb scope:SCOPE_SYS
	s_wait_loadcnt 0x0
	global_atomic_add_u64 v[0:1], v[2:3], off offset:8 scope:SCOPE_SYS
.LBB6_664:
	s_or_b32 exec_lo, exec_lo, s6
	s_wait_loadcnt 0x0
	global_load_b64 v[2:3], v[0:1], off offset:16
	s_wait_loadcnt 0x0
	v_cmp_eq_u64_e32 vcc_lo, 0, v[2:3]
	s_cbranch_vccnz .LBB6_666
; %bb.665:
	global_load_b32 v0, v[0:1], off offset:24
	v_mov_b32_e32 v1, 0
	s_wait_loadcnt 0x0
	v_and_b32_e32 v7, 0xffffff, v0
	global_wb scope:SCOPE_SYS
	s_wait_storecnt 0x0
	global_store_b64 v[2:3], v[0:1], off scope:SCOPE_SYS
	v_readfirstlane_b32 m0, v7
	s_sendmsg sendmsg(MSG_INTERRUPT)
.LBB6_666:
	s_wait_alu 0xfffe
	s_or_b32 exec_lo, exec_lo, s5
	s_branch .LBB6_670
.LBB6_667:                              ;   in Loop: Header=BB6_670 Depth=1
	s_wait_alu 0xfffe
	s_or_b32 exec_lo, exec_lo, s5
	s_delay_alu instid0(VALU_DEP_1) | instskip(NEXT) | instid1(VALU_DEP_1)
	v_readfirstlane_b32 s5, v0
	s_cmp_eq_u32 s5, 0
	s_cbranch_scc1 .LBB6_669
; %bb.668:                              ;   in Loop: Header=BB6_670 Depth=1
	s_sleep 1
	s_cbranch_execnz .LBB6_670
	s_branch .LBB6_672
.LBB6_669:
	s_branch .LBB6_672
.LBB6_670:                              ; =>This Inner Loop Header: Depth=1
	v_mov_b32_e32 v0, 1
	s_and_saveexec_b32 s5, s0
	s_cbranch_execz .LBB6_667
; %bb.671:                              ;   in Loop: Header=BB6_670 Depth=1
	global_load_b32 v0, v[11:12], off offset:20 scope:SCOPE_SYS
	s_wait_loadcnt 0x0
	global_inv scope:SCOPE_SYS
	v_and_b32_e32 v0, 1, v0
	s_branch .LBB6_667
.LBB6_672:
	global_load_b64 v[0:1], v[13:14], off
	s_and_saveexec_b32 s5, s0
	s_cbranch_execz .LBB6_676
; %bb.673:
	v_mov_b32_e32 v11, 0
	s_clause 0x2
	global_load_b64 v[2:3], v11, s[2:3] offset:40
	global_load_b64 v[12:13], v11, s[2:3] offset:24 scope:SCOPE_SYS
	global_load_b64 v[9:10], v11, s[2:3]
	s_wait_loadcnt 0x2
	v_add_co_u32 v14, vcc_lo, v2, 1
	s_wait_alu 0xfffd
	v_add_co_ci_u32_e32 v15, vcc_lo, 0, v3, vcc_lo
	s_delay_alu instid0(VALU_DEP_2) | instskip(SKIP_1) | instid1(VALU_DEP_2)
	v_add_co_u32 v7, vcc_lo, v14, s4
	s_wait_alu 0xfffd
	v_add_co_ci_u32_e32 v8, vcc_lo, s1, v15, vcc_lo
	s_delay_alu instid0(VALU_DEP_1) | instskip(SKIP_2) | instid1(VALU_DEP_1)
	v_cmp_eq_u64_e32 vcc_lo, 0, v[7:8]
	s_wait_alu 0xfffd
	v_dual_cndmask_b32 v8, v8, v15 :: v_dual_cndmask_b32 v7, v7, v14
	v_and_b32_e32 v3, v8, v3
	s_delay_alu instid0(VALU_DEP_2) | instskip(NEXT) | instid1(VALU_DEP_2)
	v_and_b32_e32 v2, v7, v2
	v_mul_lo_u32 v3, 24, v3
	s_delay_alu instid0(VALU_DEP_2) | instskip(SKIP_2) | instid1(VALU_DEP_3)
	v_mul_lo_u32 v14, 0, v2
	v_mul_hi_u32 v15, 24, v2
	v_mul_lo_u32 v2, 24, v2
	v_add_nc_u32_e32 v3, v3, v14
	s_wait_loadcnt 0x0
	s_delay_alu instid0(VALU_DEP_2) | instskip(SKIP_1) | instid1(VALU_DEP_3)
	v_add_co_u32 v2, vcc_lo, v9, v2
	v_mov_b32_e32 v9, v12
	v_add_nc_u32_e32 v3, v3, v15
	s_wait_alu 0xfffd
	s_delay_alu instid0(VALU_DEP_1)
	v_add_co_ci_u32_e32 v3, vcc_lo, v10, v3, vcc_lo
	v_mov_b32_e32 v10, v13
	global_store_b64 v[2:3], v[12:13], off
	global_wb scope:SCOPE_SYS
	s_wait_storecnt 0x0
	global_atomic_cmpswap_b64 v[9:10], v11, v[7:10], s[2:3] offset:24 th:TH_ATOMIC_RETURN scope:SCOPE_SYS
	s_wait_loadcnt 0x0
	v_cmp_ne_u64_e32 vcc_lo, v[9:10], v[12:13]
	s_and_b32 exec_lo, exec_lo, vcc_lo
	s_cbranch_execz .LBB6_676
; %bb.674:
	s_mov_b32 s0, 0
.LBB6_675:                              ; =>This Inner Loop Header: Depth=1
	s_sleep 1
	global_store_b64 v[2:3], v[9:10], off
	global_wb scope:SCOPE_SYS
	s_wait_storecnt 0x0
	global_atomic_cmpswap_b64 v[12:13], v11, v[7:10], s[2:3] offset:24 th:TH_ATOMIC_RETURN scope:SCOPE_SYS
	s_wait_loadcnt 0x0
	v_cmp_eq_u64_e32 vcc_lo, v[12:13], v[9:10]
	v_dual_mov_b32 v9, v12 :: v_dual_mov_b32 v10, v13
	s_wait_alu 0xfffe
	s_or_b32 s0, vcc_lo, s0
	s_wait_alu 0xfffe
	s_and_not1_b32 exec_lo, exec_lo, s0
	s_cbranch_execnz .LBB6_675
.LBB6_676:
	s_wait_alu 0xfffe
	s_or_b32 exec_lo, exec_lo, s5
	s_delay_alu instid0(SALU_CYCLE_1)
	s_and_b32 vcc_lo, exec_lo, s20
	s_wait_alu 0xfffe
	s_cbranch_vccz .LBB6_755
; %bb.677:
	s_wait_loadcnt 0x0
	v_dual_mov_b32 v11, 0 :: v_dual_and_b32 v36, 2, v0
	v_dual_mov_b32 v8, v1 :: v_dual_and_b32 v7, -3, v0
	v_dual_mov_b32 v12, 2 :: v_dual_mov_b32 v13, 1
	s_mov_b64 s[6:7], 3
	s_getpc_b64 s[4:5]
	s_wait_alu 0xfffe
	s_sext_i32_i16 s5, s5
	s_add_co_u32 s4, s4, .str.8@rel32@lo+12
	s_wait_alu 0xfffe
	s_add_co_ci_u32 s5, s5, .str.8@rel32@hi+24
	s_branch .LBB6_679
.LBB6_678:                              ;   in Loop: Header=BB6_679 Depth=1
	s_wait_alu 0xfffe
	s_or_b32 exec_lo, exec_lo, s17
	s_sub_nc_u64 s[6:7], s[6:7], s[10:11]
	s_add_nc_u64 s[4:5], s[4:5], s[10:11]
	s_wait_alu 0xfffe
	s_cmp_lg_u64 s[6:7], 0
	s_cbranch_scc0 .LBB6_754
.LBB6_679:                              ; =>This Loop Header: Depth=1
                                        ;     Child Loop BB6_688 Depth 2
                                        ;     Child Loop BB6_684 Depth 2
	;; [unrolled: 1-line block ×11, first 2 shown]
	v_cmp_lt_u64_e64 s0, s[6:7], 56
	v_cmp_gt_u64_e64 s1, s[6:7], 7
                                        ; implicit-def: $vgpr16_vgpr17
                                        ; implicit-def: $sgpr21
	s_delay_alu instid0(VALU_DEP_2) | instskip(SKIP_2) | instid1(VALU_DEP_1)
	s_and_b32 s0, s0, exec_lo
	s_cselect_b32 s11, s7, 0
	s_cselect_b32 s10, s6, 56
	s_and_b32 vcc_lo, exec_lo, s1
	s_mov_b32 s0, -1
	s_wait_alu 0xfffe
	s_cbranch_vccz .LBB6_686
; %bb.680:                              ;   in Loop: Header=BB6_679 Depth=1
	s_and_not1_b32 vcc_lo, exec_lo, s0
	s_mov_b64 s[0:1], s[4:5]
	s_wait_alu 0xfffe
	s_cbranch_vccz .LBB6_690
.LBB6_681:                              ;   in Loop: Header=BB6_679 Depth=1
	s_wait_alu 0xfffe
	s_cmp_gt_u32 s21, 7
	s_cbranch_scc1 .LBB6_691
.LBB6_682:                              ;   in Loop: Header=BB6_679 Depth=1
	v_mov_b32_e32 v18, 0
	v_mov_b32_e32 v19, 0
	s_cmp_eq_u32 s21, 0
	s_cbranch_scc1 .LBB6_685
; %bb.683:                              ;   in Loop: Header=BB6_679 Depth=1
	s_mov_b64 s[16:17], 0
	s_mov_b64 s[18:19], 0
.LBB6_684:                              ;   Parent Loop BB6_679 Depth=1
                                        ; =>  This Inner Loop Header: Depth=2
	s_wait_alu 0xfffe
	s_add_nc_u64 s[22:23], s[0:1], s[18:19]
	s_add_nc_u64 s[18:19], s[18:19], 1
	global_load_u8 v2, v11, s[22:23]
	s_wait_alu 0xfffe
	s_cmp_lg_u32 s21, s18
	s_wait_loadcnt 0x0
	v_and_b32_e32 v10, 0xffff, v2
	s_delay_alu instid0(VALU_DEP_1) | instskip(SKIP_1) | instid1(VALU_DEP_1)
	v_lshlrev_b64_e32 v[2:3], s16, v[10:11]
	s_add_nc_u64 s[16:17], s[16:17], 8
	v_or_b32_e32 v18, v2, v18
	s_delay_alu instid0(VALU_DEP_2)
	v_or_b32_e32 v19, v3, v19
	s_cbranch_scc1 .LBB6_684
.LBB6_685:                              ;   in Loop: Header=BB6_679 Depth=1
	s_mov_b32 s22, 0
	s_cbranch_execz .LBB6_692
	s_branch .LBB6_693
.LBB6_686:                              ;   in Loop: Header=BB6_679 Depth=1
	v_mov_b32_e32 v16, 0
	v_mov_b32_e32 v17, 0
	s_cmp_eq_u64 s[6:7], 0
	s_mov_b64 s[0:1], 0
	s_cbranch_scc1 .LBB6_689
; %bb.687:                              ;   in Loop: Header=BB6_679 Depth=1
	v_mov_b32_e32 v16, 0
	v_mov_b32_e32 v17, 0
	s_mov_b64 s[16:17], 0
.LBB6_688:                              ;   Parent Loop BB6_679 Depth=1
                                        ; =>  This Inner Loop Header: Depth=2
	s_wait_alu 0xfffe
	s_add_nc_u64 s[18:19], s[4:5], s[16:17]
	s_add_nc_u64 s[16:17], s[16:17], 1
	global_load_u8 v2, v11, s[18:19]
	s_wait_alu 0xfffe
	s_cmp_lg_u32 s10, s16
	s_wait_loadcnt 0x0
	v_and_b32_e32 v10, 0xffff, v2
	s_delay_alu instid0(VALU_DEP_1) | instskip(SKIP_1) | instid1(VALU_DEP_1)
	v_lshlrev_b64_e32 v[2:3], s0, v[10:11]
	s_add_nc_u64 s[0:1], s[0:1], 8
	v_or_b32_e32 v16, v2, v16
	s_delay_alu instid0(VALU_DEP_2)
	v_or_b32_e32 v17, v3, v17
	s_cbranch_scc1 .LBB6_688
.LBB6_689:                              ;   in Loop: Header=BB6_679 Depth=1
	s_mov_b32 s21, 0
	s_mov_b64 s[0:1], s[4:5]
	s_cbranch_execnz .LBB6_681
.LBB6_690:                              ;   in Loop: Header=BB6_679 Depth=1
	global_load_b64 v[16:17], v11, s[4:5]
	s_add_co_i32 s21, s10, -8
	s_add_nc_u64 s[0:1], s[4:5], 8
	s_wait_alu 0xfffe
	s_cmp_gt_u32 s21, 7
	s_cbranch_scc0 .LBB6_682
.LBB6_691:                              ;   in Loop: Header=BB6_679 Depth=1
                                        ; implicit-def: $vgpr18_vgpr19
                                        ; implicit-def: $sgpr22
.LBB6_692:                              ;   in Loop: Header=BB6_679 Depth=1
	global_load_b64 v[18:19], v11, s[0:1]
	s_add_co_i32 s22, s21, -8
	s_add_nc_u64 s[0:1], s[0:1], 8
.LBB6_693:                              ;   in Loop: Header=BB6_679 Depth=1
	s_wait_alu 0xfffe
	s_cmp_gt_u32 s22, 7
	s_cbranch_scc1 .LBB6_698
; %bb.694:                              ;   in Loop: Header=BB6_679 Depth=1
	v_mov_b32_e32 v20, 0
	v_mov_b32_e32 v21, 0
	s_cmp_eq_u32 s22, 0
	s_cbranch_scc1 .LBB6_697
; %bb.695:                              ;   in Loop: Header=BB6_679 Depth=1
	s_mov_b64 s[16:17], 0
	s_mov_b64 s[18:19], 0
.LBB6_696:                              ;   Parent Loop BB6_679 Depth=1
                                        ; =>  This Inner Loop Header: Depth=2
	s_wait_alu 0xfffe
	s_add_nc_u64 s[24:25], s[0:1], s[18:19]
	s_add_nc_u64 s[18:19], s[18:19], 1
	global_load_u8 v2, v11, s[24:25]
	s_wait_alu 0xfffe
	s_cmp_lg_u32 s22, s18
	s_wait_loadcnt 0x0
	v_and_b32_e32 v10, 0xffff, v2
	s_delay_alu instid0(VALU_DEP_1) | instskip(SKIP_1) | instid1(VALU_DEP_1)
	v_lshlrev_b64_e32 v[2:3], s16, v[10:11]
	s_add_nc_u64 s[16:17], s[16:17], 8
	v_or_b32_e32 v20, v2, v20
	s_delay_alu instid0(VALU_DEP_2)
	v_or_b32_e32 v21, v3, v21
	s_cbranch_scc1 .LBB6_696
.LBB6_697:                              ;   in Loop: Header=BB6_679 Depth=1
	s_mov_b32 s21, 0
	s_cbranch_execz .LBB6_699
	s_branch .LBB6_700
.LBB6_698:                              ;   in Loop: Header=BB6_679 Depth=1
                                        ; implicit-def: $sgpr21
.LBB6_699:                              ;   in Loop: Header=BB6_679 Depth=1
	global_load_b64 v[20:21], v11, s[0:1]
	s_add_co_i32 s21, s22, -8
	s_add_nc_u64 s[0:1], s[0:1], 8
.LBB6_700:                              ;   in Loop: Header=BB6_679 Depth=1
	s_wait_alu 0xfffe
	s_cmp_gt_u32 s21, 7
	s_cbranch_scc1 .LBB6_705
; %bb.701:                              ;   in Loop: Header=BB6_679 Depth=1
	v_mov_b32_e32 v22, 0
	v_mov_b32_e32 v23, 0
	s_cmp_eq_u32 s21, 0
	s_cbranch_scc1 .LBB6_704
; %bb.702:                              ;   in Loop: Header=BB6_679 Depth=1
	s_mov_b64 s[16:17], 0
	s_mov_b64 s[18:19], 0
.LBB6_703:                              ;   Parent Loop BB6_679 Depth=1
                                        ; =>  This Inner Loop Header: Depth=2
	s_wait_alu 0xfffe
	s_add_nc_u64 s[22:23], s[0:1], s[18:19]
	s_add_nc_u64 s[18:19], s[18:19], 1
	global_load_u8 v2, v11, s[22:23]
	s_wait_alu 0xfffe
	s_cmp_lg_u32 s21, s18
	s_wait_loadcnt 0x0
	v_and_b32_e32 v10, 0xffff, v2
	s_delay_alu instid0(VALU_DEP_1) | instskip(SKIP_1) | instid1(VALU_DEP_1)
	v_lshlrev_b64_e32 v[2:3], s16, v[10:11]
	s_add_nc_u64 s[16:17], s[16:17], 8
	v_or_b32_e32 v22, v2, v22
	s_delay_alu instid0(VALU_DEP_2)
	v_or_b32_e32 v23, v3, v23
	s_cbranch_scc1 .LBB6_703
.LBB6_704:                              ;   in Loop: Header=BB6_679 Depth=1
	s_mov_b32 s22, 0
	s_cbranch_execz .LBB6_706
	s_branch .LBB6_707
.LBB6_705:                              ;   in Loop: Header=BB6_679 Depth=1
                                        ; implicit-def: $vgpr22_vgpr23
                                        ; implicit-def: $sgpr22
.LBB6_706:                              ;   in Loop: Header=BB6_679 Depth=1
	global_load_b64 v[22:23], v11, s[0:1]
	s_add_co_i32 s22, s21, -8
	s_add_nc_u64 s[0:1], s[0:1], 8
.LBB6_707:                              ;   in Loop: Header=BB6_679 Depth=1
	s_wait_alu 0xfffe
	s_cmp_gt_u32 s22, 7
	s_cbranch_scc1 .LBB6_712
; %bb.708:                              ;   in Loop: Header=BB6_679 Depth=1
	v_mov_b32_e32 v24, 0
	v_mov_b32_e32 v25, 0
	s_cmp_eq_u32 s22, 0
	s_cbranch_scc1 .LBB6_711
; %bb.709:                              ;   in Loop: Header=BB6_679 Depth=1
	s_mov_b64 s[16:17], 0
	s_mov_b64 s[18:19], 0
.LBB6_710:                              ;   Parent Loop BB6_679 Depth=1
                                        ; =>  This Inner Loop Header: Depth=2
	s_wait_alu 0xfffe
	s_add_nc_u64 s[24:25], s[0:1], s[18:19]
	s_add_nc_u64 s[18:19], s[18:19], 1
	global_load_u8 v2, v11, s[24:25]
	s_wait_alu 0xfffe
	s_cmp_lg_u32 s22, s18
	s_wait_loadcnt 0x0
	v_and_b32_e32 v10, 0xffff, v2
	s_delay_alu instid0(VALU_DEP_1) | instskip(SKIP_1) | instid1(VALU_DEP_1)
	v_lshlrev_b64_e32 v[2:3], s16, v[10:11]
	s_add_nc_u64 s[16:17], s[16:17], 8
	v_or_b32_e32 v24, v2, v24
	s_delay_alu instid0(VALU_DEP_2)
	v_or_b32_e32 v25, v3, v25
	s_cbranch_scc1 .LBB6_710
.LBB6_711:                              ;   in Loop: Header=BB6_679 Depth=1
	s_mov_b32 s21, 0
	s_cbranch_execz .LBB6_713
	s_branch .LBB6_714
.LBB6_712:                              ;   in Loop: Header=BB6_679 Depth=1
                                        ; implicit-def: $sgpr21
.LBB6_713:                              ;   in Loop: Header=BB6_679 Depth=1
	global_load_b64 v[24:25], v11, s[0:1]
	s_add_co_i32 s21, s22, -8
	s_add_nc_u64 s[0:1], s[0:1], 8
.LBB6_714:                              ;   in Loop: Header=BB6_679 Depth=1
	s_wait_alu 0xfffe
	s_cmp_gt_u32 s21, 7
	s_cbranch_scc1 .LBB6_719
; %bb.715:                              ;   in Loop: Header=BB6_679 Depth=1
	v_mov_b32_e32 v26, 0
	v_mov_b32_e32 v27, 0
	s_cmp_eq_u32 s21, 0
	s_cbranch_scc1 .LBB6_718
; %bb.716:                              ;   in Loop: Header=BB6_679 Depth=1
	s_mov_b64 s[16:17], 0
	s_mov_b64 s[18:19], 0
.LBB6_717:                              ;   Parent Loop BB6_679 Depth=1
                                        ; =>  This Inner Loop Header: Depth=2
	s_wait_alu 0xfffe
	s_add_nc_u64 s[22:23], s[0:1], s[18:19]
	s_add_nc_u64 s[18:19], s[18:19], 1
	global_load_u8 v2, v11, s[22:23]
	s_wait_alu 0xfffe
	s_cmp_lg_u32 s21, s18
	s_wait_loadcnt 0x0
	v_and_b32_e32 v10, 0xffff, v2
	s_delay_alu instid0(VALU_DEP_1) | instskip(SKIP_1) | instid1(VALU_DEP_1)
	v_lshlrev_b64_e32 v[2:3], s16, v[10:11]
	s_add_nc_u64 s[16:17], s[16:17], 8
	v_or_b32_e32 v26, v2, v26
	s_delay_alu instid0(VALU_DEP_2)
	v_or_b32_e32 v27, v3, v27
	s_cbranch_scc1 .LBB6_717
.LBB6_718:                              ;   in Loop: Header=BB6_679 Depth=1
	s_mov_b32 s22, 0
	s_cbranch_execz .LBB6_720
	s_branch .LBB6_721
.LBB6_719:                              ;   in Loop: Header=BB6_679 Depth=1
                                        ; implicit-def: $vgpr26_vgpr27
                                        ; implicit-def: $sgpr22
.LBB6_720:                              ;   in Loop: Header=BB6_679 Depth=1
	global_load_b64 v[26:27], v11, s[0:1]
	s_add_co_i32 s22, s21, -8
	s_add_nc_u64 s[0:1], s[0:1], 8
.LBB6_721:                              ;   in Loop: Header=BB6_679 Depth=1
	s_wait_alu 0xfffe
	s_cmp_gt_u32 s22, 7
	s_cbranch_scc1 .LBB6_726
; %bb.722:                              ;   in Loop: Header=BB6_679 Depth=1
	v_mov_b32_e32 v28, 0
	v_mov_b32_e32 v29, 0
	s_cmp_eq_u32 s22, 0
	s_cbranch_scc1 .LBB6_725
; %bb.723:                              ;   in Loop: Header=BB6_679 Depth=1
	s_mov_b64 s[16:17], 0
	s_mov_b64 s[18:19], s[0:1]
.LBB6_724:                              ;   Parent Loop BB6_679 Depth=1
                                        ; =>  This Inner Loop Header: Depth=2
	global_load_u8 v2, v11, s[18:19]
	s_add_co_i32 s22, s22, -1
	s_wait_alu 0xfffe
	s_add_nc_u64 s[18:19], s[18:19], 1
	s_cmp_lg_u32 s22, 0
	s_wait_loadcnt 0x0
	v_and_b32_e32 v10, 0xffff, v2
	s_delay_alu instid0(VALU_DEP_1) | instskip(SKIP_1) | instid1(VALU_DEP_1)
	v_lshlrev_b64_e32 v[2:3], s16, v[10:11]
	s_add_nc_u64 s[16:17], s[16:17], 8
	v_or_b32_e32 v28, v2, v28
	s_delay_alu instid0(VALU_DEP_2)
	v_or_b32_e32 v29, v3, v29
	s_cbranch_scc1 .LBB6_724
.LBB6_725:                              ;   in Loop: Header=BB6_679 Depth=1
	s_cbranch_execz .LBB6_727
	s_branch .LBB6_728
.LBB6_726:                              ;   in Loop: Header=BB6_679 Depth=1
.LBB6_727:                              ;   in Loop: Header=BB6_679 Depth=1
	global_load_b64 v[28:29], v11, s[0:1]
.LBB6_728:                              ;   in Loop: Header=BB6_679 Depth=1
	v_readfirstlane_b32 s0, v35
	v_mov_b32_e32 v2, 0
	v_mov_b32_e32 v3, 0
	s_wait_alu 0xf1ff
	s_delay_alu instid0(VALU_DEP_3) | instskip(NEXT) | instid1(VALU_DEP_1)
	v_cmp_eq_u32_e64 s0, s0, v35
	s_and_saveexec_b32 s1, s0
	s_cbranch_execz .LBB6_734
; %bb.729:                              ;   in Loop: Header=BB6_679 Depth=1
	global_load_b64 v[32:33], v11, s[2:3] offset:24 scope:SCOPE_SYS
	s_wait_loadcnt 0x0
	global_inv scope:SCOPE_SYS
	s_clause 0x1
	global_load_b64 v[2:3], v11, s[2:3] offset:40
	global_load_b64 v[9:10], v11, s[2:3]
	s_mov_b32 s16, exec_lo
	s_wait_loadcnt 0x1
	v_and_b32_e32 v3, v3, v33
	v_and_b32_e32 v2, v2, v32
	s_delay_alu instid0(VALU_DEP_2) | instskip(NEXT) | instid1(VALU_DEP_2)
	v_mul_lo_u32 v3, 24, v3
	v_mul_lo_u32 v14, 0, v2
	v_mul_hi_u32 v15, 24, v2
	v_mul_lo_u32 v2, 24, v2
	s_delay_alu instid0(VALU_DEP_3) | instskip(SKIP_1) | instid1(VALU_DEP_2)
	v_add_nc_u32_e32 v3, v3, v14
	s_wait_loadcnt 0x0
	v_add_co_u32 v2, vcc_lo, v9, v2
	s_delay_alu instid0(VALU_DEP_2) | instskip(SKIP_1) | instid1(VALU_DEP_1)
	v_add_nc_u32_e32 v3, v3, v15
	s_wait_alu 0xfffd
	v_add_co_ci_u32_e32 v3, vcc_lo, v10, v3, vcc_lo
	global_load_b64 v[30:31], v[2:3], off scope:SCOPE_SYS
	s_wait_loadcnt 0x0
	global_atomic_cmpswap_b64 v[2:3], v11, v[30:33], s[2:3] offset:24 th:TH_ATOMIC_RETURN scope:SCOPE_SYS
	s_wait_loadcnt 0x0
	global_inv scope:SCOPE_SYS
	v_cmpx_ne_u64_e64 v[2:3], v[32:33]
	s_cbranch_execz .LBB6_733
; %bb.730:                              ;   in Loop: Header=BB6_679 Depth=1
	s_mov_b32 s17, 0
.LBB6_731:                              ;   Parent Loop BB6_679 Depth=1
                                        ; =>  This Inner Loop Header: Depth=2
	s_sleep 1
	s_clause 0x1
	global_load_b64 v[9:10], v11, s[2:3] offset:40
	global_load_b64 v[14:15], v11, s[2:3]
	v_dual_mov_b32 v33, v3 :: v_dual_mov_b32 v32, v2
	s_wait_loadcnt 0x1
	s_delay_alu instid0(VALU_DEP_1) | instskip(NEXT) | instid1(VALU_DEP_2)
	v_and_b32_e32 v2, v9, v32
	v_and_b32_e32 v9, v10, v33
	s_wait_loadcnt 0x0
	s_delay_alu instid0(VALU_DEP_2) | instskip(NEXT) | instid1(VALU_DEP_1)
	v_mad_co_u64_u32 v[2:3], null, v2, 24, v[14:15]
	v_mad_co_u64_u32 v[9:10], null, v9, 24, v[3:4]
	s_delay_alu instid0(VALU_DEP_1)
	v_mov_b32_e32 v3, v9
	global_load_b64 v[30:31], v[2:3], off scope:SCOPE_SYS
	s_wait_loadcnt 0x0
	global_atomic_cmpswap_b64 v[2:3], v11, v[30:33], s[2:3] offset:24 th:TH_ATOMIC_RETURN scope:SCOPE_SYS
	s_wait_loadcnt 0x0
	global_inv scope:SCOPE_SYS
	v_cmp_eq_u64_e32 vcc_lo, v[2:3], v[32:33]
	s_wait_alu 0xfffe
	s_or_b32 s17, vcc_lo, s17
	s_wait_alu 0xfffe
	s_and_not1_b32 exec_lo, exec_lo, s17
	s_cbranch_execnz .LBB6_731
; %bb.732:                              ;   in Loop: Header=BB6_679 Depth=1
	s_or_b32 exec_lo, exec_lo, s17
.LBB6_733:                              ;   in Loop: Header=BB6_679 Depth=1
	s_wait_alu 0xfffe
	s_or_b32 exec_lo, exec_lo, s16
.LBB6_734:                              ;   in Loop: Header=BB6_679 Depth=1
	s_wait_alu 0xfffe
	s_or_b32 exec_lo, exec_lo, s1
	s_clause 0x1
	global_load_b64 v[9:10], v11, s[2:3] offset:40
	global_load_b128 v[30:33], v11, s[2:3]
	v_readfirstlane_b32 s1, v3
	v_readfirstlane_b32 s16, v2
	s_mov_b32 s17, exec_lo
	s_wait_loadcnt 0x1
	s_wait_alu 0xf1ff
	v_and_b32_e32 v15, s1, v10
	v_and_b32_e32 v14, s16, v9
	s_delay_alu instid0(VALU_DEP_2) | instskip(NEXT) | instid1(VALU_DEP_2)
	v_mul_lo_u32 v2, 24, v15
	v_mul_lo_u32 v3, 0, v14
	v_mul_hi_u32 v9, 24, v14
	v_mul_lo_u32 v10, 24, v14
	s_delay_alu instid0(VALU_DEP_3) | instskip(NEXT) | instid1(VALU_DEP_1)
	v_add_nc_u32_e32 v2, v2, v3
	v_add_nc_u32_e32 v3, v2, v9
	s_wait_loadcnt 0x0
	s_delay_alu instid0(VALU_DEP_3) | instskip(SKIP_1) | instid1(VALU_DEP_2)
	v_add_co_u32 v2, vcc_lo, v30, v10
	s_wait_alu 0xfffd
	v_add_co_ci_u32_e32 v3, vcc_lo, v31, v3, vcc_lo
	s_and_saveexec_b32 s18, s0
	s_cbranch_execz .LBB6_736
; %bb.735:                              ;   in Loop: Header=BB6_679 Depth=1
	s_wait_alu 0xfffe
	v_mov_b32_e32 v10, s17
	global_store_b128 v[2:3], v[10:13], off offset:8
.LBB6_736:                              ;   in Loop: Header=BB6_679 Depth=1
	s_wait_alu 0xfffe
	s_or_b32 exec_lo, exec_lo, s18
	v_cmp_gt_u64_e64 vcc_lo, s[6:7], 56
	v_lshlrev_b64_e32 v[9:10], 12, v[14:15]
	v_or_b32_e32 v39, 0, v8
	v_or_b32_e32 v48, v7, v36
	s_lshl_b32 s17, s10, 2
	s_wait_alu 0xfffe
	s_add_co_i32 s17, s17, 28
	s_wait_alu 0xfffd
	v_cndmask_b32_e32 v15, v39, v8, vcc_lo
	v_cndmask_b32_e32 v7, v48, v7, vcc_lo
	v_add_co_u32 v32, vcc_lo, v32, v9
	s_wait_alu 0xfffd
	v_add_co_ci_u32_e32 v33, vcc_lo, v33, v10, vcc_lo
	s_wait_alu 0xfffe
	s_and_b32 s17, s17, 0x1e0
	v_readfirstlane_b32 s18, v32
	s_wait_alu 0xfffe
	v_and_or_b32 v14, 0xffffff1f, v7, s17
	v_readfirstlane_b32 s19, v33
	s_clause 0x3
	global_store_b128 v34, v[14:17], s[18:19]
	global_store_b128 v34, v[18:21], s[18:19] offset:16
	global_store_b128 v34, v[22:25], s[18:19] offset:32
	;; [unrolled: 1-line block ×3, first 2 shown]
	s_and_saveexec_b32 s17, s0
	s_cbranch_execz .LBB6_744
; %bb.737:                              ;   in Loop: Header=BB6_679 Depth=1
	s_clause 0x1
	global_load_b64 v[18:19], v11, s[2:3] offset:32 scope:SCOPE_SYS
	global_load_b64 v[7:8], v11, s[2:3] offset:40
	s_mov_b32 s18, exec_lo
	v_dual_mov_b32 v16, s16 :: v_dual_mov_b32 v17, s1
	s_wait_loadcnt 0x0
	v_and_b32_e32 v8, s1, v8
	v_and_b32_e32 v7, s16, v7
	s_delay_alu instid0(VALU_DEP_2) | instskip(NEXT) | instid1(VALU_DEP_2)
	v_mul_lo_u32 v8, 24, v8
	v_mul_lo_u32 v9, 0, v7
	v_mul_hi_u32 v10, 24, v7
	v_mul_lo_u32 v7, 24, v7
	s_delay_alu instid0(VALU_DEP_3) | instskip(NEXT) | instid1(VALU_DEP_2)
	v_add_nc_u32_e32 v8, v8, v9
	v_add_co_u32 v14, vcc_lo, v30, v7
	s_delay_alu instid0(VALU_DEP_2) | instskip(SKIP_1) | instid1(VALU_DEP_1)
	v_add_nc_u32_e32 v8, v8, v10
	s_wait_alu 0xfffd
	v_add_co_ci_u32_e32 v15, vcc_lo, v31, v8, vcc_lo
	global_store_b64 v[14:15], v[18:19], off
	global_wb scope:SCOPE_SYS
	s_wait_storecnt 0x0
	global_atomic_cmpswap_b64 v[9:10], v11, v[16:19], s[2:3] offset:32 th:TH_ATOMIC_RETURN scope:SCOPE_SYS
	s_wait_loadcnt 0x0
	v_cmpx_ne_u64_e64 v[9:10], v[18:19]
	s_cbranch_execz .LBB6_740
; %bb.738:                              ;   in Loop: Header=BB6_679 Depth=1
	s_mov_b32 s19, 0
.LBB6_739:                              ;   Parent Loop BB6_679 Depth=1
                                        ; =>  This Inner Loop Header: Depth=2
	v_dual_mov_b32 v7, s16 :: v_dual_mov_b32 v8, s1
	s_sleep 1
	global_store_b64 v[14:15], v[9:10], off
	global_wb scope:SCOPE_SYS
	s_wait_storecnt 0x0
	global_atomic_cmpswap_b64 v[7:8], v11, v[7:10], s[2:3] offset:32 th:TH_ATOMIC_RETURN scope:SCOPE_SYS
	s_wait_loadcnt 0x0
	v_cmp_eq_u64_e32 vcc_lo, v[7:8], v[9:10]
	v_dual_mov_b32 v10, v8 :: v_dual_mov_b32 v9, v7
	s_wait_alu 0xfffe
	s_or_b32 s19, vcc_lo, s19
	s_wait_alu 0xfffe
	s_and_not1_b32 exec_lo, exec_lo, s19
	s_cbranch_execnz .LBB6_739
.LBB6_740:                              ;   in Loop: Header=BB6_679 Depth=1
	s_wait_alu 0xfffe
	s_or_b32 exec_lo, exec_lo, s18
	global_load_b64 v[7:8], v11, s[2:3] offset:16
	s_mov_b32 s19, exec_lo
	s_mov_b32 s18, exec_lo
	s_wait_alu 0xfffe
	v_mbcnt_lo_u32_b32 v9, s19, 0
	s_delay_alu instid0(VALU_DEP_1)
	v_cmpx_eq_u32_e32 0, v9
	s_cbranch_execz .LBB6_742
; %bb.741:                              ;   in Loop: Header=BB6_679 Depth=1
	s_bcnt1_i32_b32 s19, s19
	s_wait_alu 0xfffe
	v_mov_b32_e32 v10, s19
	global_wb scope:SCOPE_SYS
	s_wait_loadcnt 0x0
	global_atomic_add_u64 v[7:8], v[10:11], off offset:8 scope:SCOPE_SYS
.LBB6_742:                              ;   in Loop: Header=BB6_679 Depth=1
	s_or_b32 exec_lo, exec_lo, s18
	s_wait_loadcnt 0x0
	global_load_b64 v[14:15], v[7:8], off offset:16
	s_wait_loadcnt 0x0
	v_cmp_eq_u64_e32 vcc_lo, 0, v[14:15]
	s_cbranch_vccnz .LBB6_744
; %bb.743:                              ;   in Loop: Header=BB6_679 Depth=1
	global_load_b32 v10, v[7:8], off offset:24
	s_wait_loadcnt 0x0
	v_and_b32_e32 v7, 0xffffff, v10
	global_wb scope:SCOPE_SYS
	s_wait_storecnt 0x0
	global_store_b64 v[14:15], v[10:11], off scope:SCOPE_SYS
	v_readfirstlane_b32 m0, v7
	s_sendmsg sendmsg(MSG_INTERRUPT)
.LBB6_744:                              ;   in Loop: Header=BB6_679 Depth=1
	s_wait_alu 0xfffe
	s_or_b32 exec_lo, exec_lo, s17
	v_add_co_u32 v7, vcc_lo, v32, v34
	s_wait_alu 0xfffd
	v_add_co_ci_u32_e32 v8, vcc_lo, 0, v33, vcc_lo
	s_branch .LBB6_748
.LBB6_745:                              ;   in Loop: Header=BB6_748 Depth=2
	s_wait_alu 0xfffe
	s_or_b32 exec_lo, exec_lo, s17
	s_delay_alu instid0(VALU_DEP_1) | instskip(NEXT) | instid1(VALU_DEP_1)
	v_readfirstlane_b32 s17, v9
	s_cmp_eq_u32 s17, 0
	s_cbranch_scc1 .LBB6_747
; %bb.746:                              ;   in Loop: Header=BB6_748 Depth=2
	s_sleep 1
	s_cbranch_execnz .LBB6_748
	s_branch .LBB6_750
.LBB6_747:                              ;   in Loop: Header=BB6_679 Depth=1
	s_branch .LBB6_750
.LBB6_748:                              ;   Parent Loop BB6_679 Depth=1
                                        ; =>  This Inner Loop Header: Depth=2
	v_mov_b32_e32 v9, 1
	s_and_saveexec_b32 s17, s0
	s_cbranch_execz .LBB6_745
; %bb.749:                              ;   in Loop: Header=BB6_748 Depth=2
	global_load_b32 v9, v[2:3], off offset:20 scope:SCOPE_SYS
	s_wait_loadcnt 0x0
	global_inv scope:SCOPE_SYS
	v_and_b32_e32 v9, 1, v9
	s_branch .LBB6_745
.LBB6_750:                              ;   in Loop: Header=BB6_679 Depth=1
	global_load_b128 v[7:10], v[7:8], off
	s_and_saveexec_b32 s17, s0
	s_cbranch_execz .LBB6_678
; %bb.751:                              ;   in Loop: Header=BB6_679 Depth=1
	s_clause 0x2
	global_load_b64 v[2:3], v11, s[2:3] offset:40
	global_load_b64 v[9:10], v11, s[2:3] offset:24 scope:SCOPE_SYS
	global_load_b64 v[16:17], v11, s[2:3]
	s_wait_loadcnt 0x2
	v_add_co_u32 v18, vcc_lo, v2, 1
	s_wait_alu 0xfffd
	v_add_co_ci_u32_e32 v19, vcc_lo, 0, v3, vcc_lo
	s_delay_alu instid0(VALU_DEP_2) | instskip(SKIP_1) | instid1(VALU_DEP_2)
	v_add_co_u32 v14, vcc_lo, v18, s16
	s_wait_alu 0xfffd
	v_add_co_ci_u32_e32 v15, vcc_lo, s1, v19, vcc_lo
	s_delay_alu instid0(VALU_DEP_1) | instskip(SKIP_2) | instid1(VALU_DEP_1)
	v_cmp_eq_u64_e32 vcc_lo, 0, v[14:15]
	s_wait_alu 0xfffd
	v_dual_cndmask_b32 v15, v15, v19 :: v_dual_cndmask_b32 v14, v14, v18
	v_and_b32_e32 v3, v15, v3
	s_delay_alu instid0(VALU_DEP_2) | instskip(NEXT) | instid1(VALU_DEP_1)
	v_and_b32_e32 v2, v14, v2
	v_mul_lo_u32 v18, 0, v2
	v_mul_hi_u32 v19, 24, v2
	v_mul_lo_u32 v2, 24, v2
	s_wait_loadcnt 0x0
	s_delay_alu instid0(VALU_DEP_1) | instskip(SKIP_2) | instid1(VALU_DEP_1)
	v_add_co_u32 v2, vcc_lo, v16, v2
	v_mov_b32_e32 v16, v9
	v_mul_lo_u32 v3, 24, v3
	v_add_nc_u32_e32 v3, v3, v18
	s_delay_alu instid0(VALU_DEP_1) | instskip(SKIP_1) | instid1(VALU_DEP_1)
	v_add_nc_u32_e32 v3, v3, v19
	s_wait_alu 0xfffd
	v_add_co_ci_u32_e32 v3, vcc_lo, v17, v3, vcc_lo
	v_mov_b32_e32 v17, v10
	global_store_b64 v[2:3], v[9:10], off
	global_wb scope:SCOPE_SYS
	s_wait_storecnt 0x0
	global_atomic_cmpswap_b64 v[16:17], v11, v[14:17], s[2:3] offset:24 th:TH_ATOMIC_RETURN scope:SCOPE_SYS
	s_wait_loadcnt 0x0
	v_cmp_ne_u64_e32 vcc_lo, v[16:17], v[9:10]
	s_and_b32 exec_lo, exec_lo, vcc_lo
	s_cbranch_execz .LBB6_678
; %bb.752:                              ;   in Loop: Header=BB6_679 Depth=1
	s_mov_b32 s0, 0
.LBB6_753:                              ;   Parent Loop BB6_679 Depth=1
                                        ; =>  This Inner Loop Header: Depth=2
	s_sleep 1
	global_store_b64 v[2:3], v[16:17], off
	global_wb scope:SCOPE_SYS
	s_wait_storecnt 0x0
	global_atomic_cmpswap_b64 v[9:10], v11, v[14:17], s[2:3] offset:24 th:TH_ATOMIC_RETURN scope:SCOPE_SYS
	s_wait_loadcnt 0x0
	v_cmp_eq_u64_e32 vcc_lo, v[9:10], v[16:17]
	v_dual_mov_b32 v17, v10 :: v_dual_mov_b32 v16, v9
	s_wait_alu 0xfffe
	s_or_b32 s0, vcc_lo, s0
	s_wait_alu 0xfffe
	s_and_not1_b32 exec_lo, exec_lo, s0
	s_cbranch_execnz .LBB6_753
	s_branch .LBB6_678
.LBB6_754:
	s_branch .LBB6_783
.LBB6_755:
                                        ; implicit-def: $vgpr7_vgpr8
	s_cbranch_execz .LBB6_783
; %bb.756:
	v_readfirstlane_b32 s0, v35
	v_mov_b32_e32 v11, 0
	v_mov_b32_e32 v12, 0
	s_wait_alu 0xf1ff
	s_delay_alu instid0(VALU_DEP_3) | instskip(NEXT) | instid1(VALU_DEP_1)
	v_cmp_eq_u32_e64 s0, s0, v35
	s_and_saveexec_b32 s1, s0
	s_cbranch_execz .LBB6_762
; %bb.757:
	v_mov_b32_e32 v2, 0
	s_mov_b32 s4, exec_lo
	global_load_b64 v[9:10], v2, s[2:3] offset:24 scope:SCOPE_SYS
	s_wait_loadcnt 0x0
	global_inv scope:SCOPE_SYS
	s_clause 0x1
	global_load_b64 v[7:8], v2, s[2:3] offset:40
	global_load_b64 v[11:12], v2, s[2:3]
	s_wait_loadcnt 0x1
	v_and_b32_e32 v3, v8, v10
	v_and_b32_e32 v7, v7, v9
	s_delay_alu instid0(VALU_DEP_2) | instskip(NEXT) | instid1(VALU_DEP_2)
	v_mul_lo_u32 v3, 24, v3
	v_mul_lo_u32 v8, 0, v7
	v_mul_hi_u32 v13, 24, v7
	v_mul_lo_u32 v7, 24, v7
	s_delay_alu instid0(VALU_DEP_3) | instskip(SKIP_1) | instid1(VALU_DEP_2)
	v_add_nc_u32_e32 v3, v3, v8
	s_wait_loadcnt 0x0
	v_add_co_u32 v7, vcc_lo, v11, v7
	s_delay_alu instid0(VALU_DEP_2) | instskip(SKIP_1) | instid1(VALU_DEP_1)
	v_add_nc_u32_e32 v3, v3, v13
	s_wait_alu 0xfffd
	v_add_co_ci_u32_e32 v8, vcc_lo, v12, v3, vcc_lo
	global_load_b64 v[7:8], v[7:8], off scope:SCOPE_SYS
	s_wait_loadcnt 0x0
	global_atomic_cmpswap_b64 v[11:12], v2, v[7:10], s[2:3] offset:24 th:TH_ATOMIC_RETURN scope:SCOPE_SYS
	s_wait_loadcnt 0x0
	global_inv scope:SCOPE_SYS
	v_cmpx_ne_u64_e64 v[11:12], v[9:10]
	s_cbranch_execz .LBB6_761
; %bb.758:
	s_mov_b32 s5, 0
.LBB6_759:                              ; =>This Inner Loop Header: Depth=1
	s_sleep 1
	s_clause 0x1
	global_load_b64 v[7:8], v2, s[2:3] offset:40
	global_load_b64 v[13:14], v2, s[2:3]
	v_dual_mov_b32 v9, v11 :: v_dual_mov_b32 v10, v12
	s_wait_loadcnt 0x1
	s_delay_alu instid0(VALU_DEP_1) | instskip(NEXT) | instid1(VALU_DEP_2)
	v_and_b32_e32 v3, v7, v9
	v_and_b32_e32 v7, v8, v10
	s_wait_loadcnt 0x0
	s_delay_alu instid0(VALU_DEP_2) | instskip(NEXT) | instid1(VALU_DEP_1)
	v_mad_co_u64_u32 v[11:12], null, v3, 24, v[13:14]
	v_mov_b32_e32 v3, v12
	s_delay_alu instid0(VALU_DEP_1) | instskip(NEXT) | instid1(VALU_DEP_1)
	v_mad_co_u64_u32 v[7:8], null, v7, 24, v[3:4]
	v_mov_b32_e32 v12, v7
	global_load_b64 v[7:8], v[11:12], off scope:SCOPE_SYS
	s_wait_loadcnt 0x0
	global_atomic_cmpswap_b64 v[11:12], v2, v[7:10], s[2:3] offset:24 th:TH_ATOMIC_RETURN scope:SCOPE_SYS
	s_wait_loadcnt 0x0
	global_inv scope:SCOPE_SYS
	v_cmp_eq_u64_e32 vcc_lo, v[11:12], v[9:10]
	s_wait_alu 0xfffe
	s_or_b32 s5, vcc_lo, s5
	s_wait_alu 0xfffe
	s_and_not1_b32 exec_lo, exec_lo, s5
	s_cbranch_execnz .LBB6_759
; %bb.760:
	s_or_b32 exec_lo, exec_lo, s5
.LBB6_761:
	s_wait_alu 0xfffe
	s_or_b32 exec_lo, exec_lo, s4
.LBB6_762:
	s_wait_alu 0xfffe
	s_or_b32 exec_lo, exec_lo, s1
	v_readfirstlane_b32 s4, v11
	v_mov_b32_e32 v2, 0
	v_readfirstlane_b32 s1, v12
	s_mov_b32 s5, exec_lo
	s_clause 0x1
	global_load_b64 v[13:14], v2, s[2:3] offset:40
	global_load_b128 v[7:10], v2, s[2:3]
	s_wait_loadcnt 0x1
	s_wait_alu 0xf1ff
	v_and_b32_e32 v13, s4, v13
	v_and_b32_e32 v14, s1, v14
	s_delay_alu instid0(VALU_DEP_2) | instskip(NEXT) | instid1(VALU_DEP_2)
	v_mul_lo_u32 v11, 0, v13
	v_mul_lo_u32 v3, 24, v14
	v_mul_hi_u32 v12, 24, v13
	v_mul_lo_u32 v15, 24, v13
	s_delay_alu instid0(VALU_DEP_3) | instskip(SKIP_1) | instid1(VALU_DEP_2)
	v_add_nc_u32_e32 v3, v3, v11
	s_wait_loadcnt 0x0
	v_add_co_u32 v11, vcc_lo, v7, v15
	s_delay_alu instid0(VALU_DEP_2) | instskip(SKIP_1) | instid1(VALU_DEP_1)
	v_add_nc_u32_e32 v3, v3, v12
	s_wait_alu 0xfffd
	v_add_co_ci_u32_e32 v12, vcc_lo, v8, v3, vcc_lo
	s_and_saveexec_b32 s6, s0
	s_cbranch_execz .LBB6_764
; %bb.763:
	s_wait_alu 0xfffe
	v_dual_mov_b32 v15, s5 :: v_dual_mov_b32 v16, v2
	v_dual_mov_b32 v17, 2 :: v_dual_mov_b32 v18, 1
	global_store_b128 v[11:12], v[15:18], off offset:8
.LBB6_764:
	s_wait_alu 0xfffe
	s_or_b32 exec_lo, exec_lo, s6
	v_lshlrev_b64_e32 v[13:14], 12, v[13:14]
	s_mov_b32 s16, 0
	v_and_or_b32 v0, 0xffffff1f, v0, 32
	s_wait_alu 0xfffe
	s_mov_b32 s17, s16
	s_mov_b32 s18, s16
	;; [unrolled: 1-line block ×3, first 2 shown]
	v_add_co_u32 v9, vcc_lo, v9, v13
	s_wait_alu 0xfffd
	v_add_co_ci_u32_e32 v10, vcc_lo, v10, v14, vcc_lo
	v_mov_b32_e32 v3, v2
	s_delay_alu instid0(VALU_DEP_3) | instskip(SKIP_1) | instid1(VALU_DEP_4)
	v_readfirstlane_b32 s6, v9
	v_add_co_u32 v9, vcc_lo, v9, v34
	v_readfirstlane_b32 s7, v10
	s_wait_alu 0xfffe
	v_dual_mov_b32 v13, s16 :: v_dual_mov_b32 v16, s19
	s_wait_alu 0xfffd
	v_add_co_ci_u32_e32 v10, vcc_lo, 0, v10, vcc_lo
	v_dual_mov_b32 v14, s17 :: v_dual_mov_b32 v15, s18
	s_clause 0x3
	global_store_b128 v34, v[0:3], s[6:7]
	global_store_b128 v34, v[13:16], s[6:7] offset:16
	global_store_b128 v34, v[13:16], s[6:7] offset:32
	;; [unrolled: 1-line block ×3, first 2 shown]
	s_and_saveexec_b32 s5, s0
	s_cbranch_execz .LBB6_772
; %bb.765:
	v_mov_b32_e32 v13, 0
	v_mov_b32_e32 v15, s1
	s_mov_b32 s6, exec_lo
	s_clause 0x1
	global_load_b64 v[16:17], v13, s[2:3] offset:32 scope:SCOPE_SYS
	global_load_b64 v[0:1], v13, s[2:3] offset:40
	v_mov_b32_e32 v14, s4
	s_wait_loadcnt 0x0
	v_and_b32_e32 v0, s4, v0
	v_and_b32_e32 v1, s1, v1
	s_delay_alu instid0(VALU_DEP_2) | instskip(NEXT) | instid1(VALU_DEP_2)
	v_mul_lo_u32 v2, 0, v0
	v_mul_lo_u32 v1, 24, v1
	v_mul_hi_u32 v3, 24, v0
	v_mul_lo_u32 v0, 24, v0
	s_delay_alu instid0(VALU_DEP_3) | instskip(NEXT) | instid1(VALU_DEP_2)
	v_add_nc_u32_e32 v1, v1, v2
	v_add_co_u32 v7, vcc_lo, v7, v0
	s_delay_alu instid0(VALU_DEP_2) | instskip(SKIP_1) | instid1(VALU_DEP_1)
	v_add_nc_u32_e32 v1, v1, v3
	s_wait_alu 0xfffd
	v_add_co_ci_u32_e32 v8, vcc_lo, v8, v1, vcc_lo
	global_store_b64 v[7:8], v[16:17], off
	global_wb scope:SCOPE_SYS
	s_wait_storecnt 0x0
	global_atomic_cmpswap_b64 v[2:3], v13, v[14:17], s[2:3] offset:32 th:TH_ATOMIC_RETURN scope:SCOPE_SYS
	s_wait_loadcnt 0x0
	v_cmpx_ne_u64_e64 v[2:3], v[16:17]
	s_cbranch_execz .LBB6_768
; %bb.766:
	s_mov_b32 s7, 0
.LBB6_767:                              ; =>This Inner Loop Header: Depth=1
	v_dual_mov_b32 v0, s4 :: v_dual_mov_b32 v1, s1
	s_sleep 1
	global_store_b64 v[7:8], v[2:3], off
	global_wb scope:SCOPE_SYS
	s_wait_storecnt 0x0
	global_atomic_cmpswap_b64 v[0:1], v13, v[0:3], s[2:3] offset:32 th:TH_ATOMIC_RETURN scope:SCOPE_SYS
	s_wait_loadcnt 0x0
	v_cmp_eq_u64_e32 vcc_lo, v[0:1], v[2:3]
	v_dual_mov_b32 v3, v1 :: v_dual_mov_b32 v2, v0
	s_wait_alu 0xfffe
	s_or_b32 s7, vcc_lo, s7
	s_wait_alu 0xfffe
	s_and_not1_b32 exec_lo, exec_lo, s7
	s_cbranch_execnz .LBB6_767
.LBB6_768:
	s_wait_alu 0xfffe
	s_or_b32 exec_lo, exec_lo, s6
	v_mov_b32_e32 v3, 0
	s_mov_b32 s7, exec_lo
	s_mov_b32 s6, exec_lo
	s_wait_alu 0xfffe
	v_mbcnt_lo_u32_b32 v2, s7, 0
	global_load_b64 v[0:1], v3, s[2:3] offset:16
	v_cmpx_eq_u32_e32 0, v2
	s_cbranch_execz .LBB6_770
; %bb.769:
	s_bcnt1_i32_b32 s7, s7
	s_wait_alu 0xfffe
	v_mov_b32_e32 v2, s7
	global_wb scope:SCOPE_SYS
	s_wait_loadcnt 0x0
	global_atomic_add_u64 v[0:1], v[2:3], off offset:8 scope:SCOPE_SYS
.LBB6_770:
	s_or_b32 exec_lo, exec_lo, s6
	s_wait_loadcnt 0x0
	global_load_b64 v[2:3], v[0:1], off offset:16
	s_wait_loadcnt 0x0
	v_cmp_eq_u64_e32 vcc_lo, 0, v[2:3]
	s_cbranch_vccnz .LBB6_772
; %bb.771:
	global_load_b32 v0, v[0:1], off offset:24
	v_mov_b32_e32 v1, 0
	s_wait_loadcnt 0x0
	v_and_b32_e32 v7, 0xffffff, v0
	global_wb scope:SCOPE_SYS
	s_wait_storecnt 0x0
	global_store_b64 v[2:3], v[0:1], off scope:SCOPE_SYS
	v_readfirstlane_b32 m0, v7
	s_sendmsg sendmsg(MSG_INTERRUPT)
.LBB6_772:
	s_wait_alu 0xfffe
	s_or_b32 exec_lo, exec_lo, s5
	s_branch .LBB6_776
.LBB6_773:                              ;   in Loop: Header=BB6_776 Depth=1
	s_wait_alu 0xfffe
	s_or_b32 exec_lo, exec_lo, s5
	s_delay_alu instid0(VALU_DEP_1) | instskip(NEXT) | instid1(VALU_DEP_1)
	v_readfirstlane_b32 s5, v0
	s_cmp_eq_u32 s5, 0
	s_cbranch_scc1 .LBB6_775
; %bb.774:                              ;   in Loop: Header=BB6_776 Depth=1
	s_sleep 1
	s_cbranch_execnz .LBB6_776
	s_branch .LBB6_778
.LBB6_775:
	s_branch .LBB6_778
.LBB6_776:                              ; =>This Inner Loop Header: Depth=1
	v_mov_b32_e32 v0, 1
	s_and_saveexec_b32 s5, s0
	s_cbranch_execz .LBB6_773
; %bb.777:                              ;   in Loop: Header=BB6_776 Depth=1
	global_load_b32 v0, v[11:12], off offset:20 scope:SCOPE_SYS
	s_wait_loadcnt 0x0
	global_inv scope:SCOPE_SYS
	v_and_b32_e32 v0, 1, v0
	s_branch .LBB6_773
.LBB6_778:
	global_load_b64 v[7:8], v[9:10], off
	s_and_saveexec_b32 s5, s0
	s_cbranch_execz .LBB6_782
; %bb.779:
	v_mov_b32_e32 v11, 0
	s_clause 0x2
	global_load_b64 v[2:3], v11, s[2:3] offset:40
	global_load_b64 v[12:13], v11, s[2:3] offset:24 scope:SCOPE_SYS
	global_load_b64 v[9:10], v11, s[2:3]
	s_wait_loadcnt 0x2
	v_add_co_u32 v14, vcc_lo, v2, 1
	s_wait_alu 0xfffd
	v_add_co_ci_u32_e32 v15, vcc_lo, 0, v3, vcc_lo
	s_delay_alu instid0(VALU_DEP_2) | instskip(SKIP_1) | instid1(VALU_DEP_2)
	v_add_co_u32 v0, vcc_lo, v14, s4
	s_wait_alu 0xfffd
	v_add_co_ci_u32_e32 v1, vcc_lo, s1, v15, vcc_lo
	s_delay_alu instid0(VALU_DEP_1) | instskip(SKIP_2) | instid1(VALU_DEP_1)
	v_cmp_eq_u64_e32 vcc_lo, 0, v[0:1]
	s_wait_alu 0xfffd
	v_dual_cndmask_b32 v0, v0, v14 :: v_dual_cndmask_b32 v1, v1, v15
	v_and_b32_e32 v2, v0, v2
	s_delay_alu instid0(VALU_DEP_2) | instskip(NEXT) | instid1(VALU_DEP_2)
	v_and_b32_e32 v3, v1, v3
	v_mul_lo_u32 v14, 0, v2
	v_mul_hi_u32 v15, 24, v2
	v_mul_lo_u32 v2, 24, v2
	s_wait_loadcnt 0x0
	s_delay_alu instid0(VALU_DEP_1) | instskip(SKIP_2) | instid1(VALU_DEP_1)
	v_add_co_u32 v9, vcc_lo, v9, v2
	v_mov_b32_e32 v2, v12
	v_mul_lo_u32 v3, 24, v3
	v_add_nc_u32_e32 v3, v3, v14
	s_delay_alu instid0(VALU_DEP_1) | instskip(SKIP_1) | instid1(VALU_DEP_1)
	v_add_nc_u32_e32 v3, v3, v15
	s_wait_alu 0xfffd
	v_add_co_ci_u32_e32 v10, vcc_lo, v10, v3, vcc_lo
	v_mov_b32_e32 v3, v13
	global_store_b64 v[9:10], v[12:13], off
	global_wb scope:SCOPE_SYS
	s_wait_storecnt 0x0
	global_atomic_cmpswap_b64 v[2:3], v11, v[0:3], s[2:3] offset:24 th:TH_ATOMIC_RETURN scope:SCOPE_SYS
	s_wait_loadcnt 0x0
	v_cmp_ne_u64_e32 vcc_lo, v[2:3], v[12:13]
	s_and_b32 exec_lo, exec_lo, vcc_lo
	s_cbranch_execz .LBB6_782
; %bb.780:
	s_mov_b32 s0, 0
.LBB6_781:                              ; =>This Inner Loop Header: Depth=1
	s_sleep 1
	global_store_b64 v[9:10], v[2:3], off
	global_wb scope:SCOPE_SYS
	s_wait_storecnt 0x0
	global_atomic_cmpswap_b64 v[12:13], v11, v[0:3], s[2:3] offset:24 th:TH_ATOMIC_RETURN scope:SCOPE_SYS
	s_wait_loadcnt 0x0
	v_cmp_eq_u64_e32 vcc_lo, v[12:13], v[2:3]
	v_dual_mov_b32 v2, v12 :: v_dual_mov_b32 v3, v13
	s_wait_alu 0xfffe
	s_or_b32 s0, vcc_lo, s0
	s_wait_alu 0xfffe
	s_and_not1_b32 exec_lo, exec_lo, s0
	s_cbranch_execnz .LBB6_781
.LBB6_782:
	s_wait_alu 0xfffe
	s_or_b32 exec_lo, exec_lo, s5
.LBB6_783:
	v_readfirstlane_b32 s0, v35
	v_mov_b32_e32 v11, 0
	v_mov_b32_e32 v12, 0
	s_wait_alu 0xf1ff
	s_delay_alu instid0(VALU_DEP_3) | instskip(NEXT) | instid1(VALU_DEP_1)
	v_cmp_eq_u32_e64 s0, s0, v35
	s_and_saveexec_b32 s1, s0
	s_cbranch_execz .LBB6_789
; %bb.784:
	s_wait_loadcnt 0x0
	v_mov_b32_e32 v0, 0
	s_mov_b32 s4, exec_lo
	global_load_b64 v[13:14], v0, s[2:3] offset:24 scope:SCOPE_SYS
	s_wait_loadcnt 0x0
	global_inv scope:SCOPE_SYS
	s_clause 0x1
	global_load_b64 v[1:2], v0, s[2:3] offset:40
	global_load_b64 v[9:10], v0, s[2:3]
	s_wait_loadcnt 0x1
	v_and_b32_e32 v1, v1, v13
	v_and_b32_e32 v2, v2, v14
	s_delay_alu instid0(VALU_DEP_2) | instskip(NEXT) | instid1(VALU_DEP_2)
	v_mul_lo_u32 v3, 0, v1
	v_mul_lo_u32 v2, 24, v2
	v_mul_hi_u32 v11, 24, v1
	v_mul_lo_u32 v1, 24, v1
	s_delay_alu instid0(VALU_DEP_3) | instskip(SKIP_1) | instid1(VALU_DEP_2)
	v_add_nc_u32_e32 v2, v2, v3
	s_wait_loadcnt 0x0
	v_add_co_u32 v1, vcc_lo, v9, v1
	s_delay_alu instid0(VALU_DEP_2) | instskip(SKIP_1) | instid1(VALU_DEP_1)
	v_add_nc_u32_e32 v2, v2, v11
	s_wait_alu 0xfffd
	v_add_co_ci_u32_e32 v2, vcc_lo, v10, v2, vcc_lo
	global_load_b64 v[11:12], v[1:2], off scope:SCOPE_SYS
	s_wait_loadcnt 0x0
	global_atomic_cmpswap_b64 v[11:12], v0, v[11:14], s[2:3] offset:24 th:TH_ATOMIC_RETURN scope:SCOPE_SYS
	s_wait_loadcnt 0x0
	global_inv scope:SCOPE_SYS
	v_cmpx_ne_u64_e64 v[11:12], v[13:14]
	s_cbranch_execz .LBB6_788
; %bb.785:
	s_mov_b32 s5, 0
.LBB6_786:                              ; =>This Inner Loop Header: Depth=1
	s_sleep 1
	s_clause 0x1
	global_load_b64 v[1:2], v0, s[2:3] offset:40
	global_load_b64 v[9:10], v0, s[2:3]
	v_dual_mov_b32 v14, v12 :: v_dual_mov_b32 v13, v11
	s_wait_loadcnt 0x1
	s_delay_alu instid0(VALU_DEP_1) | instskip(NEXT) | instid1(VALU_DEP_2)
	v_and_b32_e32 v1, v1, v13
	v_and_b32_e32 v2, v2, v14
	s_wait_loadcnt 0x0
	s_delay_alu instid0(VALU_DEP_2) | instskip(NEXT) | instid1(VALU_DEP_1)
	v_mad_co_u64_u32 v[9:10], null, v1, 24, v[9:10]
	v_mov_b32_e32 v1, v10
	s_delay_alu instid0(VALU_DEP_1) | instskip(NEXT) | instid1(VALU_DEP_1)
	v_mad_co_u64_u32 v[1:2], null, v2, 24, v[1:2]
	v_mov_b32_e32 v10, v1
	global_load_b64 v[11:12], v[9:10], off scope:SCOPE_SYS
	s_wait_loadcnt 0x0
	global_atomic_cmpswap_b64 v[11:12], v0, v[11:14], s[2:3] offset:24 th:TH_ATOMIC_RETURN scope:SCOPE_SYS
	s_wait_loadcnt 0x0
	global_inv scope:SCOPE_SYS
	v_cmp_eq_u64_e32 vcc_lo, v[11:12], v[13:14]
	s_wait_alu 0xfffe
	s_or_b32 s5, vcc_lo, s5
	s_wait_alu 0xfffe
	s_and_not1_b32 exec_lo, exec_lo, s5
	s_cbranch_execnz .LBB6_786
; %bb.787:
	s_or_b32 exec_lo, exec_lo, s5
.LBB6_788:
	s_wait_alu 0xfffe
	s_or_b32 exec_lo, exec_lo, s4
.LBB6_789:
	s_wait_alu 0xfffe
	s_or_b32 exec_lo, exec_lo, s1
	v_readfirstlane_b32 s4, v11
	s_wait_loadcnt 0x0
	v_mov_b32_e32 v10, 0
	v_readfirstlane_b32 s1, v12
	s_mov_b32 s5, exec_lo
	s_clause 0x1
	global_load_b64 v[13:14], v10, s[2:3] offset:40
	global_load_b128 v[0:3], v10, s[2:3]
	s_wait_loadcnt 0x1
	s_wait_alu 0xf1ff
	v_and_b32_e32 v13, s4, v13
	v_and_b32_e32 v14, s1, v14
	s_delay_alu instid0(VALU_DEP_2) | instskip(NEXT) | instid1(VALU_DEP_2)
	v_mul_lo_u32 v11, 0, v13
	v_mul_lo_u32 v9, 24, v14
	v_mul_hi_u32 v12, 24, v13
	v_mul_lo_u32 v15, 24, v13
	s_delay_alu instid0(VALU_DEP_3) | instskip(SKIP_1) | instid1(VALU_DEP_2)
	v_add_nc_u32_e32 v9, v9, v11
	s_wait_loadcnt 0x0
	v_add_co_u32 v11, vcc_lo, v0, v15
	s_delay_alu instid0(VALU_DEP_2) | instskip(SKIP_1) | instid1(VALU_DEP_1)
	v_add_nc_u32_e32 v9, v9, v12
	s_wait_alu 0xfffd
	v_add_co_ci_u32_e32 v12, vcc_lo, v1, v9, vcc_lo
	s_and_saveexec_b32 s6, s0
	s_cbranch_execz .LBB6_791
; %bb.790:
	s_wait_alu 0xfffe
	v_dual_mov_b32 v9, s5 :: v_dual_mov_b32 v18, 1
	v_dual_mov_b32 v17, 2 :: v_dual_mov_b32 v16, v10
	s_delay_alu instid0(VALU_DEP_2)
	v_mov_b32_e32 v15, v9
	global_store_b128 v[11:12], v[15:18], off offset:8
.LBB6_791:
	s_wait_alu 0xfffe
	s_or_b32 exec_lo, exec_lo, s6
	v_lshlrev_b64_e32 v[13:14], 12, v[13:14]
	s_mov_b32 s16, 0
	v_and_or_b32 v7, 0xffffff1d, v7, 34
	s_wait_alu 0xfffe
	s_mov_b32 s17, s16
	s_mov_b32 s18, s16
	;; [unrolled: 1-line block ×3, first 2 shown]
	v_add_co_u32 v2, vcc_lo, v2, v13
	s_wait_alu 0xfffd
	v_add_co_ci_u32_e32 v3, vcc_lo, v3, v14, vcc_lo
	v_mov_b32_e32 v9, 58
	s_delay_alu instid0(VALU_DEP_3)
	v_readfirstlane_b32 s6, v2
	s_wait_alu 0xfffe
	v_dual_mov_b32 v13, s16 :: v_dual_mov_b32 v16, s19
	v_readfirstlane_b32 s7, v3
	v_dual_mov_b32 v14, s17 :: v_dual_mov_b32 v15, s18
	s_clause 0x3
	global_store_b128 v34, v[7:10], s[6:7]
	global_store_b128 v34, v[13:16], s[6:7] offset:16
	global_store_b128 v34, v[13:16], s[6:7] offset:32
	;; [unrolled: 1-line block ×3, first 2 shown]
	s_and_saveexec_b32 s5, s0
	s_cbranch_execz .LBB6_799
; %bb.792:
	v_mov_b32_e32 v9, 0
	v_mov_b32_e32 v13, s4
	s_mov_b32 s6, exec_lo
	s_clause 0x1
	global_load_b64 v[15:16], v9, s[2:3] offset:32 scope:SCOPE_SYS
	global_load_b64 v[2:3], v9, s[2:3] offset:40
	v_mov_b32_e32 v14, s1
	s_wait_loadcnt 0x0
	v_and_b32_e32 v2, s4, v2
	v_and_b32_e32 v3, s1, v3
	s_delay_alu instid0(VALU_DEP_2) | instskip(NEXT) | instid1(VALU_DEP_2)
	v_mul_lo_u32 v7, 0, v2
	v_mul_lo_u32 v3, 24, v3
	v_mul_hi_u32 v8, 24, v2
	v_mul_lo_u32 v2, 24, v2
	s_delay_alu instid0(VALU_DEP_3) | instskip(NEXT) | instid1(VALU_DEP_2)
	v_add_nc_u32_e32 v3, v3, v7
	v_add_co_u32 v7, vcc_lo, v0, v2
	s_delay_alu instid0(VALU_DEP_2) | instskip(SKIP_1) | instid1(VALU_DEP_1)
	v_add_nc_u32_e32 v3, v3, v8
	s_wait_alu 0xfffd
	v_add_co_ci_u32_e32 v8, vcc_lo, v1, v3, vcc_lo
	global_store_b64 v[7:8], v[15:16], off
	global_wb scope:SCOPE_SYS
	s_wait_storecnt 0x0
	global_atomic_cmpswap_b64 v[2:3], v9, v[13:16], s[2:3] offset:32 th:TH_ATOMIC_RETURN scope:SCOPE_SYS
	s_wait_loadcnt 0x0
	v_cmpx_ne_u64_e64 v[2:3], v[15:16]
	s_cbranch_execz .LBB6_795
; %bb.793:
	s_mov_b32 s7, 0
.LBB6_794:                              ; =>This Inner Loop Header: Depth=1
	v_dual_mov_b32 v0, s4 :: v_dual_mov_b32 v1, s1
	s_sleep 1
	global_store_b64 v[7:8], v[2:3], off
	global_wb scope:SCOPE_SYS
	s_wait_storecnt 0x0
	global_atomic_cmpswap_b64 v[0:1], v9, v[0:3], s[2:3] offset:32 th:TH_ATOMIC_RETURN scope:SCOPE_SYS
	s_wait_loadcnt 0x0
	v_cmp_eq_u64_e32 vcc_lo, v[0:1], v[2:3]
	v_dual_mov_b32 v3, v1 :: v_dual_mov_b32 v2, v0
	s_wait_alu 0xfffe
	s_or_b32 s7, vcc_lo, s7
	s_wait_alu 0xfffe
	s_and_not1_b32 exec_lo, exec_lo, s7
	s_cbranch_execnz .LBB6_794
.LBB6_795:
	s_wait_alu 0xfffe
	s_or_b32 exec_lo, exec_lo, s6
	v_mov_b32_e32 v3, 0
	s_mov_b32 s7, exec_lo
	s_mov_b32 s6, exec_lo
	s_wait_alu 0xfffe
	v_mbcnt_lo_u32_b32 v2, s7, 0
	global_load_b64 v[0:1], v3, s[2:3] offset:16
	v_cmpx_eq_u32_e32 0, v2
	s_cbranch_execz .LBB6_797
; %bb.796:
	s_bcnt1_i32_b32 s7, s7
	s_wait_alu 0xfffe
	v_mov_b32_e32 v2, s7
	global_wb scope:SCOPE_SYS
	s_wait_loadcnt 0x0
	global_atomic_add_u64 v[0:1], v[2:3], off offset:8 scope:SCOPE_SYS
.LBB6_797:
	s_or_b32 exec_lo, exec_lo, s6
	s_wait_loadcnt 0x0
	global_load_b64 v[2:3], v[0:1], off offset:16
	s_wait_loadcnt 0x0
	v_cmp_eq_u64_e32 vcc_lo, 0, v[2:3]
	s_cbranch_vccnz .LBB6_799
; %bb.798:
	global_load_b32 v0, v[0:1], off offset:24
	v_mov_b32_e32 v1, 0
	s_wait_loadcnt 0x0
	v_and_b32_e32 v7, 0xffffff, v0
	global_wb scope:SCOPE_SYS
	s_wait_storecnt 0x0
	global_store_b64 v[2:3], v[0:1], off scope:SCOPE_SYS
	v_readfirstlane_b32 m0, v7
	s_sendmsg sendmsg(MSG_INTERRUPT)
.LBB6_799:
	s_wait_alu 0xfffe
	s_or_b32 exec_lo, exec_lo, s5
	s_branch .LBB6_803
.LBB6_800:                              ;   in Loop: Header=BB6_803 Depth=1
	s_wait_alu 0xfffe
	s_or_b32 exec_lo, exec_lo, s5
	s_delay_alu instid0(VALU_DEP_1) | instskip(NEXT) | instid1(VALU_DEP_1)
	v_readfirstlane_b32 s5, v0
	s_cmp_eq_u32 s5, 0
	s_cbranch_scc1 .LBB6_802
; %bb.801:                              ;   in Loop: Header=BB6_803 Depth=1
	s_sleep 1
	s_cbranch_execnz .LBB6_803
	s_branch .LBB6_805
.LBB6_802:
	s_branch .LBB6_805
.LBB6_803:                              ; =>This Inner Loop Header: Depth=1
	v_mov_b32_e32 v0, 1
	s_and_saveexec_b32 s5, s0
	s_cbranch_execz .LBB6_800
; %bb.804:                              ;   in Loop: Header=BB6_803 Depth=1
	global_load_b32 v0, v[11:12], off offset:20 scope:SCOPE_SYS
	s_wait_loadcnt 0x0
	global_inv scope:SCOPE_SYS
	v_and_b32_e32 v0, 1, v0
	s_branch .LBB6_800
.LBB6_805:
	s_and_saveexec_b32 s5, s0
	s_cbranch_execz .LBB6_809
; %bb.806:
	v_mov_b32_e32 v9, 0
	s_clause 0x2
	global_load_b64 v[2:3], v9, s[2:3] offset:40
	global_load_b64 v[10:11], v9, s[2:3] offset:24 scope:SCOPE_SYS
	global_load_b64 v[7:8], v9, s[2:3]
	s_wait_loadcnt 0x2
	v_add_co_u32 v12, vcc_lo, v2, 1
	s_wait_alu 0xfffd
	v_add_co_ci_u32_e32 v13, vcc_lo, 0, v3, vcc_lo
	s_delay_alu instid0(VALU_DEP_2) | instskip(SKIP_1) | instid1(VALU_DEP_2)
	v_add_co_u32 v0, vcc_lo, v12, s4
	s_wait_alu 0xfffd
	v_add_co_ci_u32_e32 v1, vcc_lo, s1, v13, vcc_lo
	s_delay_alu instid0(VALU_DEP_1) | instskip(SKIP_2) | instid1(VALU_DEP_1)
	v_cmp_eq_u64_e32 vcc_lo, 0, v[0:1]
	s_wait_alu 0xfffd
	v_dual_cndmask_b32 v0, v0, v12 :: v_dual_cndmask_b32 v1, v1, v13
	v_and_b32_e32 v2, v0, v2
	s_delay_alu instid0(VALU_DEP_2) | instskip(NEXT) | instid1(VALU_DEP_2)
	v_and_b32_e32 v3, v1, v3
	v_mul_lo_u32 v12, 0, v2
	v_mul_hi_u32 v13, 24, v2
	v_mul_lo_u32 v2, 24, v2
	s_wait_loadcnt 0x0
	s_delay_alu instid0(VALU_DEP_1) | instskip(SKIP_2) | instid1(VALU_DEP_1)
	v_add_co_u32 v7, vcc_lo, v7, v2
	v_mov_b32_e32 v2, v10
	v_mul_lo_u32 v3, 24, v3
	v_add_nc_u32_e32 v3, v3, v12
	s_delay_alu instid0(VALU_DEP_1) | instskip(SKIP_1) | instid1(VALU_DEP_1)
	v_add_nc_u32_e32 v3, v3, v13
	s_wait_alu 0xfffd
	v_add_co_ci_u32_e32 v8, vcc_lo, v8, v3, vcc_lo
	v_mov_b32_e32 v3, v11
	global_store_b64 v[7:8], v[10:11], off
	global_wb scope:SCOPE_SYS
	s_wait_storecnt 0x0
	global_atomic_cmpswap_b64 v[2:3], v9, v[0:3], s[2:3] offset:24 th:TH_ATOMIC_RETURN scope:SCOPE_SYS
	s_wait_loadcnt 0x0
	v_cmp_ne_u64_e32 vcc_lo, v[2:3], v[10:11]
	s_and_b32 exec_lo, exec_lo, vcc_lo
	s_cbranch_execz .LBB6_809
; %bb.807:
	s_mov_b32 s0, 0
.LBB6_808:                              ; =>This Inner Loop Header: Depth=1
	s_sleep 1
	global_store_b64 v[7:8], v[2:3], off
	global_wb scope:SCOPE_SYS
	s_wait_storecnt 0x0
	global_atomic_cmpswap_b64 v[10:11], v9, v[0:3], s[2:3] offset:24 th:TH_ATOMIC_RETURN scope:SCOPE_SYS
	s_wait_loadcnt 0x0
	v_cmp_eq_u64_e32 vcc_lo, v[10:11], v[2:3]
	v_dual_mov_b32 v2, v10 :: v_dual_mov_b32 v3, v11
	s_wait_alu 0xfffe
	s_or_b32 s0, vcc_lo, s0
	s_wait_alu 0xfffe
	s_and_not1_b32 exec_lo, exec_lo, s0
	s_cbranch_execnz .LBB6_808
.LBB6_809:
	s_wait_alu 0xfffe
	s_or_b32 exec_lo, exec_lo, s5
	v_readfirstlane_b32 s0, v35
	v_mov_b32_e32 v9, 0
	v_mov_b32_e32 v10, 0
	s_wait_alu 0xf1ff
	s_delay_alu instid0(VALU_DEP_3) | instskip(NEXT) | instid1(VALU_DEP_1)
	v_cmp_eq_u32_e64 s0, s0, v35
	s_and_saveexec_b32 s1, s0
	s_cbranch_execz .LBB6_815
; %bb.810:
	v_mov_b32_e32 v0, 0
	s_mov_b32 s4, exec_lo
	global_load_b64 v[11:12], v0, s[2:3] offset:24 scope:SCOPE_SYS
	s_wait_loadcnt 0x0
	global_inv scope:SCOPE_SYS
	s_clause 0x1
	global_load_b64 v[1:2], v0, s[2:3] offset:40
	global_load_b64 v[7:8], v0, s[2:3]
	s_wait_loadcnt 0x1
	v_and_b32_e32 v1, v1, v11
	v_and_b32_e32 v2, v2, v12
	s_delay_alu instid0(VALU_DEP_2) | instskip(NEXT) | instid1(VALU_DEP_2)
	v_mul_lo_u32 v3, 0, v1
	v_mul_lo_u32 v2, 24, v2
	v_mul_hi_u32 v9, 24, v1
	v_mul_lo_u32 v1, 24, v1
	s_delay_alu instid0(VALU_DEP_3) | instskip(SKIP_1) | instid1(VALU_DEP_2)
	v_add_nc_u32_e32 v2, v2, v3
	s_wait_loadcnt 0x0
	v_add_co_u32 v1, vcc_lo, v7, v1
	s_delay_alu instid0(VALU_DEP_2) | instskip(SKIP_1) | instid1(VALU_DEP_1)
	v_add_nc_u32_e32 v2, v2, v9
	s_wait_alu 0xfffd
	v_add_co_ci_u32_e32 v2, vcc_lo, v8, v2, vcc_lo
	global_load_b64 v[9:10], v[1:2], off scope:SCOPE_SYS
	s_wait_loadcnt 0x0
	global_atomic_cmpswap_b64 v[9:10], v0, v[9:12], s[2:3] offset:24 th:TH_ATOMIC_RETURN scope:SCOPE_SYS
	s_wait_loadcnt 0x0
	global_inv scope:SCOPE_SYS
	v_cmpx_ne_u64_e64 v[9:10], v[11:12]
	s_cbranch_execz .LBB6_814
; %bb.811:
	s_mov_b32 s5, 0
.LBB6_812:                              ; =>This Inner Loop Header: Depth=1
	s_sleep 1
	s_clause 0x1
	global_load_b64 v[1:2], v0, s[2:3] offset:40
	global_load_b64 v[7:8], v0, s[2:3]
	v_dual_mov_b32 v12, v10 :: v_dual_mov_b32 v11, v9
	s_wait_loadcnt 0x1
	s_delay_alu instid0(VALU_DEP_1) | instskip(SKIP_1) | instid1(VALU_DEP_1)
	v_and_b32_e32 v1, v1, v11
	s_wait_loadcnt 0x0
	v_mad_co_u64_u32 v[7:8], null, v1, 24, v[7:8]
	s_delay_alu instid0(VALU_DEP_1) | instskip(NEXT) | instid1(VALU_DEP_1)
	v_dual_mov_b32 v1, v8 :: v_dual_and_b32 v2, v2, v12
	v_mad_co_u64_u32 v[1:2], null, v2, 24, v[1:2]
	s_delay_alu instid0(VALU_DEP_1)
	v_mov_b32_e32 v8, v1
	global_load_b64 v[9:10], v[7:8], off scope:SCOPE_SYS
	s_wait_loadcnt 0x0
	global_atomic_cmpswap_b64 v[9:10], v0, v[9:12], s[2:3] offset:24 th:TH_ATOMIC_RETURN scope:SCOPE_SYS
	s_wait_loadcnt 0x0
	global_inv scope:SCOPE_SYS
	v_cmp_eq_u64_e32 vcc_lo, v[9:10], v[11:12]
	s_wait_alu 0xfffe
	s_or_b32 s5, vcc_lo, s5
	s_wait_alu 0xfffe
	s_and_not1_b32 exec_lo, exec_lo, s5
	s_cbranch_execnz .LBB6_812
; %bb.813:
	s_or_b32 exec_lo, exec_lo, s5
.LBB6_814:
	s_wait_alu 0xfffe
	s_or_b32 exec_lo, exec_lo, s4
.LBB6_815:
	s_wait_alu 0xfffe
	s_or_b32 exec_lo, exec_lo, s1
	v_readfirstlane_b32 s4, v9
	v_mov_b32_e32 v8, 0
	v_readfirstlane_b32 s1, v10
	s_mov_b32 s5, exec_lo
	s_clause 0x1
	global_load_b64 v[11:12], v8, s[2:3] offset:40
	global_load_b128 v[0:3], v8, s[2:3]
	s_wait_loadcnt 0x1
	s_wait_alu 0xf1ff
	v_and_b32_e32 v13, s4, v11
	v_and_b32_e32 v14, s1, v12
	s_delay_alu instid0(VALU_DEP_2) | instskip(NEXT) | instid1(VALU_DEP_2)
	v_mul_lo_u32 v9, 0, v13
	v_mul_lo_u32 v7, 24, v14
	v_mul_hi_u32 v10, 24, v13
	v_mul_lo_u32 v11, 24, v13
	s_delay_alu instid0(VALU_DEP_3) | instskip(SKIP_1) | instid1(VALU_DEP_2)
	v_add_nc_u32_e32 v7, v7, v9
	s_wait_loadcnt 0x0
	v_add_co_u32 v11, vcc_lo, v0, v11
	s_delay_alu instid0(VALU_DEP_2) | instskip(SKIP_1) | instid1(VALU_DEP_1)
	v_add_nc_u32_e32 v7, v7, v10
	s_wait_alu 0xfffd
	v_add_co_ci_u32_e32 v12, vcc_lo, v1, v7, vcc_lo
	s_and_saveexec_b32 s6, s0
	s_cbranch_execz .LBB6_817
; %bb.816:
	s_wait_alu 0xfffe
	v_dual_mov_b32 v7, s5 :: v_dual_mov_b32 v10, 1
	v_mov_b32_e32 v9, 2
	global_store_b128 v[11:12], v[7:10], off offset:8
.LBB6_817:
	s_wait_alu 0xfffe
	s_or_b32 exec_lo, exec_lo, s6
	v_lshlrev_b64_e32 v[13:14], 12, v[13:14]
	s_mov_b32 s16, 0
	v_dual_mov_b32 v7, 33 :: v_dual_mov_b32 v10, v8
	s_wait_alu 0xfffe
	s_mov_b32 s17, s16
	s_mov_b32 s18, s16
	v_add_co_u32 v2, vcc_lo, v2, v13
	s_wait_alu 0xfffd
	v_add_co_ci_u32_e32 v3, vcc_lo, v3, v14, vcc_lo
	s_mov_b32 s19, s16
	s_delay_alu instid0(VALU_DEP_2)
	v_add_co_u32 v13, vcc_lo, v2, v34
	v_mov_b32_e32 v9, v8
	v_readfirstlane_b32 s6, v2
	v_readfirstlane_b32 s7, v3
	s_wait_alu 0xfffe
	v_dual_mov_b32 v15, s16 :: v_dual_mov_b32 v18, s19
	s_wait_alu 0xfffd
	v_add_co_ci_u32_e32 v14, vcc_lo, 0, v3, vcc_lo
	v_dual_mov_b32 v16, s17 :: v_dual_mov_b32 v17, s18
	s_clause 0x3
	global_store_b128 v34, v[7:10], s[6:7]
	global_store_b128 v34, v[15:18], s[6:7] offset:16
	global_store_b128 v34, v[15:18], s[6:7] offset:32
	;; [unrolled: 1-line block ×3, first 2 shown]
	s_and_saveexec_b32 s5, s0
	s_cbranch_execz .LBB6_825
; %bb.818:
	v_mov_b32_e32 v9, 0
	v_mov_b32_e32 v15, s4
	s_mov_b32 s6, exec_lo
	s_clause 0x1
	global_load_b64 v[17:18], v9, s[2:3] offset:32 scope:SCOPE_SYS
	global_load_b64 v[2:3], v9, s[2:3] offset:40
	v_mov_b32_e32 v16, s1
	s_wait_loadcnt 0x0
	v_and_b32_e32 v2, s4, v2
	v_and_b32_e32 v3, s1, v3
	s_delay_alu instid0(VALU_DEP_2) | instskip(NEXT) | instid1(VALU_DEP_2)
	v_mul_lo_u32 v7, 0, v2
	v_mul_lo_u32 v3, 24, v3
	v_mul_hi_u32 v8, 24, v2
	v_mul_lo_u32 v2, 24, v2
	s_delay_alu instid0(VALU_DEP_3) | instskip(NEXT) | instid1(VALU_DEP_2)
	v_add_nc_u32_e32 v3, v3, v7
	v_add_co_u32 v7, vcc_lo, v0, v2
	s_delay_alu instid0(VALU_DEP_2) | instskip(SKIP_1) | instid1(VALU_DEP_1)
	v_add_nc_u32_e32 v3, v3, v8
	s_wait_alu 0xfffd
	v_add_co_ci_u32_e32 v8, vcc_lo, v1, v3, vcc_lo
	global_store_b64 v[7:8], v[17:18], off
	global_wb scope:SCOPE_SYS
	s_wait_storecnt 0x0
	global_atomic_cmpswap_b64 v[2:3], v9, v[15:18], s[2:3] offset:32 th:TH_ATOMIC_RETURN scope:SCOPE_SYS
	s_wait_loadcnt 0x0
	v_cmpx_ne_u64_e64 v[2:3], v[17:18]
	s_cbranch_execz .LBB6_821
; %bb.819:
	s_mov_b32 s7, 0
.LBB6_820:                              ; =>This Inner Loop Header: Depth=1
	v_dual_mov_b32 v0, s4 :: v_dual_mov_b32 v1, s1
	s_sleep 1
	global_store_b64 v[7:8], v[2:3], off
	global_wb scope:SCOPE_SYS
	s_wait_storecnt 0x0
	global_atomic_cmpswap_b64 v[0:1], v9, v[0:3], s[2:3] offset:32 th:TH_ATOMIC_RETURN scope:SCOPE_SYS
	s_wait_loadcnt 0x0
	v_cmp_eq_u64_e32 vcc_lo, v[0:1], v[2:3]
	v_dual_mov_b32 v3, v1 :: v_dual_mov_b32 v2, v0
	s_wait_alu 0xfffe
	s_or_b32 s7, vcc_lo, s7
	s_wait_alu 0xfffe
	s_and_not1_b32 exec_lo, exec_lo, s7
	s_cbranch_execnz .LBB6_820
.LBB6_821:
	s_wait_alu 0xfffe
	s_or_b32 exec_lo, exec_lo, s6
	v_mov_b32_e32 v3, 0
	s_mov_b32 s7, exec_lo
	s_mov_b32 s6, exec_lo
	s_wait_alu 0xfffe
	v_mbcnt_lo_u32_b32 v2, s7, 0
	global_load_b64 v[0:1], v3, s[2:3] offset:16
	v_cmpx_eq_u32_e32 0, v2
	s_cbranch_execz .LBB6_823
; %bb.822:
	s_bcnt1_i32_b32 s7, s7
	s_wait_alu 0xfffe
	v_mov_b32_e32 v2, s7
	global_wb scope:SCOPE_SYS
	s_wait_loadcnt 0x0
	global_atomic_add_u64 v[0:1], v[2:3], off offset:8 scope:SCOPE_SYS
.LBB6_823:
	s_or_b32 exec_lo, exec_lo, s6
	s_wait_loadcnt 0x0
	global_load_b64 v[2:3], v[0:1], off offset:16
	s_wait_loadcnt 0x0
	v_cmp_eq_u64_e32 vcc_lo, 0, v[2:3]
	s_cbranch_vccnz .LBB6_825
; %bb.824:
	global_load_b32 v0, v[0:1], off offset:24
	v_mov_b32_e32 v1, 0
	s_wait_loadcnt 0x0
	v_and_b32_e32 v7, 0xffffff, v0
	global_wb scope:SCOPE_SYS
	s_wait_storecnt 0x0
	global_store_b64 v[2:3], v[0:1], off scope:SCOPE_SYS
	v_readfirstlane_b32 m0, v7
	s_sendmsg sendmsg(MSG_INTERRUPT)
.LBB6_825:
	s_wait_alu 0xfffe
	s_or_b32 exec_lo, exec_lo, s5
	s_branch .LBB6_829
.LBB6_826:                              ;   in Loop: Header=BB6_829 Depth=1
	s_wait_alu 0xfffe
	s_or_b32 exec_lo, exec_lo, s5
	s_delay_alu instid0(VALU_DEP_1) | instskip(NEXT) | instid1(VALU_DEP_1)
	v_readfirstlane_b32 s5, v0
	s_cmp_eq_u32 s5, 0
	s_cbranch_scc1 .LBB6_828
; %bb.827:                              ;   in Loop: Header=BB6_829 Depth=1
	s_sleep 1
	s_cbranch_execnz .LBB6_829
	s_branch .LBB6_831
.LBB6_828:
	s_branch .LBB6_831
.LBB6_829:                              ; =>This Inner Loop Header: Depth=1
	v_mov_b32_e32 v0, 1
	s_and_saveexec_b32 s5, s0
	s_cbranch_execz .LBB6_826
; %bb.830:                              ;   in Loop: Header=BB6_829 Depth=1
	global_load_b32 v0, v[11:12], off offset:20 scope:SCOPE_SYS
	s_wait_loadcnt 0x0
	global_inv scope:SCOPE_SYS
	v_and_b32_e32 v0, 1, v0
	s_branch .LBB6_826
.LBB6_831:
	global_load_b64 v[0:1], v[13:14], off
	s_and_saveexec_b32 s5, s0
	s_cbranch_execz .LBB6_835
; %bb.832:
	v_mov_b32_e32 v11, 0
	s_clause 0x2
	global_load_b64 v[2:3], v11, s[2:3] offset:40
	global_load_b64 v[12:13], v11, s[2:3] offset:24 scope:SCOPE_SYS
	global_load_b64 v[9:10], v11, s[2:3]
	s_wait_loadcnt 0x2
	v_add_co_u32 v14, vcc_lo, v2, 1
	s_wait_alu 0xfffd
	v_add_co_ci_u32_e32 v15, vcc_lo, 0, v3, vcc_lo
	s_delay_alu instid0(VALU_DEP_2) | instskip(SKIP_1) | instid1(VALU_DEP_2)
	v_add_co_u32 v7, vcc_lo, v14, s4
	s_wait_alu 0xfffd
	v_add_co_ci_u32_e32 v8, vcc_lo, s1, v15, vcc_lo
	s_delay_alu instid0(VALU_DEP_1) | instskip(SKIP_2) | instid1(VALU_DEP_1)
	v_cmp_eq_u64_e32 vcc_lo, 0, v[7:8]
	s_wait_alu 0xfffd
	v_dual_cndmask_b32 v8, v8, v15 :: v_dual_cndmask_b32 v7, v7, v14
	v_and_b32_e32 v3, v8, v3
	s_delay_alu instid0(VALU_DEP_2) | instskip(NEXT) | instid1(VALU_DEP_2)
	v_and_b32_e32 v2, v7, v2
	v_mul_lo_u32 v3, 24, v3
	s_delay_alu instid0(VALU_DEP_2) | instskip(SKIP_2) | instid1(VALU_DEP_3)
	v_mul_lo_u32 v14, 0, v2
	v_mul_hi_u32 v15, 24, v2
	v_mul_lo_u32 v2, 24, v2
	v_add_nc_u32_e32 v3, v3, v14
	s_wait_loadcnt 0x0
	s_delay_alu instid0(VALU_DEP_2) | instskip(SKIP_1) | instid1(VALU_DEP_3)
	v_add_co_u32 v2, vcc_lo, v9, v2
	v_mov_b32_e32 v9, v12
	v_add_nc_u32_e32 v3, v3, v15
	s_wait_alu 0xfffd
	s_delay_alu instid0(VALU_DEP_1)
	v_add_co_ci_u32_e32 v3, vcc_lo, v10, v3, vcc_lo
	v_mov_b32_e32 v10, v13
	global_store_b64 v[2:3], v[12:13], off
	global_wb scope:SCOPE_SYS
	s_wait_storecnt 0x0
	global_atomic_cmpswap_b64 v[9:10], v11, v[7:10], s[2:3] offset:24 th:TH_ATOMIC_RETURN scope:SCOPE_SYS
	s_wait_loadcnt 0x0
	v_cmp_ne_u64_e32 vcc_lo, v[9:10], v[12:13]
	s_and_b32 exec_lo, exec_lo, vcc_lo
	s_cbranch_execz .LBB6_835
; %bb.833:
	s_mov_b32 s0, 0
.LBB6_834:                              ; =>This Inner Loop Header: Depth=1
	s_sleep 1
	global_store_b64 v[2:3], v[9:10], off
	global_wb scope:SCOPE_SYS
	s_wait_storecnt 0x0
	global_atomic_cmpswap_b64 v[12:13], v11, v[7:10], s[2:3] offset:24 th:TH_ATOMIC_RETURN scope:SCOPE_SYS
	s_wait_loadcnt 0x0
	v_cmp_eq_u64_e32 vcc_lo, v[12:13], v[9:10]
	v_dual_mov_b32 v9, v12 :: v_dual_mov_b32 v10, v13
	s_wait_alu 0xfffe
	s_or_b32 s0, vcc_lo, s0
	s_wait_alu 0xfffe
	s_and_not1_b32 exec_lo, exec_lo, s0
	s_cbranch_execnz .LBB6_834
.LBB6_835:
	s_wait_alu 0xfffe
	s_or_b32 exec_lo, exec_lo, s5
	s_getpc_b64 s[4:5]
	s_wait_alu 0xfffe
	s_sext_i32_i16 s5, s5
	s_add_co_u32 s4, s4, .str.9@rel32@lo+12
	s_wait_alu 0xfffe
	s_add_co_ci_u32 s5, s5, .str.9@rel32@hi+24
	s_wait_alu 0xfffe
	s_cmp_lg_u64 s[4:5], 0
	s_cbranch_scc0 .LBB6_914
; %bb.836:
	s_wait_loadcnt 0x0
	v_dual_mov_b32 v11, 0 :: v_dual_and_b32 v36, 2, v0
	v_dual_mov_b32 v8, v1 :: v_dual_and_b32 v7, -3, v0
	v_dual_mov_b32 v12, 2 :: v_dual_mov_b32 v13, 1
	s_mov_b64 s[6:7], 4
	s_branch .LBB6_838
.LBB6_837:                              ;   in Loop: Header=BB6_838 Depth=1
	s_wait_alu 0xfffe
	s_or_b32 exec_lo, exec_lo, s17
	s_sub_nc_u64 s[6:7], s[6:7], s[10:11]
	s_add_nc_u64 s[4:5], s[4:5], s[10:11]
	s_wait_alu 0xfffe
	s_cmp_lg_u64 s[6:7], 0
	s_cbranch_scc0 .LBB6_913
.LBB6_838:                              ; =>This Loop Header: Depth=1
                                        ;     Child Loop BB6_847 Depth 2
                                        ;     Child Loop BB6_843 Depth 2
	;; [unrolled: 1-line block ×11, first 2 shown]
	s_wait_alu 0xfffe
	v_cmp_lt_u64_e64 s0, s[6:7], 56
	v_cmp_gt_u64_e64 s1, s[6:7], 7
                                        ; implicit-def: $vgpr16_vgpr17
                                        ; implicit-def: $sgpr21
	s_delay_alu instid0(VALU_DEP_2) | instskip(SKIP_2) | instid1(VALU_DEP_1)
	s_and_b32 s0, s0, exec_lo
	s_cselect_b32 s11, s7, 0
	s_cselect_b32 s10, s6, 56
	s_and_b32 vcc_lo, exec_lo, s1
	s_mov_b32 s0, -1
	s_wait_alu 0xfffe
	s_cbranch_vccz .LBB6_845
; %bb.839:                              ;   in Loop: Header=BB6_838 Depth=1
	s_and_not1_b32 vcc_lo, exec_lo, s0
	s_mov_b64 s[0:1], s[4:5]
	s_wait_alu 0xfffe
	s_cbranch_vccz .LBB6_849
.LBB6_840:                              ;   in Loop: Header=BB6_838 Depth=1
	s_wait_alu 0xfffe
	s_cmp_gt_u32 s21, 7
	s_cbranch_scc1 .LBB6_850
.LBB6_841:                              ;   in Loop: Header=BB6_838 Depth=1
	v_mov_b32_e32 v18, 0
	v_mov_b32_e32 v19, 0
	s_cmp_eq_u32 s21, 0
	s_cbranch_scc1 .LBB6_844
; %bb.842:                              ;   in Loop: Header=BB6_838 Depth=1
	s_mov_b64 s[16:17], 0
	s_mov_b64 s[18:19], 0
.LBB6_843:                              ;   Parent Loop BB6_838 Depth=1
                                        ; =>  This Inner Loop Header: Depth=2
	s_wait_alu 0xfffe
	s_add_nc_u64 s[22:23], s[0:1], s[18:19]
	s_add_nc_u64 s[18:19], s[18:19], 1
	global_load_u8 v2, v11, s[22:23]
	s_wait_alu 0xfffe
	s_cmp_lg_u32 s21, s18
	s_wait_loadcnt 0x0
	v_and_b32_e32 v10, 0xffff, v2
	s_delay_alu instid0(VALU_DEP_1) | instskip(SKIP_1) | instid1(VALU_DEP_1)
	v_lshlrev_b64_e32 v[2:3], s16, v[10:11]
	s_add_nc_u64 s[16:17], s[16:17], 8
	v_or_b32_e32 v18, v2, v18
	s_delay_alu instid0(VALU_DEP_2)
	v_or_b32_e32 v19, v3, v19
	s_cbranch_scc1 .LBB6_843
.LBB6_844:                              ;   in Loop: Header=BB6_838 Depth=1
	s_mov_b32 s22, 0
	s_cbranch_execz .LBB6_851
	s_branch .LBB6_852
.LBB6_845:                              ;   in Loop: Header=BB6_838 Depth=1
	v_mov_b32_e32 v16, 0
	v_mov_b32_e32 v17, 0
	s_cmp_eq_u64 s[6:7], 0
	s_mov_b64 s[0:1], 0
	s_cbranch_scc1 .LBB6_848
; %bb.846:                              ;   in Loop: Header=BB6_838 Depth=1
	v_mov_b32_e32 v16, 0
	v_mov_b32_e32 v17, 0
	s_mov_b64 s[16:17], 0
.LBB6_847:                              ;   Parent Loop BB6_838 Depth=1
                                        ; =>  This Inner Loop Header: Depth=2
	s_wait_alu 0xfffe
	s_add_nc_u64 s[18:19], s[4:5], s[16:17]
	s_add_nc_u64 s[16:17], s[16:17], 1
	global_load_u8 v2, v11, s[18:19]
	s_wait_alu 0xfffe
	s_cmp_lg_u32 s10, s16
	s_wait_loadcnt 0x0
	v_and_b32_e32 v10, 0xffff, v2
	s_delay_alu instid0(VALU_DEP_1) | instskip(SKIP_1) | instid1(VALU_DEP_1)
	v_lshlrev_b64_e32 v[2:3], s0, v[10:11]
	s_add_nc_u64 s[0:1], s[0:1], 8
	v_or_b32_e32 v16, v2, v16
	s_delay_alu instid0(VALU_DEP_2)
	v_or_b32_e32 v17, v3, v17
	s_cbranch_scc1 .LBB6_847
.LBB6_848:                              ;   in Loop: Header=BB6_838 Depth=1
	s_mov_b32 s21, 0
	s_mov_b64 s[0:1], s[4:5]
	s_cbranch_execnz .LBB6_840
.LBB6_849:                              ;   in Loop: Header=BB6_838 Depth=1
	global_load_b64 v[16:17], v11, s[4:5]
	s_add_co_i32 s21, s10, -8
	s_add_nc_u64 s[0:1], s[4:5], 8
	s_wait_alu 0xfffe
	s_cmp_gt_u32 s21, 7
	s_cbranch_scc0 .LBB6_841
.LBB6_850:                              ;   in Loop: Header=BB6_838 Depth=1
                                        ; implicit-def: $vgpr18_vgpr19
                                        ; implicit-def: $sgpr22
.LBB6_851:                              ;   in Loop: Header=BB6_838 Depth=1
	global_load_b64 v[18:19], v11, s[0:1]
	s_add_co_i32 s22, s21, -8
	s_add_nc_u64 s[0:1], s[0:1], 8
.LBB6_852:                              ;   in Loop: Header=BB6_838 Depth=1
	s_wait_alu 0xfffe
	s_cmp_gt_u32 s22, 7
	s_cbranch_scc1 .LBB6_857
; %bb.853:                              ;   in Loop: Header=BB6_838 Depth=1
	v_mov_b32_e32 v20, 0
	v_mov_b32_e32 v21, 0
	s_cmp_eq_u32 s22, 0
	s_cbranch_scc1 .LBB6_856
; %bb.854:                              ;   in Loop: Header=BB6_838 Depth=1
	s_mov_b64 s[16:17], 0
	s_mov_b64 s[18:19], 0
.LBB6_855:                              ;   Parent Loop BB6_838 Depth=1
                                        ; =>  This Inner Loop Header: Depth=2
	s_wait_alu 0xfffe
	s_add_nc_u64 s[24:25], s[0:1], s[18:19]
	s_add_nc_u64 s[18:19], s[18:19], 1
	global_load_u8 v2, v11, s[24:25]
	s_wait_alu 0xfffe
	s_cmp_lg_u32 s22, s18
	s_wait_loadcnt 0x0
	v_and_b32_e32 v10, 0xffff, v2
	s_delay_alu instid0(VALU_DEP_1) | instskip(SKIP_1) | instid1(VALU_DEP_1)
	v_lshlrev_b64_e32 v[2:3], s16, v[10:11]
	s_add_nc_u64 s[16:17], s[16:17], 8
	v_or_b32_e32 v20, v2, v20
	s_delay_alu instid0(VALU_DEP_2)
	v_or_b32_e32 v21, v3, v21
	s_cbranch_scc1 .LBB6_855
.LBB6_856:                              ;   in Loop: Header=BB6_838 Depth=1
	s_mov_b32 s21, 0
	s_cbranch_execz .LBB6_858
	s_branch .LBB6_859
.LBB6_857:                              ;   in Loop: Header=BB6_838 Depth=1
                                        ; implicit-def: $sgpr21
.LBB6_858:                              ;   in Loop: Header=BB6_838 Depth=1
	global_load_b64 v[20:21], v11, s[0:1]
	s_add_co_i32 s21, s22, -8
	s_add_nc_u64 s[0:1], s[0:1], 8
.LBB6_859:                              ;   in Loop: Header=BB6_838 Depth=1
	s_wait_alu 0xfffe
	s_cmp_gt_u32 s21, 7
	s_cbranch_scc1 .LBB6_864
; %bb.860:                              ;   in Loop: Header=BB6_838 Depth=1
	v_mov_b32_e32 v22, 0
	v_mov_b32_e32 v23, 0
	s_cmp_eq_u32 s21, 0
	s_cbranch_scc1 .LBB6_863
; %bb.861:                              ;   in Loop: Header=BB6_838 Depth=1
	s_mov_b64 s[16:17], 0
	s_mov_b64 s[18:19], 0
.LBB6_862:                              ;   Parent Loop BB6_838 Depth=1
                                        ; =>  This Inner Loop Header: Depth=2
	s_wait_alu 0xfffe
	s_add_nc_u64 s[22:23], s[0:1], s[18:19]
	s_add_nc_u64 s[18:19], s[18:19], 1
	global_load_u8 v2, v11, s[22:23]
	s_wait_alu 0xfffe
	s_cmp_lg_u32 s21, s18
	s_wait_loadcnt 0x0
	v_and_b32_e32 v10, 0xffff, v2
	s_delay_alu instid0(VALU_DEP_1) | instskip(SKIP_1) | instid1(VALU_DEP_1)
	v_lshlrev_b64_e32 v[2:3], s16, v[10:11]
	s_add_nc_u64 s[16:17], s[16:17], 8
	v_or_b32_e32 v22, v2, v22
	s_delay_alu instid0(VALU_DEP_2)
	v_or_b32_e32 v23, v3, v23
	s_cbranch_scc1 .LBB6_862
.LBB6_863:                              ;   in Loop: Header=BB6_838 Depth=1
	s_mov_b32 s22, 0
	s_cbranch_execz .LBB6_865
	s_branch .LBB6_866
.LBB6_864:                              ;   in Loop: Header=BB6_838 Depth=1
                                        ; implicit-def: $vgpr22_vgpr23
                                        ; implicit-def: $sgpr22
.LBB6_865:                              ;   in Loop: Header=BB6_838 Depth=1
	global_load_b64 v[22:23], v11, s[0:1]
	s_add_co_i32 s22, s21, -8
	s_add_nc_u64 s[0:1], s[0:1], 8
.LBB6_866:                              ;   in Loop: Header=BB6_838 Depth=1
	s_wait_alu 0xfffe
	s_cmp_gt_u32 s22, 7
	s_cbranch_scc1 .LBB6_871
; %bb.867:                              ;   in Loop: Header=BB6_838 Depth=1
	v_mov_b32_e32 v24, 0
	v_mov_b32_e32 v25, 0
	s_cmp_eq_u32 s22, 0
	s_cbranch_scc1 .LBB6_870
; %bb.868:                              ;   in Loop: Header=BB6_838 Depth=1
	s_mov_b64 s[16:17], 0
	s_mov_b64 s[18:19], 0
.LBB6_869:                              ;   Parent Loop BB6_838 Depth=1
                                        ; =>  This Inner Loop Header: Depth=2
	s_wait_alu 0xfffe
	s_add_nc_u64 s[24:25], s[0:1], s[18:19]
	s_add_nc_u64 s[18:19], s[18:19], 1
	global_load_u8 v2, v11, s[24:25]
	s_wait_alu 0xfffe
	s_cmp_lg_u32 s22, s18
	s_wait_loadcnt 0x0
	v_and_b32_e32 v10, 0xffff, v2
	s_delay_alu instid0(VALU_DEP_1) | instskip(SKIP_1) | instid1(VALU_DEP_1)
	v_lshlrev_b64_e32 v[2:3], s16, v[10:11]
	s_add_nc_u64 s[16:17], s[16:17], 8
	v_or_b32_e32 v24, v2, v24
	s_delay_alu instid0(VALU_DEP_2)
	v_or_b32_e32 v25, v3, v25
	s_cbranch_scc1 .LBB6_869
.LBB6_870:                              ;   in Loop: Header=BB6_838 Depth=1
	s_mov_b32 s21, 0
	s_cbranch_execz .LBB6_872
	s_branch .LBB6_873
.LBB6_871:                              ;   in Loop: Header=BB6_838 Depth=1
                                        ; implicit-def: $sgpr21
.LBB6_872:                              ;   in Loop: Header=BB6_838 Depth=1
	global_load_b64 v[24:25], v11, s[0:1]
	s_add_co_i32 s21, s22, -8
	s_add_nc_u64 s[0:1], s[0:1], 8
.LBB6_873:                              ;   in Loop: Header=BB6_838 Depth=1
	s_wait_alu 0xfffe
	s_cmp_gt_u32 s21, 7
	s_cbranch_scc1 .LBB6_878
; %bb.874:                              ;   in Loop: Header=BB6_838 Depth=1
	v_mov_b32_e32 v26, 0
	v_mov_b32_e32 v27, 0
	s_cmp_eq_u32 s21, 0
	s_cbranch_scc1 .LBB6_877
; %bb.875:                              ;   in Loop: Header=BB6_838 Depth=1
	s_mov_b64 s[16:17], 0
	s_mov_b64 s[18:19], 0
.LBB6_876:                              ;   Parent Loop BB6_838 Depth=1
                                        ; =>  This Inner Loop Header: Depth=2
	s_wait_alu 0xfffe
	s_add_nc_u64 s[22:23], s[0:1], s[18:19]
	s_add_nc_u64 s[18:19], s[18:19], 1
	global_load_u8 v2, v11, s[22:23]
	s_wait_alu 0xfffe
	s_cmp_lg_u32 s21, s18
	s_wait_loadcnt 0x0
	v_and_b32_e32 v10, 0xffff, v2
	s_delay_alu instid0(VALU_DEP_1) | instskip(SKIP_1) | instid1(VALU_DEP_1)
	v_lshlrev_b64_e32 v[2:3], s16, v[10:11]
	s_add_nc_u64 s[16:17], s[16:17], 8
	v_or_b32_e32 v26, v2, v26
	s_delay_alu instid0(VALU_DEP_2)
	v_or_b32_e32 v27, v3, v27
	s_cbranch_scc1 .LBB6_876
.LBB6_877:                              ;   in Loop: Header=BB6_838 Depth=1
	s_mov_b32 s22, 0
	s_cbranch_execz .LBB6_879
	s_branch .LBB6_880
.LBB6_878:                              ;   in Loop: Header=BB6_838 Depth=1
                                        ; implicit-def: $vgpr26_vgpr27
                                        ; implicit-def: $sgpr22
.LBB6_879:                              ;   in Loop: Header=BB6_838 Depth=1
	global_load_b64 v[26:27], v11, s[0:1]
	s_add_co_i32 s22, s21, -8
	s_add_nc_u64 s[0:1], s[0:1], 8
.LBB6_880:                              ;   in Loop: Header=BB6_838 Depth=1
	s_wait_alu 0xfffe
	s_cmp_gt_u32 s22, 7
	s_cbranch_scc1 .LBB6_885
; %bb.881:                              ;   in Loop: Header=BB6_838 Depth=1
	v_mov_b32_e32 v28, 0
	v_mov_b32_e32 v29, 0
	s_cmp_eq_u32 s22, 0
	s_cbranch_scc1 .LBB6_884
; %bb.882:                              ;   in Loop: Header=BB6_838 Depth=1
	s_mov_b64 s[16:17], 0
	s_mov_b64 s[18:19], s[0:1]
.LBB6_883:                              ;   Parent Loop BB6_838 Depth=1
                                        ; =>  This Inner Loop Header: Depth=2
	global_load_u8 v2, v11, s[18:19]
	s_add_co_i32 s22, s22, -1
	s_wait_alu 0xfffe
	s_add_nc_u64 s[18:19], s[18:19], 1
	s_cmp_lg_u32 s22, 0
	s_wait_loadcnt 0x0
	v_and_b32_e32 v10, 0xffff, v2
	s_delay_alu instid0(VALU_DEP_1) | instskip(SKIP_1) | instid1(VALU_DEP_1)
	v_lshlrev_b64_e32 v[2:3], s16, v[10:11]
	s_add_nc_u64 s[16:17], s[16:17], 8
	v_or_b32_e32 v28, v2, v28
	s_delay_alu instid0(VALU_DEP_2)
	v_or_b32_e32 v29, v3, v29
	s_cbranch_scc1 .LBB6_883
.LBB6_884:                              ;   in Loop: Header=BB6_838 Depth=1
	s_cbranch_execz .LBB6_886
	s_branch .LBB6_887
.LBB6_885:                              ;   in Loop: Header=BB6_838 Depth=1
.LBB6_886:                              ;   in Loop: Header=BB6_838 Depth=1
	global_load_b64 v[28:29], v11, s[0:1]
.LBB6_887:                              ;   in Loop: Header=BB6_838 Depth=1
	v_readfirstlane_b32 s0, v35
	v_mov_b32_e32 v2, 0
	v_mov_b32_e32 v3, 0
	s_wait_alu 0xf1ff
	s_delay_alu instid0(VALU_DEP_3) | instskip(NEXT) | instid1(VALU_DEP_1)
	v_cmp_eq_u32_e64 s0, s0, v35
	s_and_saveexec_b32 s1, s0
	s_cbranch_execz .LBB6_893
; %bb.888:                              ;   in Loop: Header=BB6_838 Depth=1
	global_load_b64 v[32:33], v11, s[2:3] offset:24 scope:SCOPE_SYS
	s_wait_loadcnt 0x0
	global_inv scope:SCOPE_SYS
	s_clause 0x1
	global_load_b64 v[2:3], v11, s[2:3] offset:40
	global_load_b64 v[9:10], v11, s[2:3]
	s_mov_b32 s16, exec_lo
	s_wait_loadcnt 0x1
	v_and_b32_e32 v3, v3, v33
	v_and_b32_e32 v2, v2, v32
	s_delay_alu instid0(VALU_DEP_2) | instskip(NEXT) | instid1(VALU_DEP_2)
	v_mul_lo_u32 v3, 24, v3
	v_mul_lo_u32 v14, 0, v2
	v_mul_hi_u32 v15, 24, v2
	v_mul_lo_u32 v2, 24, v2
	s_delay_alu instid0(VALU_DEP_3) | instskip(SKIP_1) | instid1(VALU_DEP_2)
	v_add_nc_u32_e32 v3, v3, v14
	s_wait_loadcnt 0x0
	v_add_co_u32 v2, vcc_lo, v9, v2
	s_delay_alu instid0(VALU_DEP_2) | instskip(SKIP_1) | instid1(VALU_DEP_1)
	v_add_nc_u32_e32 v3, v3, v15
	s_wait_alu 0xfffd
	v_add_co_ci_u32_e32 v3, vcc_lo, v10, v3, vcc_lo
	global_load_b64 v[30:31], v[2:3], off scope:SCOPE_SYS
	s_wait_loadcnt 0x0
	global_atomic_cmpswap_b64 v[2:3], v11, v[30:33], s[2:3] offset:24 th:TH_ATOMIC_RETURN scope:SCOPE_SYS
	s_wait_loadcnt 0x0
	global_inv scope:SCOPE_SYS
	v_cmpx_ne_u64_e64 v[2:3], v[32:33]
	s_cbranch_execz .LBB6_892
; %bb.889:                              ;   in Loop: Header=BB6_838 Depth=1
	s_mov_b32 s17, 0
.LBB6_890:                              ;   Parent Loop BB6_838 Depth=1
                                        ; =>  This Inner Loop Header: Depth=2
	s_sleep 1
	s_clause 0x1
	global_load_b64 v[9:10], v11, s[2:3] offset:40
	global_load_b64 v[14:15], v11, s[2:3]
	v_dual_mov_b32 v33, v3 :: v_dual_mov_b32 v32, v2
	s_wait_loadcnt 0x1
	s_delay_alu instid0(VALU_DEP_1) | instskip(NEXT) | instid1(VALU_DEP_2)
	v_and_b32_e32 v2, v9, v32
	v_and_b32_e32 v9, v10, v33
	s_wait_loadcnt 0x0
	s_delay_alu instid0(VALU_DEP_2) | instskip(NEXT) | instid1(VALU_DEP_1)
	v_mad_co_u64_u32 v[2:3], null, v2, 24, v[14:15]
	v_mad_co_u64_u32 v[9:10], null, v9, 24, v[3:4]
	s_delay_alu instid0(VALU_DEP_1)
	v_mov_b32_e32 v3, v9
	global_load_b64 v[30:31], v[2:3], off scope:SCOPE_SYS
	s_wait_loadcnt 0x0
	global_atomic_cmpswap_b64 v[2:3], v11, v[30:33], s[2:3] offset:24 th:TH_ATOMIC_RETURN scope:SCOPE_SYS
	s_wait_loadcnt 0x0
	global_inv scope:SCOPE_SYS
	v_cmp_eq_u64_e32 vcc_lo, v[2:3], v[32:33]
	s_wait_alu 0xfffe
	s_or_b32 s17, vcc_lo, s17
	s_wait_alu 0xfffe
	s_and_not1_b32 exec_lo, exec_lo, s17
	s_cbranch_execnz .LBB6_890
; %bb.891:                              ;   in Loop: Header=BB6_838 Depth=1
	s_or_b32 exec_lo, exec_lo, s17
.LBB6_892:                              ;   in Loop: Header=BB6_838 Depth=1
	s_wait_alu 0xfffe
	s_or_b32 exec_lo, exec_lo, s16
.LBB6_893:                              ;   in Loop: Header=BB6_838 Depth=1
	s_wait_alu 0xfffe
	s_or_b32 exec_lo, exec_lo, s1
	s_clause 0x1
	global_load_b64 v[9:10], v11, s[2:3] offset:40
	global_load_b128 v[30:33], v11, s[2:3]
	v_readfirstlane_b32 s1, v3
	v_readfirstlane_b32 s16, v2
	s_mov_b32 s17, exec_lo
	s_wait_loadcnt 0x1
	s_wait_alu 0xf1ff
	v_and_b32_e32 v15, s1, v10
	v_and_b32_e32 v14, s16, v9
	s_delay_alu instid0(VALU_DEP_2) | instskip(NEXT) | instid1(VALU_DEP_2)
	v_mul_lo_u32 v2, 24, v15
	v_mul_lo_u32 v3, 0, v14
	v_mul_hi_u32 v9, 24, v14
	v_mul_lo_u32 v10, 24, v14
	s_delay_alu instid0(VALU_DEP_3) | instskip(NEXT) | instid1(VALU_DEP_1)
	v_add_nc_u32_e32 v2, v2, v3
	v_add_nc_u32_e32 v3, v2, v9
	s_wait_loadcnt 0x0
	s_delay_alu instid0(VALU_DEP_3) | instskip(SKIP_1) | instid1(VALU_DEP_2)
	v_add_co_u32 v2, vcc_lo, v30, v10
	s_wait_alu 0xfffd
	v_add_co_ci_u32_e32 v3, vcc_lo, v31, v3, vcc_lo
	s_and_saveexec_b32 s18, s0
	s_cbranch_execz .LBB6_895
; %bb.894:                              ;   in Loop: Header=BB6_838 Depth=1
	s_wait_alu 0xfffe
	v_mov_b32_e32 v10, s17
	global_store_b128 v[2:3], v[10:13], off offset:8
.LBB6_895:                              ;   in Loop: Header=BB6_838 Depth=1
	s_wait_alu 0xfffe
	s_or_b32 exec_lo, exec_lo, s18
	v_cmp_gt_u64_e64 vcc_lo, s[6:7], 56
	v_lshlrev_b64_e32 v[9:10], 12, v[14:15]
	v_or_b32_e32 v39, 0, v8
	v_or_b32_e32 v48, v7, v36
	s_lshl_b32 s17, s10, 2
	s_wait_alu 0xfffe
	s_add_co_i32 s17, s17, 28
	s_wait_alu 0xfffd
	v_cndmask_b32_e32 v15, v39, v8, vcc_lo
	v_cndmask_b32_e32 v7, v48, v7, vcc_lo
	v_add_co_u32 v32, vcc_lo, v32, v9
	s_wait_alu 0xfffd
	v_add_co_ci_u32_e32 v33, vcc_lo, v33, v10, vcc_lo
	s_wait_alu 0xfffe
	s_and_b32 s17, s17, 0x1e0
	v_readfirstlane_b32 s18, v32
	s_wait_alu 0xfffe
	v_and_or_b32 v14, 0xffffff1f, v7, s17
	v_readfirstlane_b32 s19, v33
	s_clause 0x3
	global_store_b128 v34, v[14:17], s[18:19]
	global_store_b128 v34, v[18:21], s[18:19] offset:16
	global_store_b128 v34, v[22:25], s[18:19] offset:32
	;; [unrolled: 1-line block ×3, first 2 shown]
	s_and_saveexec_b32 s17, s0
	s_cbranch_execz .LBB6_903
; %bb.896:                              ;   in Loop: Header=BB6_838 Depth=1
	s_clause 0x1
	global_load_b64 v[18:19], v11, s[2:3] offset:32 scope:SCOPE_SYS
	global_load_b64 v[7:8], v11, s[2:3] offset:40
	s_mov_b32 s18, exec_lo
	v_dual_mov_b32 v16, s16 :: v_dual_mov_b32 v17, s1
	s_wait_loadcnt 0x0
	v_and_b32_e32 v8, s1, v8
	v_and_b32_e32 v7, s16, v7
	s_delay_alu instid0(VALU_DEP_2) | instskip(NEXT) | instid1(VALU_DEP_2)
	v_mul_lo_u32 v8, 24, v8
	v_mul_lo_u32 v9, 0, v7
	v_mul_hi_u32 v10, 24, v7
	v_mul_lo_u32 v7, 24, v7
	s_delay_alu instid0(VALU_DEP_3) | instskip(NEXT) | instid1(VALU_DEP_2)
	v_add_nc_u32_e32 v8, v8, v9
	v_add_co_u32 v14, vcc_lo, v30, v7
	s_delay_alu instid0(VALU_DEP_2) | instskip(SKIP_1) | instid1(VALU_DEP_1)
	v_add_nc_u32_e32 v8, v8, v10
	s_wait_alu 0xfffd
	v_add_co_ci_u32_e32 v15, vcc_lo, v31, v8, vcc_lo
	global_store_b64 v[14:15], v[18:19], off
	global_wb scope:SCOPE_SYS
	s_wait_storecnt 0x0
	global_atomic_cmpswap_b64 v[9:10], v11, v[16:19], s[2:3] offset:32 th:TH_ATOMIC_RETURN scope:SCOPE_SYS
	s_wait_loadcnt 0x0
	v_cmpx_ne_u64_e64 v[9:10], v[18:19]
	s_cbranch_execz .LBB6_899
; %bb.897:                              ;   in Loop: Header=BB6_838 Depth=1
	s_mov_b32 s19, 0
.LBB6_898:                              ;   Parent Loop BB6_838 Depth=1
                                        ; =>  This Inner Loop Header: Depth=2
	v_dual_mov_b32 v7, s16 :: v_dual_mov_b32 v8, s1
	s_sleep 1
	global_store_b64 v[14:15], v[9:10], off
	global_wb scope:SCOPE_SYS
	s_wait_storecnt 0x0
	global_atomic_cmpswap_b64 v[7:8], v11, v[7:10], s[2:3] offset:32 th:TH_ATOMIC_RETURN scope:SCOPE_SYS
	s_wait_loadcnt 0x0
	v_cmp_eq_u64_e32 vcc_lo, v[7:8], v[9:10]
	v_dual_mov_b32 v10, v8 :: v_dual_mov_b32 v9, v7
	s_wait_alu 0xfffe
	s_or_b32 s19, vcc_lo, s19
	s_wait_alu 0xfffe
	s_and_not1_b32 exec_lo, exec_lo, s19
	s_cbranch_execnz .LBB6_898
.LBB6_899:                              ;   in Loop: Header=BB6_838 Depth=1
	s_wait_alu 0xfffe
	s_or_b32 exec_lo, exec_lo, s18
	global_load_b64 v[7:8], v11, s[2:3] offset:16
	s_mov_b32 s19, exec_lo
	s_mov_b32 s18, exec_lo
	s_wait_alu 0xfffe
	v_mbcnt_lo_u32_b32 v9, s19, 0
	s_delay_alu instid0(VALU_DEP_1)
	v_cmpx_eq_u32_e32 0, v9
	s_cbranch_execz .LBB6_901
; %bb.900:                              ;   in Loop: Header=BB6_838 Depth=1
	s_bcnt1_i32_b32 s19, s19
	s_wait_alu 0xfffe
	v_mov_b32_e32 v10, s19
	global_wb scope:SCOPE_SYS
	s_wait_loadcnt 0x0
	global_atomic_add_u64 v[7:8], v[10:11], off offset:8 scope:SCOPE_SYS
.LBB6_901:                              ;   in Loop: Header=BB6_838 Depth=1
	s_or_b32 exec_lo, exec_lo, s18
	s_wait_loadcnt 0x0
	global_load_b64 v[14:15], v[7:8], off offset:16
	s_wait_loadcnt 0x0
	v_cmp_eq_u64_e32 vcc_lo, 0, v[14:15]
	s_cbranch_vccnz .LBB6_903
; %bb.902:                              ;   in Loop: Header=BB6_838 Depth=1
	global_load_b32 v10, v[7:8], off offset:24
	s_wait_loadcnt 0x0
	v_and_b32_e32 v7, 0xffffff, v10
	global_wb scope:SCOPE_SYS
	s_wait_storecnt 0x0
	global_store_b64 v[14:15], v[10:11], off scope:SCOPE_SYS
	v_readfirstlane_b32 m0, v7
	s_sendmsg sendmsg(MSG_INTERRUPT)
.LBB6_903:                              ;   in Loop: Header=BB6_838 Depth=1
	s_wait_alu 0xfffe
	s_or_b32 exec_lo, exec_lo, s17
	v_add_co_u32 v7, vcc_lo, v32, v34
	s_wait_alu 0xfffd
	v_add_co_ci_u32_e32 v8, vcc_lo, 0, v33, vcc_lo
	s_branch .LBB6_907
.LBB6_904:                              ;   in Loop: Header=BB6_907 Depth=2
	s_wait_alu 0xfffe
	s_or_b32 exec_lo, exec_lo, s17
	s_delay_alu instid0(VALU_DEP_1) | instskip(NEXT) | instid1(VALU_DEP_1)
	v_readfirstlane_b32 s17, v9
	s_cmp_eq_u32 s17, 0
	s_cbranch_scc1 .LBB6_906
; %bb.905:                              ;   in Loop: Header=BB6_907 Depth=2
	s_sleep 1
	s_cbranch_execnz .LBB6_907
	s_branch .LBB6_909
.LBB6_906:                              ;   in Loop: Header=BB6_838 Depth=1
	s_branch .LBB6_909
.LBB6_907:                              ;   Parent Loop BB6_838 Depth=1
                                        ; =>  This Inner Loop Header: Depth=2
	v_mov_b32_e32 v9, 1
	s_and_saveexec_b32 s17, s0
	s_cbranch_execz .LBB6_904
; %bb.908:                              ;   in Loop: Header=BB6_907 Depth=2
	global_load_b32 v9, v[2:3], off offset:20 scope:SCOPE_SYS
	s_wait_loadcnt 0x0
	global_inv scope:SCOPE_SYS
	v_and_b32_e32 v9, 1, v9
	s_branch .LBB6_904
.LBB6_909:                              ;   in Loop: Header=BB6_838 Depth=1
	global_load_b128 v[7:10], v[7:8], off
	s_and_saveexec_b32 s17, s0
	s_cbranch_execz .LBB6_837
; %bb.910:                              ;   in Loop: Header=BB6_838 Depth=1
	s_clause 0x2
	global_load_b64 v[2:3], v11, s[2:3] offset:40
	global_load_b64 v[9:10], v11, s[2:3] offset:24 scope:SCOPE_SYS
	global_load_b64 v[16:17], v11, s[2:3]
	s_wait_loadcnt 0x2
	v_add_co_u32 v18, vcc_lo, v2, 1
	s_wait_alu 0xfffd
	v_add_co_ci_u32_e32 v19, vcc_lo, 0, v3, vcc_lo
	s_delay_alu instid0(VALU_DEP_2) | instskip(SKIP_1) | instid1(VALU_DEP_2)
	v_add_co_u32 v14, vcc_lo, v18, s16
	s_wait_alu 0xfffd
	v_add_co_ci_u32_e32 v15, vcc_lo, s1, v19, vcc_lo
	s_delay_alu instid0(VALU_DEP_1) | instskip(SKIP_2) | instid1(VALU_DEP_1)
	v_cmp_eq_u64_e32 vcc_lo, 0, v[14:15]
	s_wait_alu 0xfffd
	v_dual_cndmask_b32 v15, v15, v19 :: v_dual_cndmask_b32 v14, v14, v18
	v_and_b32_e32 v3, v15, v3
	s_delay_alu instid0(VALU_DEP_2) | instskip(NEXT) | instid1(VALU_DEP_1)
	v_and_b32_e32 v2, v14, v2
	v_mul_lo_u32 v18, 0, v2
	v_mul_hi_u32 v19, 24, v2
	v_mul_lo_u32 v2, 24, v2
	s_wait_loadcnt 0x0
	s_delay_alu instid0(VALU_DEP_1) | instskip(SKIP_2) | instid1(VALU_DEP_1)
	v_add_co_u32 v2, vcc_lo, v16, v2
	v_mov_b32_e32 v16, v9
	v_mul_lo_u32 v3, 24, v3
	v_add_nc_u32_e32 v3, v3, v18
	s_delay_alu instid0(VALU_DEP_1) | instskip(SKIP_1) | instid1(VALU_DEP_1)
	v_add_nc_u32_e32 v3, v3, v19
	s_wait_alu 0xfffd
	v_add_co_ci_u32_e32 v3, vcc_lo, v17, v3, vcc_lo
	v_mov_b32_e32 v17, v10
	global_store_b64 v[2:3], v[9:10], off
	global_wb scope:SCOPE_SYS
	s_wait_storecnt 0x0
	global_atomic_cmpswap_b64 v[16:17], v11, v[14:17], s[2:3] offset:24 th:TH_ATOMIC_RETURN scope:SCOPE_SYS
	s_wait_loadcnt 0x0
	v_cmp_ne_u64_e32 vcc_lo, v[16:17], v[9:10]
	s_and_b32 exec_lo, exec_lo, vcc_lo
	s_cbranch_execz .LBB6_837
; %bb.911:                              ;   in Loop: Header=BB6_838 Depth=1
	s_mov_b32 s0, 0
.LBB6_912:                              ;   Parent Loop BB6_838 Depth=1
                                        ; =>  This Inner Loop Header: Depth=2
	s_sleep 1
	global_store_b64 v[2:3], v[16:17], off
	global_wb scope:SCOPE_SYS
	s_wait_storecnt 0x0
	global_atomic_cmpswap_b64 v[9:10], v11, v[14:17], s[2:3] offset:24 th:TH_ATOMIC_RETURN scope:SCOPE_SYS
	s_wait_loadcnt 0x0
	v_cmp_eq_u64_e32 vcc_lo, v[9:10], v[16:17]
	v_dual_mov_b32 v17, v10 :: v_dual_mov_b32 v16, v9
	s_wait_alu 0xfffe
	s_or_b32 s0, vcc_lo, s0
	s_wait_alu 0xfffe
	s_and_not1_b32 exec_lo, exec_lo, s0
	s_cbranch_execnz .LBB6_912
	s_branch .LBB6_837
.LBB6_913:
	s_branch .LBB6_942
.LBB6_914:
                                        ; implicit-def: $vgpr7_vgpr8
	s_cbranch_execz .LBB6_942
; %bb.915:
	v_readfirstlane_b32 s0, v35
	v_mov_b32_e32 v11, 0
	v_mov_b32_e32 v12, 0
	s_wait_alu 0xf1ff
	s_delay_alu instid0(VALU_DEP_3) | instskip(NEXT) | instid1(VALU_DEP_1)
	v_cmp_eq_u32_e64 s0, s0, v35
	s_and_saveexec_b32 s1, s0
	s_cbranch_execz .LBB6_921
; %bb.916:
	v_mov_b32_e32 v2, 0
	s_mov_b32 s4, exec_lo
	global_load_b64 v[9:10], v2, s[2:3] offset:24 scope:SCOPE_SYS
	s_wait_loadcnt 0x0
	global_inv scope:SCOPE_SYS
	s_clause 0x1
	global_load_b64 v[7:8], v2, s[2:3] offset:40
	global_load_b64 v[11:12], v2, s[2:3]
	s_wait_loadcnt 0x1
	v_and_b32_e32 v3, v8, v10
	v_and_b32_e32 v7, v7, v9
	s_delay_alu instid0(VALU_DEP_2) | instskip(NEXT) | instid1(VALU_DEP_2)
	v_mul_lo_u32 v3, 24, v3
	v_mul_lo_u32 v8, 0, v7
	v_mul_hi_u32 v13, 24, v7
	v_mul_lo_u32 v7, 24, v7
	s_delay_alu instid0(VALU_DEP_3) | instskip(SKIP_1) | instid1(VALU_DEP_2)
	v_add_nc_u32_e32 v3, v3, v8
	s_wait_loadcnt 0x0
	v_add_co_u32 v7, vcc_lo, v11, v7
	s_delay_alu instid0(VALU_DEP_2) | instskip(SKIP_1) | instid1(VALU_DEP_1)
	v_add_nc_u32_e32 v3, v3, v13
	s_wait_alu 0xfffd
	v_add_co_ci_u32_e32 v8, vcc_lo, v12, v3, vcc_lo
	global_load_b64 v[7:8], v[7:8], off scope:SCOPE_SYS
	s_wait_loadcnt 0x0
	global_atomic_cmpswap_b64 v[11:12], v2, v[7:10], s[2:3] offset:24 th:TH_ATOMIC_RETURN scope:SCOPE_SYS
	s_wait_loadcnt 0x0
	global_inv scope:SCOPE_SYS
	v_cmpx_ne_u64_e64 v[11:12], v[9:10]
	s_cbranch_execz .LBB6_920
; %bb.917:
	s_mov_b32 s5, 0
.LBB6_918:                              ; =>This Inner Loop Header: Depth=1
	s_sleep 1
	s_clause 0x1
	global_load_b64 v[7:8], v2, s[2:3] offset:40
	global_load_b64 v[13:14], v2, s[2:3]
	v_dual_mov_b32 v9, v11 :: v_dual_mov_b32 v10, v12
	s_wait_loadcnt 0x1
	s_delay_alu instid0(VALU_DEP_1) | instskip(NEXT) | instid1(VALU_DEP_2)
	v_and_b32_e32 v3, v7, v9
	v_and_b32_e32 v7, v8, v10
	s_wait_loadcnt 0x0
	s_delay_alu instid0(VALU_DEP_2) | instskip(NEXT) | instid1(VALU_DEP_1)
	v_mad_co_u64_u32 v[11:12], null, v3, 24, v[13:14]
	v_mov_b32_e32 v3, v12
	s_delay_alu instid0(VALU_DEP_1) | instskip(NEXT) | instid1(VALU_DEP_1)
	v_mad_co_u64_u32 v[7:8], null, v7, 24, v[3:4]
	v_mov_b32_e32 v12, v7
	global_load_b64 v[7:8], v[11:12], off scope:SCOPE_SYS
	s_wait_loadcnt 0x0
	global_atomic_cmpswap_b64 v[11:12], v2, v[7:10], s[2:3] offset:24 th:TH_ATOMIC_RETURN scope:SCOPE_SYS
	s_wait_loadcnt 0x0
	global_inv scope:SCOPE_SYS
	v_cmp_eq_u64_e32 vcc_lo, v[11:12], v[9:10]
	s_wait_alu 0xfffe
	s_or_b32 s5, vcc_lo, s5
	s_wait_alu 0xfffe
	s_and_not1_b32 exec_lo, exec_lo, s5
	s_cbranch_execnz .LBB6_918
; %bb.919:
	s_or_b32 exec_lo, exec_lo, s5
.LBB6_920:
	s_wait_alu 0xfffe
	s_or_b32 exec_lo, exec_lo, s4
.LBB6_921:
	s_wait_alu 0xfffe
	s_or_b32 exec_lo, exec_lo, s1
	v_readfirstlane_b32 s4, v11
	v_mov_b32_e32 v2, 0
	v_readfirstlane_b32 s1, v12
	s_mov_b32 s5, exec_lo
	s_clause 0x1
	global_load_b64 v[13:14], v2, s[2:3] offset:40
	global_load_b128 v[7:10], v2, s[2:3]
	s_wait_loadcnt 0x1
	s_wait_alu 0xf1ff
	v_and_b32_e32 v13, s4, v13
	v_and_b32_e32 v14, s1, v14
	s_delay_alu instid0(VALU_DEP_2) | instskip(NEXT) | instid1(VALU_DEP_2)
	v_mul_lo_u32 v11, 0, v13
	v_mul_lo_u32 v3, 24, v14
	v_mul_hi_u32 v12, 24, v13
	v_mul_lo_u32 v15, 24, v13
	s_delay_alu instid0(VALU_DEP_3) | instskip(SKIP_1) | instid1(VALU_DEP_2)
	v_add_nc_u32_e32 v3, v3, v11
	s_wait_loadcnt 0x0
	v_add_co_u32 v11, vcc_lo, v7, v15
	s_delay_alu instid0(VALU_DEP_2) | instskip(SKIP_1) | instid1(VALU_DEP_1)
	v_add_nc_u32_e32 v3, v3, v12
	s_wait_alu 0xfffd
	v_add_co_ci_u32_e32 v12, vcc_lo, v8, v3, vcc_lo
	s_and_saveexec_b32 s6, s0
	s_cbranch_execz .LBB6_923
; %bb.922:
	s_wait_alu 0xfffe
	v_dual_mov_b32 v15, s5 :: v_dual_mov_b32 v16, v2
	v_dual_mov_b32 v17, 2 :: v_dual_mov_b32 v18, 1
	global_store_b128 v[11:12], v[15:18], off offset:8
.LBB6_923:
	s_wait_alu 0xfffe
	s_or_b32 exec_lo, exec_lo, s6
	v_lshlrev_b64_e32 v[13:14], 12, v[13:14]
	s_mov_b32 s16, 0
	v_and_or_b32 v0, 0xffffff1f, v0, 32
	s_wait_alu 0xfffe
	s_mov_b32 s17, s16
	s_mov_b32 s18, s16
	;; [unrolled: 1-line block ×3, first 2 shown]
	v_add_co_u32 v9, vcc_lo, v9, v13
	s_wait_alu 0xfffd
	v_add_co_ci_u32_e32 v10, vcc_lo, v10, v14, vcc_lo
	v_mov_b32_e32 v3, v2
	s_delay_alu instid0(VALU_DEP_3) | instskip(SKIP_1) | instid1(VALU_DEP_4)
	v_readfirstlane_b32 s6, v9
	v_add_co_u32 v9, vcc_lo, v9, v34
	v_readfirstlane_b32 s7, v10
	s_wait_alu 0xfffe
	v_dual_mov_b32 v13, s16 :: v_dual_mov_b32 v16, s19
	s_wait_alu 0xfffd
	v_add_co_ci_u32_e32 v10, vcc_lo, 0, v10, vcc_lo
	v_dual_mov_b32 v14, s17 :: v_dual_mov_b32 v15, s18
	s_clause 0x3
	global_store_b128 v34, v[0:3], s[6:7]
	global_store_b128 v34, v[13:16], s[6:7] offset:16
	global_store_b128 v34, v[13:16], s[6:7] offset:32
	;; [unrolled: 1-line block ×3, first 2 shown]
	s_and_saveexec_b32 s5, s0
	s_cbranch_execz .LBB6_931
; %bb.924:
	v_mov_b32_e32 v13, 0
	v_mov_b32_e32 v15, s1
	s_mov_b32 s6, exec_lo
	s_clause 0x1
	global_load_b64 v[16:17], v13, s[2:3] offset:32 scope:SCOPE_SYS
	global_load_b64 v[0:1], v13, s[2:3] offset:40
	v_mov_b32_e32 v14, s4
	s_wait_loadcnt 0x0
	v_and_b32_e32 v0, s4, v0
	v_and_b32_e32 v1, s1, v1
	s_delay_alu instid0(VALU_DEP_2) | instskip(NEXT) | instid1(VALU_DEP_2)
	v_mul_lo_u32 v2, 0, v0
	v_mul_lo_u32 v1, 24, v1
	v_mul_hi_u32 v3, 24, v0
	v_mul_lo_u32 v0, 24, v0
	s_delay_alu instid0(VALU_DEP_3) | instskip(NEXT) | instid1(VALU_DEP_2)
	v_add_nc_u32_e32 v1, v1, v2
	v_add_co_u32 v7, vcc_lo, v7, v0
	s_delay_alu instid0(VALU_DEP_2) | instskip(SKIP_1) | instid1(VALU_DEP_1)
	v_add_nc_u32_e32 v1, v1, v3
	s_wait_alu 0xfffd
	v_add_co_ci_u32_e32 v8, vcc_lo, v8, v1, vcc_lo
	global_store_b64 v[7:8], v[16:17], off
	global_wb scope:SCOPE_SYS
	s_wait_storecnt 0x0
	global_atomic_cmpswap_b64 v[2:3], v13, v[14:17], s[2:3] offset:32 th:TH_ATOMIC_RETURN scope:SCOPE_SYS
	s_wait_loadcnt 0x0
	v_cmpx_ne_u64_e64 v[2:3], v[16:17]
	s_cbranch_execz .LBB6_927
; %bb.925:
	s_mov_b32 s7, 0
.LBB6_926:                              ; =>This Inner Loop Header: Depth=1
	v_dual_mov_b32 v0, s4 :: v_dual_mov_b32 v1, s1
	s_sleep 1
	global_store_b64 v[7:8], v[2:3], off
	global_wb scope:SCOPE_SYS
	s_wait_storecnt 0x0
	global_atomic_cmpswap_b64 v[0:1], v13, v[0:3], s[2:3] offset:32 th:TH_ATOMIC_RETURN scope:SCOPE_SYS
	s_wait_loadcnt 0x0
	v_cmp_eq_u64_e32 vcc_lo, v[0:1], v[2:3]
	v_dual_mov_b32 v3, v1 :: v_dual_mov_b32 v2, v0
	s_wait_alu 0xfffe
	s_or_b32 s7, vcc_lo, s7
	s_wait_alu 0xfffe
	s_and_not1_b32 exec_lo, exec_lo, s7
	s_cbranch_execnz .LBB6_926
.LBB6_927:
	s_wait_alu 0xfffe
	s_or_b32 exec_lo, exec_lo, s6
	v_mov_b32_e32 v3, 0
	s_mov_b32 s7, exec_lo
	s_mov_b32 s6, exec_lo
	s_wait_alu 0xfffe
	v_mbcnt_lo_u32_b32 v2, s7, 0
	global_load_b64 v[0:1], v3, s[2:3] offset:16
	v_cmpx_eq_u32_e32 0, v2
	s_cbranch_execz .LBB6_929
; %bb.928:
	s_bcnt1_i32_b32 s7, s7
	s_wait_alu 0xfffe
	v_mov_b32_e32 v2, s7
	global_wb scope:SCOPE_SYS
	s_wait_loadcnt 0x0
	global_atomic_add_u64 v[0:1], v[2:3], off offset:8 scope:SCOPE_SYS
.LBB6_929:
	s_or_b32 exec_lo, exec_lo, s6
	s_wait_loadcnt 0x0
	global_load_b64 v[2:3], v[0:1], off offset:16
	s_wait_loadcnt 0x0
	v_cmp_eq_u64_e32 vcc_lo, 0, v[2:3]
	s_cbranch_vccnz .LBB6_931
; %bb.930:
	global_load_b32 v0, v[0:1], off offset:24
	v_mov_b32_e32 v1, 0
	s_wait_loadcnt 0x0
	v_and_b32_e32 v7, 0xffffff, v0
	global_wb scope:SCOPE_SYS
	s_wait_storecnt 0x0
	global_store_b64 v[2:3], v[0:1], off scope:SCOPE_SYS
	v_readfirstlane_b32 m0, v7
	s_sendmsg sendmsg(MSG_INTERRUPT)
.LBB6_931:
	s_wait_alu 0xfffe
	s_or_b32 exec_lo, exec_lo, s5
	s_branch .LBB6_935
.LBB6_932:                              ;   in Loop: Header=BB6_935 Depth=1
	s_wait_alu 0xfffe
	s_or_b32 exec_lo, exec_lo, s5
	s_delay_alu instid0(VALU_DEP_1) | instskip(NEXT) | instid1(VALU_DEP_1)
	v_readfirstlane_b32 s5, v0
	s_cmp_eq_u32 s5, 0
	s_cbranch_scc1 .LBB6_934
; %bb.933:                              ;   in Loop: Header=BB6_935 Depth=1
	s_sleep 1
	s_cbranch_execnz .LBB6_935
	s_branch .LBB6_937
.LBB6_934:
	s_branch .LBB6_937
.LBB6_935:                              ; =>This Inner Loop Header: Depth=1
	v_mov_b32_e32 v0, 1
	s_and_saveexec_b32 s5, s0
	s_cbranch_execz .LBB6_932
; %bb.936:                              ;   in Loop: Header=BB6_935 Depth=1
	global_load_b32 v0, v[11:12], off offset:20 scope:SCOPE_SYS
	s_wait_loadcnt 0x0
	global_inv scope:SCOPE_SYS
	v_and_b32_e32 v0, 1, v0
	s_branch .LBB6_932
.LBB6_937:
	global_load_b64 v[7:8], v[9:10], off
	s_and_saveexec_b32 s5, s0
	s_cbranch_execz .LBB6_941
; %bb.938:
	v_mov_b32_e32 v11, 0
	s_clause 0x2
	global_load_b64 v[2:3], v11, s[2:3] offset:40
	global_load_b64 v[12:13], v11, s[2:3] offset:24 scope:SCOPE_SYS
	global_load_b64 v[9:10], v11, s[2:3]
	s_wait_loadcnt 0x2
	v_add_co_u32 v14, vcc_lo, v2, 1
	s_wait_alu 0xfffd
	v_add_co_ci_u32_e32 v15, vcc_lo, 0, v3, vcc_lo
	s_delay_alu instid0(VALU_DEP_2) | instskip(SKIP_1) | instid1(VALU_DEP_2)
	v_add_co_u32 v0, vcc_lo, v14, s4
	s_wait_alu 0xfffd
	v_add_co_ci_u32_e32 v1, vcc_lo, s1, v15, vcc_lo
	s_delay_alu instid0(VALU_DEP_1) | instskip(SKIP_2) | instid1(VALU_DEP_1)
	v_cmp_eq_u64_e32 vcc_lo, 0, v[0:1]
	s_wait_alu 0xfffd
	v_dual_cndmask_b32 v0, v0, v14 :: v_dual_cndmask_b32 v1, v1, v15
	v_and_b32_e32 v2, v0, v2
	s_delay_alu instid0(VALU_DEP_2) | instskip(NEXT) | instid1(VALU_DEP_2)
	v_and_b32_e32 v3, v1, v3
	v_mul_lo_u32 v14, 0, v2
	v_mul_hi_u32 v15, 24, v2
	v_mul_lo_u32 v2, 24, v2
	s_wait_loadcnt 0x0
	s_delay_alu instid0(VALU_DEP_1) | instskip(SKIP_2) | instid1(VALU_DEP_1)
	v_add_co_u32 v9, vcc_lo, v9, v2
	v_mov_b32_e32 v2, v12
	v_mul_lo_u32 v3, 24, v3
	v_add_nc_u32_e32 v3, v3, v14
	s_delay_alu instid0(VALU_DEP_1) | instskip(SKIP_1) | instid1(VALU_DEP_1)
	v_add_nc_u32_e32 v3, v3, v15
	s_wait_alu 0xfffd
	v_add_co_ci_u32_e32 v10, vcc_lo, v10, v3, vcc_lo
	v_mov_b32_e32 v3, v13
	global_store_b64 v[9:10], v[12:13], off
	global_wb scope:SCOPE_SYS
	s_wait_storecnt 0x0
	global_atomic_cmpswap_b64 v[2:3], v11, v[0:3], s[2:3] offset:24 th:TH_ATOMIC_RETURN scope:SCOPE_SYS
	s_wait_loadcnt 0x0
	v_cmp_ne_u64_e32 vcc_lo, v[2:3], v[12:13]
	s_and_b32 exec_lo, exec_lo, vcc_lo
	s_cbranch_execz .LBB6_941
; %bb.939:
	s_mov_b32 s0, 0
.LBB6_940:                              ; =>This Inner Loop Header: Depth=1
	s_sleep 1
	global_store_b64 v[9:10], v[2:3], off
	global_wb scope:SCOPE_SYS
	s_wait_storecnt 0x0
	global_atomic_cmpswap_b64 v[12:13], v11, v[0:3], s[2:3] offset:24 th:TH_ATOMIC_RETURN scope:SCOPE_SYS
	s_wait_loadcnt 0x0
	v_cmp_eq_u64_e32 vcc_lo, v[12:13], v[2:3]
	v_dual_mov_b32 v2, v12 :: v_dual_mov_b32 v3, v13
	s_wait_alu 0xfffe
	s_or_b32 s0, vcc_lo, s0
	s_wait_alu 0xfffe
	s_and_not1_b32 exec_lo, exec_lo, s0
	s_cbranch_execnz .LBB6_940
.LBB6_941:
	s_wait_alu 0xfffe
	s_or_b32 exec_lo, exec_lo, s5
.LBB6_942:
	v_readfirstlane_b32 s0, v35
	v_mov_b32_e32 v11, 0
	v_mov_b32_e32 v12, 0
	s_wait_alu 0xf1ff
	s_delay_alu instid0(VALU_DEP_3) | instskip(NEXT) | instid1(VALU_DEP_1)
	v_cmp_eq_u32_e64 s0, s0, v35
	s_and_saveexec_b32 s1, s0
	s_cbranch_execz .LBB6_948
; %bb.943:
	s_wait_loadcnt 0x0
	v_mov_b32_e32 v0, 0
	s_mov_b32 s4, exec_lo
	global_load_b64 v[13:14], v0, s[2:3] offset:24 scope:SCOPE_SYS
	s_wait_loadcnt 0x0
	global_inv scope:SCOPE_SYS
	s_clause 0x1
	global_load_b64 v[1:2], v0, s[2:3] offset:40
	global_load_b64 v[9:10], v0, s[2:3]
	s_wait_loadcnt 0x1
	v_and_b32_e32 v1, v1, v13
	v_and_b32_e32 v2, v2, v14
	s_delay_alu instid0(VALU_DEP_2) | instskip(NEXT) | instid1(VALU_DEP_2)
	v_mul_lo_u32 v3, 0, v1
	v_mul_lo_u32 v2, 24, v2
	v_mul_hi_u32 v11, 24, v1
	v_mul_lo_u32 v1, 24, v1
	s_delay_alu instid0(VALU_DEP_3) | instskip(SKIP_1) | instid1(VALU_DEP_2)
	v_add_nc_u32_e32 v2, v2, v3
	s_wait_loadcnt 0x0
	v_add_co_u32 v1, vcc_lo, v9, v1
	s_delay_alu instid0(VALU_DEP_2) | instskip(SKIP_1) | instid1(VALU_DEP_1)
	v_add_nc_u32_e32 v2, v2, v11
	s_wait_alu 0xfffd
	v_add_co_ci_u32_e32 v2, vcc_lo, v10, v2, vcc_lo
	global_load_b64 v[11:12], v[1:2], off scope:SCOPE_SYS
	s_wait_loadcnt 0x0
	global_atomic_cmpswap_b64 v[11:12], v0, v[11:14], s[2:3] offset:24 th:TH_ATOMIC_RETURN scope:SCOPE_SYS
	s_wait_loadcnt 0x0
	global_inv scope:SCOPE_SYS
	v_cmpx_ne_u64_e64 v[11:12], v[13:14]
	s_cbranch_execz .LBB6_947
; %bb.944:
	s_mov_b32 s5, 0
.LBB6_945:                              ; =>This Inner Loop Header: Depth=1
	s_sleep 1
	s_clause 0x1
	global_load_b64 v[1:2], v0, s[2:3] offset:40
	global_load_b64 v[9:10], v0, s[2:3]
	v_dual_mov_b32 v14, v12 :: v_dual_mov_b32 v13, v11
	s_wait_loadcnt 0x1
	s_delay_alu instid0(VALU_DEP_1) | instskip(NEXT) | instid1(VALU_DEP_2)
	v_and_b32_e32 v1, v1, v13
	v_and_b32_e32 v2, v2, v14
	s_wait_loadcnt 0x0
	s_delay_alu instid0(VALU_DEP_2) | instskip(NEXT) | instid1(VALU_DEP_1)
	v_mad_co_u64_u32 v[9:10], null, v1, 24, v[9:10]
	v_mov_b32_e32 v1, v10
	s_delay_alu instid0(VALU_DEP_1) | instskip(NEXT) | instid1(VALU_DEP_1)
	v_mad_co_u64_u32 v[1:2], null, v2, 24, v[1:2]
	v_mov_b32_e32 v10, v1
	global_load_b64 v[11:12], v[9:10], off scope:SCOPE_SYS
	s_wait_loadcnt 0x0
	global_atomic_cmpswap_b64 v[11:12], v0, v[11:14], s[2:3] offset:24 th:TH_ATOMIC_RETURN scope:SCOPE_SYS
	s_wait_loadcnt 0x0
	global_inv scope:SCOPE_SYS
	v_cmp_eq_u64_e32 vcc_lo, v[11:12], v[13:14]
	s_wait_alu 0xfffe
	s_or_b32 s5, vcc_lo, s5
	s_wait_alu 0xfffe
	s_and_not1_b32 exec_lo, exec_lo, s5
	s_cbranch_execnz .LBB6_945
; %bb.946:
	s_or_b32 exec_lo, exec_lo, s5
.LBB6_947:
	s_wait_alu 0xfffe
	s_or_b32 exec_lo, exec_lo, s4
.LBB6_948:
	s_wait_alu 0xfffe
	s_or_b32 exec_lo, exec_lo, s1
	v_readfirstlane_b32 s4, v11
	s_wait_loadcnt 0x0
	v_mov_b32_e32 v10, 0
	v_readfirstlane_b32 s1, v12
	s_mov_b32 s5, exec_lo
	s_clause 0x1
	global_load_b64 v[13:14], v10, s[2:3] offset:40
	global_load_b128 v[0:3], v10, s[2:3]
	s_wait_loadcnt 0x1
	s_wait_alu 0xf1ff
	v_and_b32_e32 v15, s4, v13
	v_and_b32_e32 v16, s1, v14
	s_delay_alu instid0(VALU_DEP_2) | instskip(NEXT) | instid1(VALU_DEP_2)
	v_mul_lo_u32 v11, 0, v15
	v_mul_lo_u32 v9, 24, v16
	v_mul_hi_u32 v12, 24, v15
	v_mul_lo_u32 v13, 24, v15
	s_delay_alu instid0(VALU_DEP_3) | instskip(SKIP_1) | instid1(VALU_DEP_2)
	v_add_nc_u32_e32 v9, v9, v11
	s_wait_loadcnt 0x0
	v_add_co_u32 v13, vcc_lo, v0, v13
	s_delay_alu instid0(VALU_DEP_2) | instskip(SKIP_1) | instid1(VALU_DEP_1)
	v_add_nc_u32_e32 v9, v9, v12
	s_wait_alu 0xfffd
	v_add_co_ci_u32_e32 v14, vcc_lo, v1, v9, vcc_lo
	s_and_saveexec_b32 s6, s0
	s_cbranch_execz .LBB6_950
; %bb.949:
	s_wait_alu 0xfffe
	v_dual_mov_b32 v9, s5 :: v_dual_mov_b32 v12, 1
	v_mov_b32_e32 v11, 2
	global_store_b128 v[13:14], v[9:12], off offset:8
.LBB6_950:
	s_wait_alu 0xfffe
	s_or_b32 exec_lo, exec_lo, s6
	v_lshlrev_b64_e32 v[11:12], 12, v[15:16]
	s_mov_b32 s16, 0
	v_and_or_b32 v7, 0xffffff1d, v7, 34
	s_wait_alu 0xfffe
	s_mov_b32 s17, s16
	s_mov_b32 s18, s16
	;; [unrolled: 1-line block ×3, first 2 shown]
	v_add_co_u32 v2, vcc_lo, v2, v11
	s_wait_alu 0xfffd
	v_add_co_ci_u32_e32 v3, vcc_lo, v3, v12, vcc_lo
	v_ashrrev_i32_e32 v10, 31, v6
	v_mov_b32_e32 v9, v6
	v_readfirstlane_b32 s6, v2
	s_delay_alu instid0(VALU_DEP_4)
	v_readfirstlane_b32 s7, v3
	s_wait_alu 0xfffe
	v_dual_mov_b32 v15, s16 :: v_dual_mov_b32 v18, s19
	v_dual_mov_b32 v16, s17 :: v_dual_mov_b32 v17, s18
	s_clause 0x3
	global_store_b128 v34, v[7:10], s[6:7]
	global_store_b128 v34, v[15:18], s[6:7] offset:16
	global_store_b128 v34, v[15:18], s[6:7] offset:32
	;; [unrolled: 1-line block ×3, first 2 shown]
	s_and_saveexec_b32 s5, s0
	s_cbranch_execz .LBB6_958
; %bb.951:
	v_mov_b32_e32 v8, 0
	s_mov_b32 s6, exec_lo
	s_clause 0x1
	global_load_b64 v[11:12], v8, s[2:3] offset:32 scope:SCOPE_SYS
	global_load_b64 v[2:3], v8, s[2:3] offset:40
	v_dual_mov_b32 v9, s4 :: v_dual_mov_b32 v10, s1
	s_wait_loadcnt 0x0
	v_and_b32_e32 v3, s1, v3
	v_and_b32_e32 v2, s4, v2
	s_delay_alu instid0(VALU_DEP_2) | instskip(NEXT) | instid1(VALU_DEP_2)
	v_mul_lo_u32 v3, 24, v3
	v_mul_lo_u32 v6, 0, v2
	v_mul_hi_u32 v7, 24, v2
	v_mul_lo_u32 v2, 24, v2
	s_delay_alu instid0(VALU_DEP_3) | instskip(NEXT) | instid1(VALU_DEP_2)
	v_add_nc_u32_e32 v3, v3, v6
	v_add_co_u32 v6, vcc_lo, v0, v2
	s_delay_alu instid0(VALU_DEP_2) | instskip(SKIP_1) | instid1(VALU_DEP_1)
	v_add_nc_u32_e32 v3, v3, v7
	s_wait_alu 0xfffd
	v_add_co_ci_u32_e32 v7, vcc_lo, v1, v3, vcc_lo
	global_store_b64 v[6:7], v[11:12], off
	global_wb scope:SCOPE_SYS
	s_wait_storecnt 0x0
	global_atomic_cmpswap_b64 v[2:3], v8, v[9:12], s[2:3] offset:32 th:TH_ATOMIC_RETURN scope:SCOPE_SYS
	s_wait_loadcnt 0x0
	v_cmpx_ne_u64_e64 v[2:3], v[11:12]
	s_cbranch_execz .LBB6_954
; %bb.952:
	s_mov_b32 s7, 0
.LBB6_953:                              ; =>This Inner Loop Header: Depth=1
	v_dual_mov_b32 v0, s4 :: v_dual_mov_b32 v1, s1
	s_sleep 1
	global_store_b64 v[6:7], v[2:3], off
	global_wb scope:SCOPE_SYS
	s_wait_storecnt 0x0
	global_atomic_cmpswap_b64 v[0:1], v8, v[0:3], s[2:3] offset:32 th:TH_ATOMIC_RETURN scope:SCOPE_SYS
	s_wait_loadcnt 0x0
	v_cmp_eq_u64_e32 vcc_lo, v[0:1], v[2:3]
	v_dual_mov_b32 v3, v1 :: v_dual_mov_b32 v2, v0
	s_wait_alu 0xfffe
	s_or_b32 s7, vcc_lo, s7
	s_wait_alu 0xfffe
	s_and_not1_b32 exec_lo, exec_lo, s7
	s_cbranch_execnz .LBB6_953
.LBB6_954:
	s_wait_alu 0xfffe
	s_or_b32 exec_lo, exec_lo, s6
	v_mov_b32_e32 v3, 0
	s_mov_b32 s7, exec_lo
	s_mov_b32 s6, exec_lo
	s_wait_alu 0xfffe
	v_mbcnt_lo_u32_b32 v2, s7, 0
	global_load_b64 v[0:1], v3, s[2:3] offset:16
	v_cmpx_eq_u32_e32 0, v2
	s_cbranch_execz .LBB6_956
; %bb.955:
	s_bcnt1_i32_b32 s7, s7
	s_wait_alu 0xfffe
	v_mov_b32_e32 v2, s7
	global_wb scope:SCOPE_SYS
	s_wait_loadcnt 0x0
	global_atomic_add_u64 v[0:1], v[2:3], off offset:8 scope:SCOPE_SYS
.LBB6_956:
	s_or_b32 exec_lo, exec_lo, s6
	s_wait_loadcnt 0x0
	global_load_b64 v[2:3], v[0:1], off offset:16
	s_wait_loadcnt 0x0
	v_cmp_eq_u64_e32 vcc_lo, 0, v[2:3]
	s_cbranch_vccnz .LBB6_958
; %bb.957:
	global_load_b32 v0, v[0:1], off offset:24
	s_wait_loadcnt 0x0
	v_dual_mov_b32 v1, 0 :: v_dual_and_b32 v6, 0xffffff, v0
	global_wb scope:SCOPE_SYS
	s_wait_storecnt 0x0
	global_store_b64 v[2:3], v[0:1], off scope:SCOPE_SYS
	v_readfirstlane_b32 m0, v6
	s_sendmsg sendmsg(MSG_INTERRUPT)
.LBB6_958:
	s_wait_alu 0xfffe
	s_or_b32 exec_lo, exec_lo, s5
	s_branch .LBB6_962
.LBB6_959:                              ;   in Loop: Header=BB6_962 Depth=1
	s_wait_alu 0xfffe
	s_or_b32 exec_lo, exec_lo, s5
	s_delay_alu instid0(VALU_DEP_1) | instskip(NEXT) | instid1(VALU_DEP_1)
	v_readfirstlane_b32 s5, v0
	s_cmp_eq_u32 s5, 0
	s_cbranch_scc1 .LBB6_961
; %bb.960:                              ;   in Loop: Header=BB6_962 Depth=1
	s_sleep 1
	s_cbranch_execnz .LBB6_962
	s_branch .LBB6_964
.LBB6_961:
	s_branch .LBB6_964
.LBB6_962:                              ; =>This Inner Loop Header: Depth=1
	v_mov_b32_e32 v0, 1
	s_and_saveexec_b32 s5, s0
	s_cbranch_execz .LBB6_959
; %bb.963:                              ;   in Loop: Header=BB6_962 Depth=1
	global_load_b32 v0, v[13:14], off offset:20 scope:SCOPE_SYS
	s_wait_loadcnt 0x0
	global_inv scope:SCOPE_SYS
	v_and_b32_e32 v0, 1, v0
	s_branch .LBB6_959
.LBB6_964:
	s_and_saveexec_b32 s5, s0
	s_cbranch_execz .LBB6_968
; %bb.965:
	v_mov_b32_e32 v8, 0
	s_clause 0x2
	global_load_b64 v[2:3], v8, s[2:3] offset:40
	global_load_b64 v[9:10], v8, s[2:3] offset:24 scope:SCOPE_SYS
	global_load_b64 v[6:7], v8, s[2:3]
	s_wait_loadcnt 0x2
	v_add_co_u32 v11, vcc_lo, v2, 1
	s_wait_alu 0xfffd
	v_add_co_ci_u32_e32 v12, vcc_lo, 0, v3, vcc_lo
	s_delay_alu instid0(VALU_DEP_2) | instskip(SKIP_1) | instid1(VALU_DEP_2)
	v_add_co_u32 v0, vcc_lo, v11, s4
	s_wait_alu 0xfffd
	v_add_co_ci_u32_e32 v1, vcc_lo, s1, v12, vcc_lo
	s_delay_alu instid0(VALU_DEP_1) | instskip(SKIP_2) | instid1(VALU_DEP_1)
	v_cmp_eq_u64_e32 vcc_lo, 0, v[0:1]
	s_wait_alu 0xfffd
	v_dual_cndmask_b32 v1, v1, v12 :: v_dual_cndmask_b32 v0, v0, v11
	v_and_b32_e32 v3, v1, v3
	s_delay_alu instid0(VALU_DEP_2) | instskip(NEXT) | instid1(VALU_DEP_2)
	v_and_b32_e32 v2, v0, v2
	v_mul_lo_u32 v3, 24, v3
	s_delay_alu instid0(VALU_DEP_2) | instskip(SKIP_2) | instid1(VALU_DEP_3)
	v_mul_lo_u32 v11, 0, v2
	v_mul_hi_u32 v12, 24, v2
	v_mul_lo_u32 v2, 24, v2
	v_add_nc_u32_e32 v3, v3, v11
	s_wait_loadcnt 0x0
	s_delay_alu instid0(VALU_DEP_2) | instskip(NEXT) | instid1(VALU_DEP_2)
	v_add_co_u32 v6, vcc_lo, v6, v2
	v_dual_mov_b32 v2, v9 :: v_dual_add_nc_u32 v3, v3, v12
	s_wait_alu 0xfffd
	s_delay_alu instid0(VALU_DEP_1)
	v_add_co_ci_u32_e32 v7, vcc_lo, v7, v3, vcc_lo
	v_mov_b32_e32 v3, v10
	global_store_b64 v[6:7], v[9:10], off
	global_wb scope:SCOPE_SYS
	s_wait_storecnt 0x0
	global_atomic_cmpswap_b64 v[2:3], v8, v[0:3], s[2:3] offset:24 th:TH_ATOMIC_RETURN scope:SCOPE_SYS
	s_wait_loadcnt 0x0
	v_cmp_ne_u64_e32 vcc_lo, v[2:3], v[9:10]
	s_and_b32 exec_lo, exec_lo, vcc_lo
	s_cbranch_execz .LBB6_968
; %bb.966:
	s_mov_b32 s0, 0
.LBB6_967:                              ; =>This Inner Loop Header: Depth=1
	s_sleep 1
	global_store_b64 v[6:7], v[2:3], off
	global_wb scope:SCOPE_SYS
	s_wait_storecnt 0x0
	global_atomic_cmpswap_b64 v[9:10], v8, v[0:3], s[2:3] offset:24 th:TH_ATOMIC_RETURN scope:SCOPE_SYS
	s_wait_loadcnt 0x0
	v_cmp_eq_u64_e32 vcc_lo, v[9:10], v[2:3]
	v_dual_mov_b32 v2, v9 :: v_dual_mov_b32 v3, v10
	s_wait_alu 0xfffe
	s_or_b32 s0, vcc_lo, s0
	s_wait_alu 0xfffe
	s_and_not1_b32 exec_lo, exec_lo, s0
	s_cbranch_execnz .LBB6_967
.LBB6_968:
	s_wait_alu 0xfffe
	s_or_b32 exec_lo, exec_lo, s5
	v_readfirstlane_b32 s0, v35
	v_mov_b32_e32 v8, 0
	v_mov_b32_e32 v9, 0
	s_wait_alu 0xf1ff
	s_delay_alu instid0(VALU_DEP_3) | instskip(NEXT) | instid1(VALU_DEP_1)
	v_cmp_eq_u32_e64 s0, s0, v35
	s_and_saveexec_b32 s1, s0
	s_cbranch_execz .LBB6_974
; %bb.969:
	v_mov_b32_e32 v0, 0
	s_mov_b32 s4, exec_lo
	global_load_b64 v[10:11], v0, s[2:3] offset:24 scope:SCOPE_SYS
	s_wait_loadcnt 0x0
	global_inv scope:SCOPE_SYS
	s_clause 0x1
	global_load_b64 v[1:2], v0, s[2:3] offset:40
	global_load_b64 v[6:7], v0, s[2:3]
	s_wait_loadcnt 0x1
	v_and_b32_e32 v1, v1, v10
	v_and_b32_e32 v2, v2, v11
	s_delay_alu instid0(VALU_DEP_2) | instskip(NEXT) | instid1(VALU_DEP_2)
	v_mul_lo_u32 v3, 0, v1
	v_mul_lo_u32 v2, 24, v2
	v_mul_hi_u32 v8, 24, v1
	v_mul_lo_u32 v1, 24, v1
	s_delay_alu instid0(VALU_DEP_3) | instskip(SKIP_1) | instid1(VALU_DEP_2)
	v_add_nc_u32_e32 v2, v2, v3
	s_wait_loadcnt 0x0
	v_add_co_u32 v1, vcc_lo, v6, v1
	s_delay_alu instid0(VALU_DEP_2) | instskip(SKIP_1) | instid1(VALU_DEP_1)
	v_add_nc_u32_e32 v2, v2, v8
	s_wait_alu 0xfffd
	v_add_co_ci_u32_e32 v2, vcc_lo, v7, v2, vcc_lo
	global_load_b64 v[8:9], v[1:2], off scope:SCOPE_SYS
	s_wait_loadcnt 0x0
	global_atomic_cmpswap_b64 v[8:9], v0, v[8:11], s[2:3] offset:24 th:TH_ATOMIC_RETURN scope:SCOPE_SYS
	s_wait_loadcnt 0x0
	global_inv scope:SCOPE_SYS
	v_cmpx_ne_u64_e64 v[8:9], v[10:11]
	s_cbranch_execz .LBB6_973
; %bb.970:
	s_mov_b32 s5, 0
.LBB6_971:                              ; =>This Inner Loop Header: Depth=1
	s_sleep 1
	s_clause 0x1
	global_load_b64 v[1:2], v0, s[2:3] offset:40
	global_load_b64 v[6:7], v0, s[2:3]
	v_dual_mov_b32 v11, v9 :: v_dual_mov_b32 v10, v8
	s_wait_loadcnt 0x1
	s_delay_alu instid0(VALU_DEP_1) | instskip(SKIP_1) | instid1(VALU_DEP_1)
	v_and_b32_e32 v1, v1, v10
	s_wait_loadcnt 0x0
	v_mad_co_u64_u32 v[6:7], null, v1, 24, v[6:7]
	s_delay_alu instid0(VALU_DEP_1) | instskip(NEXT) | instid1(VALU_DEP_1)
	v_dual_mov_b32 v1, v7 :: v_dual_and_b32 v2, v2, v11
	v_mad_co_u64_u32 v[1:2], null, v2, 24, v[1:2]
	s_delay_alu instid0(VALU_DEP_1)
	v_mov_b32_e32 v7, v1
	global_load_b64 v[8:9], v[6:7], off scope:SCOPE_SYS
	s_wait_loadcnt 0x0
	global_atomic_cmpswap_b64 v[8:9], v0, v[8:11], s[2:3] offset:24 th:TH_ATOMIC_RETURN scope:SCOPE_SYS
	s_wait_loadcnt 0x0
	global_inv scope:SCOPE_SYS
	v_cmp_eq_u64_e32 vcc_lo, v[8:9], v[10:11]
	s_wait_alu 0xfffe
	s_or_b32 s5, vcc_lo, s5
	s_wait_alu 0xfffe
	s_and_not1_b32 exec_lo, exec_lo, s5
	s_cbranch_execnz .LBB6_971
; %bb.972:
	s_or_b32 exec_lo, exec_lo, s5
.LBB6_973:
	s_wait_alu 0xfffe
	s_or_b32 exec_lo, exec_lo, s4
.LBB6_974:
	s_wait_alu 0xfffe
	s_or_b32 exec_lo, exec_lo, s1
	v_readfirstlane_b32 s4, v8
	v_mov_b32_e32 v7, 0
	v_readfirstlane_b32 s1, v9
	s_mov_b32 s5, exec_lo
	s_clause 0x1
	global_load_b64 v[10:11], v7, s[2:3] offset:40
	global_load_b128 v[0:3], v7, s[2:3]
	s_wait_loadcnt 0x1
	s_wait_alu 0xf1ff
	v_and_b32_e32 v12, s4, v10
	v_and_b32_e32 v13, s1, v11
	s_delay_alu instid0(VALU_DEP_2) | instskip(NEXT) | instid1(VALU_DEP_2)
	v_mul_lo_u32 v8, 0, v12
	v_mul_lo_u32 v6, 24, v13
	v_mul_hi_u32 v9, 24, v12
	v_mul_lo_u32 v10, 24, v12
	s_delay_alu instid0(VALU_DEP_3) | instskip(SKIP_1) | instid1(VALU_DEP_2)
	v_add_nc_u32_e32 v6, v6, v8
	s_wait_loadcnt 0x0
	v_add_co_u32 v10, vcc_lo, v0, v10
	s_delay_alu instid0(VALU_DEP_2) | instskip(SKIP_1) | instid1(VALU_DEP_1)
	v_add_nc_u32_e32 v6, v6, v9
	s_wait_alu 0xfffd
	v_add_co_ci_u32_e32 v11, vcc_lo, v1, v6, vcc_lo
	s_and_saveexec_b32 s6, s0
	s_cbranch_execz .LBB6_976
; %bb.975:
	s_wait_alu 0xfffe
	v_dual_mov_b32 v6, s5 :: v_dual_mov_b32 v9, 1
	v_mov_b32_e32 v8, 2
	global_store_b128 v[10:11], v[6:9], off offset:8
.LBB6_976:
	s_wait_alu 0xfffe
	s_or_b32 exec_lo, exec_lo, s6
	v_lshlrev_b64_e32 v[12:13], 12, v[12:13]
	s_mov_b32 s16, 0
	v_dual_mov_b32 v6, 33 :: v_dual_mov_b32 v9, v7
	s_wait_alu 0xfffe
	s_mov_b32 s17, s16
	s_mov_b32 s18, s16
	v_add_co_u32 v2, vcc_lo, v2, v12
	s_wait_alu 0xfffd
	v_add_co_ci_u32_e32 v3, vcc_lo, v3, v13, vcc_lo
	s_mov_b32 s19, s16
	s_delay_alu instid0(VALU_DEP_2)
	v_add_co_u32 v12, vcc_lo, v2, v34
	v_mov_b32_e32 v8, v7
	v_readfirstlane_b32 s6, v2
	v_readfirstlane_b32 s7, v3
	s_wait_alu 0xfffe
	v_dual_mov_b32 v14, s16 :: v_dual_mov_b32 v17, s19
	s_wait_alu 0xfffd
	v_add_co_ci_u32_e32 v13, vcc_lo, 0, v3, vcc_lo
	v_dual_mov_b32 v15, s17 :: v_dual_mov_b32 v16, s18
	s_clause 0x3
	global_store_b128 v34, v[6:9], s[6:7]
	global_store_b128 v34, v[14:17], s[6:7] offset:16
	global_store_b128 v34, v[14:17], s[6:7] offset:32
	;; [unrolled: 1-line block ×3, first 2 shown]
	s_and_saveexec_b32 s5, s0
	s_cbranch_execz .LBB6_984
; %bb.977:
	v_mov_b32_e32 v8, 0
	s_mov_b32 s6, exec_lo
	s_clause 0x1
	global_load_b64 v[16:17], v8, s[2:3] offset:32 scope:SCOPE_SYS
	global_load_b64 v[2:3], v8, s[2:3] offset:40
	v_dual_mov_b32 v15, s1 :: v_dual_mov_b32 v14, s4
	s_wait_loadcnt 0x0
	v_and_b32_e32 v3, s1, v3
	v_and_b32_e32 v2, s4, v2
	s_delay_alu instid0(VALU_DEP_2) | instskip(NEXT) | instid1(VALU_DEP_2)
	v_mul_lo_u32 v3, 24, v3
	v_mul_lo_u32 v6, 0, v2
	v_mul_hi_u32 v7, 24, v2
	v_mul_lo_u32 v2, 24, v2
	s_delay_alu instid0(VALU_DEP_3) | instskip(NEXT) | instid1(VALU_DEP_2)
	v_add_nc_u32_e32 v3, v3, v6
	v_add_co_u32 v6, vcc_lo, v0, v2
	s_delay_alu instid0(VALU_DEP_2) | instskip(SKIP_1) | instid1(VALU_DEP_1)
	v_add_nc_u32_e32 v3, v3, v7
	s_wait_alu 0xfffd
	v_add_co_ci_u32_e32 v7, vcc_lo, v1, v3, vcc_lo
	global_store_b64 v[6:7], v[16:17], off
	global_wb scope:SCOPE_SYS
	s_wait_storecnt 0x0
	global_atomic_cmpswap_b64 v[2:3], v8, v[14:17], s[2:3] offset:32 th:TH_ATOMIC_RETURN scope:SCOPE_SYS
	s_wait_loadcnt 0x0
	v_cmpx_ne_u64_e64 v[2:3], v[16:17]
	s_cbranch_execz .LBB6_980
; %bb.978:
	s_mov_b32 s7, 0
.LBB6_979:                              ; =>This Inner Loop Header: Depth=1
	v_dual_mov_b32 v0, s4 :: v_dual_mov_b32 v1, s1
	s_sleep 1
	global_store_b64 v[6:7], v[2:3], off
	global_wb scope:SCOPE_SYS
	s_wait_storecnt 0x0
	global_atomic_cmpswap_b64 v[0:1], v8, v[0:3], s[2:3] offset:32 th:TH_ATOMIC_RETURN scope:SCOPE_SYS
	s_wait_loadcnt 0x0
	v_cmp_eq_u64_e32 vcc_lo, v[0:1], v[2:3]
	v_dual_mov_b32 v3, v1 :: v_dual_mov_b32 v2, v0
	s_wait_alu 0xfffe
	s_or_b32 s7, vcc_lo, s7
	s_wait_alu 0xfffe
	s_and_not1_b32 exec_lo, exec_lo, s7
	s_cbranch_execnz .LBB6_979
.LBB6_980:
	s_wait_alu 0xfffe
	s_or_b32 exec_lo, exec_lo, s6
	v_mov_b32_e32 v3, 0
	s_mov_b32 s7, exec_lo
	s_mov_b32 s6, exec_lo
	s_wait_alu 0xfffe
	v_mbcnt_lo_u32_b32 v2, s7, 0
	global_load_b64 v[0:1], v3, s[2:3] offset:16
	v_cmpx_eq_u32_e32 0, v2
	s_cbranch_execz .LBB6_982
; %bb.981:
	s_bcnt1_i32_b32 s7, s7
	s_wait_alu 0xfffe
	v_mov_b32_e32 v2, s7
	global_wb scope:SCOPE_SYS
	s_wait_loadcnt 0x0
	global_atomic_add_u64 v[0:1], v[2:3], off offset:8 scope:SCOPE_SYS
.LBB6_982:
	s_or_b32 exec_lo, exec_lo, s6
	s_wait_loadcnt 0x0
	global_load_b64 v[2:3], v[0:1], off offset:16
	s_wait_loadcnt 0x0
	v_cmp_eq_u64_e32 vcc_lo, 0, v[2:3]
	s_cbranch_vccnz .LBB6_984
; %bb.983:
	global_load_b32 v0, v[0:1], off offset:24
	s_wait_loadcnt 0x0
	v_dual_mov_b32 v1, 0 :: v_dual_and_b32 v6, 0xffffff, v0
	global_wb scope:SCOPE_SYS
	s_wait_storecnt 0x0
	global_store_b64 v[2:3], v[0:1], off scope:SCOPE_SYS
	v_readfirstlane_b32 m0, v6
	s_sendmsg sendmsg(MSG_INTERRUPT)
.LBB6_984:
	s_wait_alu 0xfffe
	s_or_b32 exec_lo, exec_lo, s5
	s_branch .LBB6_988
.LBB6_985:                              ;   in Loop: Header=BB6_988 Depth=1
	s_wait_alu 0xfffe
	s_or_b32 exec_lo, exec_lo, s5
	s_delay_alu instid0(VALU_DEP_1) | instskip(NEXT) | instid1(VALU_DEP_1)
	v_readfirstlane_b32 s5, v0
	s_cmp_eq_u32 s5, 0
	s_cbranch_scc1 .LBB6_987
; %bb.986:                              ;   in Loop: Header=BB6_988 Depth=1
	s_sleep 1
	s_cbranch_execnz .LBB6_988
	s_branch .LBB6_990
.LBB6_987:
	s_branch .LBB6_990
.LBB6_988:                              ; =>This Inner Loop Header: Depth=1
	v_mov_b32_e32 v0, 1
	s_and_saveexec_b32 s5, s0
	s_cbranch_execz .LBB6_985
; %bb.989:                              ;   in Loop: Header=BB6_988 Depth=1
	global_load_b32 v0, v[10:11], off offset:20 scope:SCOPE_SYS
	s_wait_loadcnt 0x0
	global_inv scope:SCOPE_SYS
	v_and_b32_e32 v0, 1, v0
	s_branch .LBB6_985
.LBB6_990:
	global_load_b64 v[0:1], v[12:13], off
	s_and_saveexec_b32 s5, s0
	s_cbranch_execz .LBB6_994
; %bb.991:
	v_mov_b32_e32 v10, 0
	s_clause 0x2
	global_load_b64 v[2:3], v10, s[2:3] offset:40
	global_load_b64 v[11:12], v10, s[2:3] offset:24 scope:SCOPE_SYS
	global_load_b64 v[8:9], v10, s[2:3]
	s_wait_loadcnt 0x2
	v_add_co_u32 v13, vcc_lo, v2, 1
	s_wait_alu 0xfffd
	v_add_co_ci_u32_e32 v14, vcc_lo, 0, v3, vcc_lo
	s_delay_alu instid0(VALU_DEP_2) | instskip(SKIP_1) | instid1(VALU_DEP_2)
	v_add_co_u32 v6, vcc_lo, v13, s4
	s_wait_alu 0xfffd
	v_add_co_ci_u32_e32 v7, vcc_lo, s1, v14, vcc_lo
	s_delay_alu instid0(VALU_DEP_1) | instskip(SKIP_2) | instid1(VALU_DEP_1)
	v_cmp_eq_u64_e32 vcc_lo, 0, v[6:7]
	s_wait_alu 0xfffd
	v_dual_cndmask_b32 v7, v7, v14 :: v_dual_cndmask_b32 v6, v6, v13
	v_and_b32_e32 v3, v7, v3
	s_delay_alu instid0(VALU_DEP_2) | instskip(NEXT) | instid1(VALU_DEP_2)
	v_and_b32_e32 v2, v6, v2
	v_mul_lo_u32 v3, 24, v3
	s_delay_alu instid0(VALU_DEP_2) | instskip(SKIP_2) | instid1(VALU_DEP_3)
	v_mul_lo_u32 v13, 0, v2
	v_mul_hi_u32 v14, 24, v2
	v_mul_lo_u32 v2, 24, v2
	v_add_nc_u32_e32 v3, v3, v13
	s_wait_loadcnt 0x0
	s_delay_alu instid0(VALU_DEP_2) | instskip(SKIP_1) | instid1(VALU_DEP_3)
	v_add_co_u32 v2, vcc_lo, v8, v2
	v_mov_b32_e32 v8, v11
	v_add_nc_u32_e32 v3, v3, v14
	s_wait_alu 0xfffd
	s_delay_alu instid0(VALU_DEP_1)
	v_add_co_ci_u32_e32 v3, vcc_lo, v9, v3, vcc_lo
	v_mov_b32_e32 v9, v12
	global_store_b64 v[2:3], v[11:12], off
	global_wb scope:SCOPE_SYS
	s_wait_storecnt 0x0
	global_atomic_cmpswap_b64 v[8:9], v10, v[6:9], s[2:3] offset:24 th:TH_ATOMIC_RETURN scope:SCOPE_SYS
	s_wait_loadcnt 0x0
	v_cmp_ne_u64_e32 vcc_lo, v[8:9], v[11:12]
	s_and_b32 exec_lo, exec_lo, vcc_lo
	s_cbranch_execz .LBB6_994
; %bb.992:
	s_mov_b32 s0, 0
.LBB6_993:                              ; =>This Inner Loop Header: Depth=1
	s_sleep 1
	global_store_b64 v[2:3], v[8:9], off
	global_wb scope:SCOPE_SYS
	s_wait_storecnt 0x0
	global_atomic_cmpswap_b64 v[11:12], v10, v[6:9], s[2:3] offset:24 th:TH_ATOMIC_RETURN scope:SCOPE_SYS
	s_wait_loadcnt 0x0
	v_cmp_eq_u64_e32 vcc_lo, v[11:12], v[8:9]
	v_dual_mov_b32 v8, v11 :: v_dual_mov_b32 v9, v12
	s_wait_alu 0xfffe
	s_or_b32 s0, vcc_lo, s0
	s_wait_alu 0xfffe
	s_and_not1_b32 exec_lo, exec_lo, s0
	s_cbranch_execnz .LBB6_993
.LBB6_994:
	s_wait_alu 0xfffe
	s_or_b32 exec_lo, exec_lo, s5
	s_delay_alu instid0(SALU_CYCLE_1)
	s_and_b32 vcc_lo, exec_lo, s20
	s_wait_alu 0xfffe
	s_cbranch_vccz .LBB6_1073
; %bb.995:
	s_wait_loadcnt 0x0
	v_dual_mov_b32 v10, 0 :: v_dual_and_b32 v33, 2, v0
	v_dual_mov_b32 v7, v1 :: v_dual_and_b32 v6, -3, v0
	v_dual_mov_b32 v11, 2 :: v_dual_mov_b32 v12, 1
	s_mov_b64 s[6:7], 3
	s_getpc_b64 s[4:5]
	s_wait_alu 0xfffe
	s_sext_i32_i16 s5, s5
	s_add_co_u32 s4, s4, .str.8@rel32@lo+12
	s_wait_alu 0xfffe
	s_add_co_ci_u32 s5, s5, .str.8@rel32@hi+24
	s_branch .LBB6_997
.LBB6_996:                              ;   in Loop: Header=BB6_997 Depth=1
	s_wait_alu 0xfffe
	s_or_b32 exec_lo, exec_lo, s17
	s_sub_nc_u64 s[6:7], s[6:7], s[10:11]
	s_add_nc_u64 s[4:5], s[4:5], s[10:11]
	s_wait_alu 0xfffe
	s_cmp_lg_u64 s[6:7], 0
	s_cbranch_scc0 .LBB6_1072
.LBB6_997:                              ; =>This Loop Header: Depth=1
                                        ;     Child Loop BB6_1006 Depth 2
                                        ;     Child Loop BB6_1002 Depth 2
	;; [unrolled: 1-line block ×11, first 2 shown]
	v_cmp_lt_u64_e64 s0, s[6:7], 56
	v_cmp_gt_u64_e64 s1, s[6:7], 7
                                        ; implicit-def: $vgpr15_vgpr16
                                        ; implicit-def: $sgpr21
	s_delay_alu instid0(VALU_DEP_2) | instskip(SKIP_2) | instid1(VALU_DEP_1)
	s_and_b32 s0, s0, exec_lo
	s_cselect_b32 s11, s7, 0
	s_cselect_b32 s10, s6, 56
	s_and_b32 vcc_lo, exec_lo, s1
	s_mov_b32 s0, -1
	s_wait_alu 0xfffe
	s_cbranch_vccz .LBB6_1004
; %bb.998:                              ;   in Loop: Header=BB6_997 Depth=1
	s_and_not1_b32 vcc_lo, exec_lo, s0
	s_mov_b64 s[0:1], s[4:5]
	s_wait_alu 0xfffe
	s_cbranch_vccz .LBB6_1008
.LBB6_999:                              ;   in Loop: Header=BB6_997 Depth=1
	s_wait_alu 0xfffe
	s_cmp_gt_u32 s21, 7
	s_cbranch_scc1 .LBB6_1009
.LBB6_1000:                             ;   in Loop: Header=BB6_997 Depth=1
	v_mov_b32_e32 v17, 0
	v_mov_b32_e32 v18, 0
	s_cmp_eq_u32 s21, 0
	s_cbranch_scc1 .LBB6_1003
; %bb.1001:                             ;   in Loop: Header=BB6_997 Depth=1
	s_mov_b64 s[16:17], 0
	s_mov_b64 s[18:19], 0
.LBB6_1002:                             ;   Parent Loop BB6_997 Depth=1
                                        ; =>  This Inner Loop Header: Depth=2
	s_wait_alu 0xfffe
	s_add_nc_u64 s[22:23], s[0:1], s[18:19]
	s_add_nc_u64 s[18:19], s[18:19], 1
	global_load_u8 v2, v10, s[22:23]
	s_wait_alu 0xfffe
	s_cmp_lg_u32 s21, s18
	s_wait_loadcnt 0x0
	v_and_b32_e32 v9, 0xffff, v2
	s_delay_alu instid0(VALU_DEP_1) | instskip(SKIP_1) | instid1(VALU_DEP_1)
	v_lshlrev_b64_e32 v[2:3], s16, v[9:10]
	s_add_nc_u64 s[16:17], s[16:17], 8
	v_or_b32_e32 v17, v2, v17
	s_delay_alu instid0(VALU_DEP_2)
	v_or_b32_e32 v18, v3, v18
	s_cbranch_scc1 .LBB6_1002
.LBB6_1003:                             ;   in Loop: Header=BB6_997 Depth=1
	s_mov_b32 s22, 0
	s_cbranch_execz .LBB6_1010
	s_branch .LBB6_1011
.LBB6_1004:                             ;   in Loop: Header=BB6_997 Depth=1
	v_mov_b32_e32 v15, 0
	v_mov_b32_e32 v16, 0
	s_cmp_eq_u64 s[6:7], 0
	s_mov_b64 s[0:1], 0
	s_cbranch_scc1 .LBB6_1007
; %bb.1005:                             ;   in Loop: Header=BB6_997 Depth=1
	v_mov_b32_e32 v15, 0
	v_mov_b32_e32 v16, 0
	s_mov_b64 s[16:17], 0
.LBB6_1006:                             ;   Parent Loop BB6_997 Depth=1
                                        ; =>  This Inner Loop Header: Depth=2
	s_wait_alu 0xfffe
	s_add_nc_u64 s[18:19], s[4:5], s[16:17]
	s_add_nc_u64 s[16:17], s[16:17], 1
	global_load_u8 v2, v10, s[18:19]
	s_wait_alu 0xfffe
	s_cmp_lg_u32 s10, s16
	s_wait_loadcnt 0x0
	v_and_b32_e32 v9, 0xffff, v2
	s_delay_alu instid0(VALU_DEP_1) | instskip(SKIP_1) | instid1(VALU_DEP_1)
	v_lshlrev_b64_e32 v[2:3], s0, v[9:10]
	s_add_nc_u64 s[0:1], s[0:1], 8
	v_or_b32_e32 v15, v2, v15
	s_delay_alu instid0(VALU_DEP_2)
	v_or_b32_e32 v16, v3, v16
	s_cbranch_scc1 .LBB6_1006
.LBB6_1007:                             ;   in Loop: Header=BB6_997 Depth=1
	s_mov_b32 s21, 0
	s_mov_b64 s[0:1], s[4:5]
	s_cbranch_execnz .LBB6_999
.LBB6_1008:                             ;   in Loop: Header=BB6_997 Depth=1
	global_load_b64 v[15:16], v10, s[4:5]
	s_add_co_i32 s21, s10, -8
	s_add_nc_u64 s[0:1], s[4:5], 8
	s_wait_alu 0xfffe
	s_cmp_gt_u32 s21, 7
	s_cbranch_scc0 .LBB6_1000
.LBB6_1009:                             ;   in Loop: Header=BB6_997 Depth=1
                                        ; implicit-def: $vgpr17_vgpr18
                                        ; implicit-def: $sgpr22
.LBB6_1010:                             ;   in Loop: Header=BB6_997 Depth=1
	global_load_b64 v[17:18], v10, s[0:1]
	s_add_co_i32 s22, s21, -8
	s_add_nc_u64 s[0:1], s[0:1], 8
.LBB6_1011:                             ;   in Loop: Header=BB6_997 Depth=1
	s_wait_alu 0xfffe
	s_cmp_gt_u32 s22, 7
	s_cbranch_scc1 .LBB6_1016
; %bb.1012:                             ;   in Loop: Header=BB6_997 Depth=1
	v_mov_b32_e32 v19, 0
	v_mov_b32_e32 v20, 0
	s_cmp_eq_u32 s22, 0
	s_cbranch_scc1 .LBB6_1015
; %bb.1013:                             ;   in Loop: Header=BB6_997 Depth=1
	s_mov_b64 s[16:17], 0
	s_mov_b64 s[18:19], 0
.LBB6_1014:                             ;   Parent Loop BB6_997 Depth=1
                                        ; =>  This Inner Loop Header: Depth=2
	s_wait_alu 0xfffe
	s_add_nc_u64 s[24:25], s[0:1], s[18:19]
	s_add_nc_u64 s[18:19], s[18:19], 1
	global_load_u8 v2, v10, s[24:25]
	s_wait_alu 0xfffe
	s_cmp_lg_u32 s22, s18
	s_wait_loadcnt 0x0
	v_and_b32_e32 v9, 0xffff, v2
	s_delay_alu instid0(VALU_DEP_1) | instskip(SKIP_1) | instid1(VALU_DEP_1)
	v_lshlrev_b64_e32 v[2:3], s16, v[9:10]
	s_add_nc_u64 s[16:17], s[16:17], 8
	v_or_b32_e32 v19, v2, v19
	s_delay_alu instid0(VALU_DEP_2)
	v_or_b32_e32 v20, v3, v20
	s_cbranch_scc1 .LBB6_1014
.LBB6_1015:                             ;   in Loop: Header=BB6_997 Depth=1
	s_mov_b32 s21, 0
	s_cbranch_execz .LBB6_1017
	s_branch .LBB6_1018
.LBB6_1016:                             ;   in Loop: Header=BB6_997 Depth=1
                                        ; implicit-def: $sgpr21
.LBB6_1017:                             ;   in Loop: Header=BB6_997 Depth=1
	global_load_b64 v[19:20], v10, s[0:1]
	s_add_co_i32 s21, s22, -8
	s_add_nc_u64 s[0:1], s[0:1], 8
.LBB6_1018:                             ;   in Loop: Header=BB6_997 Depth=1
	s_wait_alu 0xfffe
	s_cmp_gt_u32 s21, 7
	s_cbranch_scc1 .LBB6_1023
; %bb.1019:                             ;   in Loop: Header=BB6_997 Depth=1
	v_mov_b32_e32 v21, 0
	v_mov_b32_e32 v22, 0
	s_cmp_eq_u32 s21, 0
	s_cbranch_scc1 .LBB6_1022
; %bb.1020:                             ;   in Loop: Header=BB6_997 Depth=1
	s_mov_b64 s[16:17], 0
	s_mov_b64 s[18:19], 0
.LBB6_1021:                             ;   Parent Loop BB6_997 Depth=1
                                        ; =>  This Inner Loop Header: Depth=2
	s_wait_alu 0xfffe
	s_add_nc_u64 s[22:23], s[0:1], s[18:19]
	s_add_nc_u64 s[18:19], s[18:19], 1
	global_load_u8 v2, v10, s[22:23]
	s_wait_alu 0xfffe
	s_cmp_lg_u32 s21, s18
	s_wait_loadcnt 0x0
	v_and_b32_e32 v9, 0xffff, v2
	s_delay_alu instid0(VALU_DEP_1) | instskip(SKIP_1) | instid1(VALU_DEP_1)
	v_lshlrev_b64_e32 v[2:3], s16, v[9:10]
	s_add_nc_u64 s[16:17], s[16:17], 8
	v_or_b32_e32 v21, v2, v21
	s_delay_alu instid0(VALU_DEP_2)
	v_or_b32_e32 v22, v3, v22
	s_cbranch_scc1 .LBB6_1021
.LBB6_1022:                             ;   in Loop: Header=BB6_997 Depth=1
	s_mov_b32 s22, 0
	s_cbranch_execz .LBB6_1024
	s_branch .LBB6_1025
.LBB6_1023:                             ;   in Loop: Header=BB6_997 Depth=1
                                        ; implicit-def: $vgpr21_vgpr22
                                        ; implicit-def: $sgpr22
.LBB6_1024:                             ;   in Loop: Header=BB6_997 Depth=1
	global_load_b64 v[21:22], v10, s[0:1]
	s_add_co_i32 s22, s21, -8
	s_add_nc_u64 s[0:1], s[0:1], 8
.LBB6_1025:                             ;   in Loop: Header=BB6_997 Depth=1
	s_wait_alu 0xfffe
	s_cmp_gt_u32 s22, 7
	s_cbranch_scc1 .LBB6_1030
; %bb.1026:                             ;   in Loop: Header=BB6_997 Depth=1
	v_mov_b32_e32 v23, 0
	v_mov_b32_e32 v24, 0
	s_cmp_eq_u32 s22, 0
	s_cbranch_scc1 .LBB6_1029
; %bb.1027:                             ;   in Loop: Header=BB6_997 Depth=1
	s_mov_b64 s[16:17], 0
	s_mov_b64 s[18:19], 0
.LBB6_1028:                             ;   Parent Loop BB6_997 Depth=1
                                        ; =>  This Inner Loop Header: Depth=2
	s_wait_alu 0xfffe
	s_add_nc_u64 s[24:25], s[0:1], s[18:19]
	s_add_nc_u64 s[18:19], s[18:19], 1
	global_load_u8 v2, v10, s[24:25]
	s_wait_alu 0xfffe
	s_cmp_lg_u32 s22, s18
	s_wait_loadcnt 0x0
	v_and_b32_e32 v9, 0xffff, v2
	s_delay_alu instid0(VALU_DEP_1) | instskip(SKIP_1) | instid1(VALU_DEP_1)
	v_lshlrev_b64_e32 v[2:3], s16, v[9:10]
	s_add_nc_u64 s[16:17], s[16:17], 8
	v_or_b32_e32 v23, v2, v23
	s_delay_alu instid0(VALU_DEP_2)
	v_or_b32_e32 v24, v3, v24
	s_cbranch_scc1 .LBB6_1028
.LBB6_1029:                             ;   in Loop: Header=BB6_997 Depth=1
	s_mov_b32 s21, 0
	s_cbranch_execz .LBB6_1031
	s_branch .LBB6_1032
.LBB6_1030:                             ;   in Loop: Header=BB6_997 Depth=1
                                        ; implicit-def: $sgpr21
.LBB6_1031:                             ;   in Loop: Header=BB6_997 Depth=1
	global_load_b64 v[23:24], v10, s[0:1]
	s_add_co_i32 s21, s22, -8
	s_add_nc_u64 s[0:1], s[0:1], 8
.LBB6_1032:                             ;   in Loop: Header=BB6_997 Depth=1
	s_wait_alu 0xfffe
	s_cmp_gt_u32 s21, 7
	s_cbranch_scc1 .LBB6_1037
; %bb.1033:                             ;   in Loop: Header=BB6_997 Depth=1
	v_mov_b32_e32 v25, 0
	v_mov_b32_e32 v26, 0
	s_cmp_eq_u32 s21, 0
	s_cbranch_scc1 .LBB6_1036
; %bb.1034:                             ;   in Loop: Header=BB6_997 Depth=1
	s_mov_b64 s[16:17], 0
	s_mov_b64 s[18:19], 0
.LBB6_1035:                             ;   Parent Loop BB6_997 Depth=1
                                        ; =>  This Inner Loop Header: Depth=2
	s_wait_alu 0xfffe
	s_add_nc_u64 s[22:23], s[0:1], s[18:19]
	s_add_nc_u64 s[18:19], s[18:19], 1
	global_load_u8 v2, v10, s[22:23]
	s_wait_alu 0xfffe
	s_cmp_lg_u32 s21, s18
	s_wait_loadcnt 0x0
	v_and_b32_e32 v9, 0xffff, v2
	s_delay_alu instid0(VALU_DEP_1) | instskip(SKIP_1) | instid1(VALU_DEP_1)
	v_lshlrev_b64_e32 v[2:3], s16, v[9:10]
	s_add_nc_u64 s[16:17], s[16:17], 8
	v_or_b32_e32 v25, v2, v25
	s_delay_alu instid0(VALU_DEP_2)
	v_or_b32_e32 v26, v3, v26
	s_cbranch_scc1 .LBB6_1035
.LBB6_1036:                             ;   in Loop: Header=BB6_997 Depth=1
	s_mov_b32 s22, 0
	s_cbranch_execz .LBB6_1038
	s_branch .LBB6_1039
.LBB6_1037:                             ;   in Loop: Header=BB6_997 Depth=1
                                        ; implicit-def: $vgpr25_vgpr26
                                        ; implicit-def: $sgpr22
.LBB6_1038:                             ;   in Loop: Header=BB6_997 Depth=1
	global_load_b64 v[25:26], v10, s[0:1]
	s_add_co_i32 s22, s21, -8
	s_add_nc_u64 s[0:1], s[0:1], 8
.LBB6_1039:                             ;   in Loop: Header=BB6_997 Depth=1
	s_wait_alu 0xfffe
	s_cmp_gt_u32 s22, 7
	s_cbranch_scc1 .LBB6_1044
; %bb.1040:                             ;   in Loop: Header=BB6_997 Depth=1
	v_mov_b32_e32 v27, 0
	v_mov_b32_e32 v28, 0
	s_cmp_eq_u32 s22, 0
	s_cbranch_scc1 .LBB6_1043
; %bb.1041:                             ;   in Loop: Header=BB6_997 Depth=1
	s_mov_b64 s[16:17], 0
	s_mov_b64 s[18:19], s[0:1]
.LBB6_1042:                             ;   Parent Loop BB6_997 Depth=1
                                        ; =>  This Inner Loop Header: Depth=2
	global_load_u8 v2, v10, s[18:19]
	s_add_co_i32 s22, s22, -1
	s_wait_alu 0xfffe
	s_add_nc_u64 s[18:19], s[18:19], 1
	s_cmp_lg_u32 s22, 0
	s_wait_loadcnt 0x0
	v_and_b32_e32 v9, 0xffff, v2
	s_delay_alu instid0(VALU_DEP_1) | instskip(SKIP_1) | instid1(VALU_DEP_1)
	v_lshlrev_b64_e32 v[2:3], s16, v[9:10]
	s_add_nc_u64 s[16:17], s[16:17], 8
	v_or_b32_e32 v27, v2, v27
	s_delay_alu instid0(VALU_DEP_2)
	v_or_b32_e32 v28, v3, v28
	s_cbranch_scc1 .LBB6_1042
.LBB6_1043:                             ;   in Loop: Header=BB6_997 Depth=1
	s_cbranch_execz .LBB6_1045
	s_branch .LBB6_1046
.LBB6_1044:                             ;   in Loop: Header=BB6_997 Depth=1
.LBB6_1045:                             ;   in Loop: Header=BB6_997 Depth=1
	global_load_b64 v[27:28], v10, s[0:1]
.LBB6_1046:                             ;   in Loop: Header=BB6_997 Depth=1
	v_readfirstlane_b32 s0, v35
	v_mov_b32_e32 v2, 0
	v_mov_b32_e32 v3, 0
	s_wait_alu 0xf1ff
	s_delay_alu instid0(VALU_DEP_3) | instskip(NEXT) | instid1(VALU_DEP_1)
	v_cmp_eq_u32_e64 s0, s0, v35
	s_and_saveexec_b32 s1, s0
	s_cbranch_execz .LBB6_1052
; %bb.1047:                             ;   in Loop: Header=BB6_997 Depth=1
	global_load_b64 v[31:32], v10, s[2:3] offset:24 scope:SCOPE_SYS
	s_wait_loadcnt 0x0
	global_inv scope:SCOPE_SYS
	s_clause 0x1
	global_load_b64 v[2:3], v10, s[2:3] offset:40
	global_load_b64 v[8:9], v10, s[2:3]
	s_mov_b32 s16, exec_lo
	s_wait_loadcnt 0x1
	v_and_b32_e32 v3, v3, v32
	v_and_b32_e32 v2, v2, v31
	s_delay_alu instid0(VALU_DEP_2) | instskip(NEXT) | instid1(VALU_DEP_2)
	v_mul_lo_u32 v3, 24, v3
	v_mul_lo_u32 v13, 0, v2
	v_mul_hi_u32 v14, 24, v2
	v_mul_lo_u32 v2, 24, v2
	s_delay_alu instid0(VALU_DEP_3) | instskip(SKIP_1) | instid1(VALU_DEP_2)
	v_add_nc_u32_e32 v3, v3, v13
	s_wait_loadcnt 0x0
	v_add_co_u32 v2, vcc_lo, v8, v2
	s_delay_alu instid0(VALU_DEP_2) | instskip(SKIP_1) | instid1(VALU_DEP_1)
	v_add_nc_u32_e32 v3, v3, v14
	s_wait_alu 0xfffd
	v_add_co_ci_u32_e32 v3, vcc_lo, v9, v3, vcc_lo
	global_load_b64 v[29:30], v[2:3], off scope:SCOPE_SYS
	s_wait_loadcnt 0x0
	global_atomic_cmpswap_b64 v[2:3], v10, v[29:32], s[2:3] offset:24 th:TH_ATOMIC_RETURN scope:SCOPE_SYS
	s_wait_loadcnt 0x0
	global_inv scope:SCOPE_SYS
	v_cmpx_ne_u64_e64 v[2:3], v[31:32]
	s_cbranch_execz .LBB6_1051
; %bb.1048:                             ;   in Loop: Header=BB6_997 Depth=1
	s_mov_b32 s17, 0
.LBB6_1049:                             ;   Parent Loop BB6_997 Depth=1
                                        ; =>  This Inner Loop Header: Depth=2
	s_sleep 1
	s_clause 0x1
	global_load_b64 v[8:9], v10, s[2:3] offset:40
	global_load_b64 v[13:14], v10, s[2:3]
	v_dual_mov_b32 v32, v3 :: v_dual_mov_b32 v31, v2
	s_wait_loadcnt 0x1
	s_delay_alu instid0(VALU_DEP_1) | instskip(NEXT) | instid1(VALU_DEP_2)
	v_and_b32_e32 v2, v8, v31
	v_and_b32_e32 v8, v9, v32
	s_wait_loadcnt 0x0
	s_delay_alu instid0(VALU_DEP_2) | instskip(NEXT) | instid1(VALU_DEP_1)
	v_mad_co_u64_u32 v[2:3], null, v2, 24, v[13:14]
	v_mad_co_u64_u32 v[8:9], null, v8, 24, v[3:4]
	s_delay_alu instid0(VALU_DEP_1)
	v_mov_b32_e32 v3, v8
	global_load_b64 v[29:30], v[2:3], off scope:SCOPE_SYS
	s_wait_loadcnt 0x0
	global_atomic_cmpswap_b64 v[2:3], v10, v[29:32], s[2:3] offset:24 th:TH_ATOMIC_RETURN scope:SCOPE_SYS
	s_wait_loadcnt 0x0
	global_inv scope:SCOPE_SYS
	v_cmp_eq_u64_e32 vcc_lo, v[2:3], v[31:32]
	s_wait_alu 0xfffe
	s_or_b32 s17, vcc_lo, s17
	s_wait_alu 0xfffe
	s_and_not1_b32 exec_lo, exec_lo, s17
	s_cbranch_execnz .LBB6_1049
; %bb.1050:                             ;   in Loop: Header=BB6_997 Depth=1
	s_or_b32 exec_lo, exec_lo, s17
.LBB6_1051:                             ;   in Loop: Header=BB6_997 Depth=1
	s_wait_alu 0xfffe
	s_or_b32 exec_lo, exec_lo, s16
.LBB6_1052:                             ;   in Loop: Header=BB6_997 Depth=1
	s_wait_alu 0xfffe
	s_or_b32 exec_lo, exec_lo, s1
	s_clause 0x1
	global_load_b64 v[8:9], v10, s[2:3] offset:40
	global_load_b128 v[29:32], v10, s[2:3]
	v_readfirstlane_b32 s1, v3
	v_readfirstlane_b32 s16, v2
	s_mov_b32 s17, exec_lo
	s_wait_loadcnt 0x1
	s_wait_alu 0xf1ff
	v_and_b32_e32 v14, s1, v9
	v_and_b32_e32 v13, s16, v8
	s_delay_alu instid0(VALU_DEP_2) | instskip(NEXT) | instid1(VALU_DEP_2)
	v_mul_lo_u32 v2, 24, v14
	v_mul_lo_u32 v3, 0, v13
	v_mul_hi_u32 v8, 24, v13
	v_mul_lo_u32 v9, 24, v13
	s_delay_alu instid0(VALU_DEP_3) | instskip(NEXT) | instid1(VALU_DEP_1)
	v_add_nc_u32_e32 v2, v2, v3
	v_add_nc_u32_e32 v3, v2, v8
	s_wait_loadcnt 0x0
	s_delay_alu instid0(VALU_DEP_3) | instskip(SKIP_1) | instid1(VALU_DEP_2)
	v_add_co_u32 v2, vcc_lo, v29, v9
	s_wait_alu 0xfffd
	v_add_co_ci_u32_e32 v3, vcc_lo, v30, v3, vcc_lo
	s_and_saveexec_b32 s18, s0
	s_cbranch_execz .LBB6_1054
; %bb.1053:                             ;   in Loop: Header=BB6_997 Depth=1
	s_wait_alu 0xfffe
	v_mov_b32_e32 v9, s17
	global_store_b128 v[2:3], v[9:12], off offset:8
.LBB6_1054:                             ;   in Loop: Header=BB6_997 Depth=1
	s_wait_alu 0xfffe
	s_or_b32 exec_lo, exec_lo, s18
	v_cmp_gt_u64_e64 vcc_lo, s[6:7], 56
	v_lshlrev_b64_e32 v[8:9], 12, v[13:14]
	v_or_b32_e32 v36, 0, v7
	v_or_b32_e32 v39, v6, v33
	s_lshl_b32 s17, s10, 2
	s_wait_alu 0xfffe
	s_add_co_i32 s17, s17, 28
	s_wait_alu 0xfffd
	v_cndmask_b32_e32 v14, v36, v7, vcc_lo
	v_cndmask_b32_e32 v6, v39, v6, vcc_lo
	v_add_co_u32 v31, vcc_lo, v31, v8
	s_wait_alu 0xfffd
	v_add_co_ci_u32_e32 v32, vcc_lo, v32, v9, vcc_lo
	s_wait_alu 0xfffe
	s_and_b32 s17, s17, 0x1e0
	v_readfirstlane_b32 s18, v31
	s_wait_alu 0xfffe
	v_and_or_b32 v13, 0xffffff1f, v6, s17
	v_readfirstlane_b32 s19, v32
	s_clause 0x3
	global_store_b128 v34, v[13:16], s[18:19]
	global_store_b128 v34, v[17:20], s[18:19] offset:16
	global_store_b128 v34, v[21:24], s[18:19] offset:32
	;; [unrolled: 1-line block ×3, first 2 shown]
	s_and_saveexec_b32 s17, s0
	s_cbranch_execz .LBB6_1062
; %bb.1055:                             ;   in Loop: Header=BB6_997 Depth=1
	s_clause 0x1
	global_load_b64 v[17:18], v10, s[2:3] offset:32 scope:SCOPE_SYS
	global_load_b64 v[6:7], v10, s[2:3] offset:40
	s_mov_b32 s18, exec_lo
	v_dual_mov_b32 v15, s16 :: v_dual_mov_b32 v16, s1
	s_wait_loadcnt 0x0
	v_and_b32_e32 v7, s1, v7
	v_and_b32_e32 v6, s16, v6
	s_delay_alu instid0(VALU_DEP_2) | instskip(NEXT) | instid1(VALU_DEP_2)
	v_mul_lo_u32 v7, 24, v7
	v_mul_lo_u32 v8, 0, v6
	v_mul_hi_u32 v9, 24, v6
	v_mul_lo_u32 v6, 24, v6
	s_delay_alu instid0(VALU_DEP_3) | instskip(NEXT) | instid1(VALU_DEP_2)
	v_add_nc_u32_e32 v7, v7, v8
	v_add_co_u32 v13, vcc_lo, v29, v6
	s_delay_alu instid0(VALU_DEP_2) | instskip(SKIP_1) | instid1(VALU_DEP_1)
	v_add_nc_u32_e32 v7, v7, v9
	s_wait_alu 0xfffd
	v_add_co_ci_u32_e32 v14, vcc_lo, v30, v7, vcc_lo
	global_store_b64 v[13:14], v[17:18], off
	global_wb scope:SCOPE_SYS
	s_wait_storecnt 0x0
	global_atomic_cmpswap_b64 v[8:9], v10, v[15:18], s[2:3] offset:32 th:TH_ATOMIC_RETURN scope:SCOPE_SYS
	s_wait_loadcnt 0x0
	v_cmpx_ne_u64_e64 v[8:9], v[17:18]
	s_cbranch_execz .LBB6_1058
; %bb.1056:                             ;   in Loop: Header=BB6_997 Depth=1
	s_mov_b32 s19, 0
.LBB6_1057:                             ;   Parent Loop BB6_997 Depth=1
                                        ; =>  This Inner Loop Header: Depth=2
	v_dual_mov_b32 v6, s16 :: v_dual_mov_b32 v7, s1
	s_sleep 1
	global_store_b64 v[13:14], v[8:9], off
	global_wb scope:SCOPE_SYS
	s_wait_storecnt 0x0
	global_atomic_cmpswap_b64 v[6:7], v10, v[6:9], s[2:3] offset:32 th:TH_ATOMIC_RETURN scope:SCOPE_SYS
	s_wait_loadcnt 0x0
	v_cmp_eq_u64_e32 vcc_lo, v[6:7], v[8:9]
	v_dual_mov_b32 v9, v7 :: v_dual_mov_b32 v8, v6
	s_wait_alu 0xfffe
	s_or_b32 s19, vcc_lo, s19
	s_wait_alu 0xfffe
	s_and_not1_b32 exec_lo, exec_lo, s19
	s_cbranch_execnz .LBB6_1057
.LBB6_1058:                             ;   in Loop: Header=BB6_997 Depth=1
	s_wait_alu 0xfffe
	s_or_b32 exec_lo, exec_lo, s18
	global_load_b64 v[6:7], v10, s[2:3] offset:16
	s_mov_b32 s19, exec_lo
	s_mov_b32 s18, exec_lo
	s_wait_alu 0xfffe
	v_mbcnt_lo_u32_b32 v8, s19, 0
	s_delay_alu instid0(VALU_DEP_1)
	v_cmpx_eq_u32_e32 0, v8
	s_cbranch_execz .LBB6_1060
; %bb.1059:                             ;   in Loop: Header=BB6_997 Depth=1
	s_bcnt1_i32_b32 s19, s19
	s_wait_alu 0xfffe
	v_mov_b32_e32 v9, s19
	global_wb scope:SCOPE_SYS
	s_wait_loadcnt 0x0
	global_atomic_add_u64 v[6:7], v[9:10], off offset:8 scope:SCOPE_SYS
.LBB6_1060:                             ;   in Loop: Header=BB6_997 Depth=1
	s_or_b32 exec_lo, exec_lo, s18
	s_wait_loadcnt 0x0
	global_load_b64 v[13:14], v[6:7], off offset:16
	s_wait_loadcnt 0x0
	v_cmp_eq_u64_e32 vcc_lo, 0, v[13:14]
	s_cbranch_vccnz .LBB6_1062
; %bb.1061:                             ;   in Loop: Header=BB6_997 Depth=1
	global_load_b32 v9, v[6:7], off offset:24
	s_wait_loadcnt 0x0
	v_and_b32_e32 v6, 0xffffff, v9
	global_wb scope:SCOPE_SYS
	s_wait_storecnt 0x0
	global_store_b64 v[13:14], v[9:10], off scope:SCOPE_SYS
	v_readfirstlane_b32 m0, v6
	s_sendmsg sendmsg(MSG_INTERRUPT)
.LBB6_1062:                             ;   in Loop: Header=BB6_997 Depth=1
	s_wait_alu 0xfffe
	s_or_b32 exec_lo, exec_lo, s17
	v_add_co_u32 v6, vcc_lo, v31, v34
	s_wait_alu 0xfffd
	v_add_co_ci_u32_e32 v7, vcc_lo, 0, v32, vcc_lo
	s_branch .LBB6_1066
.LBB6_1063:                             ;   in Loop: Header=BB6_1066 Depth=2
	s_wait_alu 0xfffe
	s_or_b32 exec_lo, exec_lo, s17
	s_delay_alu instid0(VALU_DEP_1) | instskip(NEXT) | instid1(VALU_DEP_1)
	v_readfirstlane_b32 s17, v8
	s_cmp_eq_u32 s17, 0
	s_cbranch_scc1 .LBB6_1065
; %bb.1064:                             ;   in Loop: Header=BB6_1066 Depth=2
	s_sleep 1
	s_cbranch_execnz .LBB6_1066
	s_branch .LBB6_1068
.LBB6_1065:                             ;   in Loop: Header=BB6_997 Depth=1
	s_branch .LBB6_1068
.LBB6_1066:                             ;   Parent Loop BB6_997 Depth=1
                                        ; =>  This Inner Loop Header: Depth=2
	v_mov_b32_e32 v8, 1
	s_and_saveexec_b32 s17, s0
	s_cbranch_execz .LBB6_1063
; %bb.1067:                             ;   in Loop: Header=BB6_1066 Depth=2
	global_load_b32 v8, v[2:3], off offset:20 scope:SCOPE_SYS
	s_wait_loadcnt 0x0
	global_inv scope:SCOPE_SYS
	v_and_b32_e32 v8, 1, v8
	s_branch .LBB6_1063
.LBB6_1068:                             ;   in Loop: Header=BB6_997 Depth=1
	global_load_b128 v[6:9], v[6:7], off
	s_and_saveexec_b32 s17, s0
	s_cbranch_execz .LBB6_996
; %bb.1069:                             ;   in Loop: Header=BB6_997 Depth=1
	s_clause 0x2
	global_load_b64 v[2:3], v10, s[2:3] offset:40
	global_load_b64 v[8:9], v10, s[2:3] offset:24 scope:SCOPE_SYS
	global_load_b64 v[15:16], v10, s[2:3]
	s_wait_loadcnt 0x2
	v_add_co_u32 v17, vcc_lo, v2, 1
	s_wait_alu 0xfffd
	v_add_co_ci_u32_e32 v18, vcc_lo, 0, v3, vcc_lo
	s_delay_alu instid0(VALU_DEP_2) | instskip(SKIP_1) | instid1(VALU_DEP_2)
	v_add_co_u32 v13, vcc_lo, v17, s16
	s_wait_alu 0xfffd
	v_add_co_ci_u32_e32 v14, vcc_lo, s1, v18, vcc_lo
	s_delay_alu instid0(VALU_DEP_1) | instskip(SKIP_2) | instid1(VALU_DEP_1)
	v_cmp_eq_u64_e32 vcc_lo, 0, v[13:14]
	s_wait_alu 0xfffd
	v_dual_cndmask_b32 v14, v14, v18 :: v_dual_cndmask_b32 v13, v13, v17
	v_and_b32_e32 v3, v14, v3
	s_delay_alu instid0(VALU_DEP_2) | instskip(NEXT) | instid1(VALU_DEP_2)
	v_and_b32_e32 v2, v13, v2
	v_mul_lo_u32 v3, 24, v3
	s_delay_alu instid0(VALU_DEP_2) | instskip(SKIP_2) | instid1(VALU_DEP_3)
	v_mul_lo_u32 v17, 0, v2
	v_mul_hi_u32 v18, 24, v2
	v_mul_lo_u32 v2, 24, v2
	v_add_nc_u32_e32 v3, v3, v17
	s_wait_loadcnt 0x0
	s_delay_alu instid0(VALU_DEP_2) | instskip(SKIP_1) | instid1(VALU_DEP_3)
	v_add_co_u32 v2, vcc_lo, v15, v2
	v_mov_b32_e32 v15, v8
	v_add_nc_u32_e32 v3, v3, v18
	s_wait_alu 0xfffd
	s_delay_alu instid0(VALU_DEP_1)
	v_add_co_ci_u32_e32 v3, vcc_lo, v16, v3, vcc_lo
	v_mov_b32_e32 v16, v9
	global_store_b64 v[2:3], v[8:9], off
	global_wb scope:SCOPE_SYS
	s_wait_storecnt 0x0
	global_atomic_cmpswap_b64 v[15:16], v10, v[13:16], s[2:3] offset:24 th:TH_ATOMIC_RETURN scope:SCOPE_SYS
	s_wait_loadcnt 0x0
	v_cmp_ne_u64_e32 vcc_lo, v[15:16], v[8:9]
	s_and_b32 exec_lo, exec_lo, vcc_lo
	s_cbranch_execz .LBB6_996
; %bb.1070:                             ;   in Loop: Header=BB6_997 Depth=1
	s_mov_b32 s0, 0
.LBB6_1071:                             ;   Parent Loop BB6_997 Depth=1
                                        ; =>  This Inner Loop Header: Depth=2
	s_sleep 1
	global_store_b64 v[2:3], v[15:16], off
	global_wb scope:SCOPE_SYS
	s_wait_storecnt 0x0
	global_atomic_cmpswap_b64 v[8:9], v10, v[13:16], s[2:3] offset:24 th:TH_ATOMIC_RETURN scope:SCOPE_SYS
	s_wait_loadcnt 0x0
	v_cmp_eq_u64_e32 vcc_lo, v[8:9], v[15:16]
	v_dual_mov_b32 v16, v9 :: v_dual_mov_b32 v15, v8
	s_wait_alu 0xfffe
	s_or_b32 s0, vcc_lo, s0
	s_wait_alu 0xfffe
	s_and_not1_b32 exec_lo, exec_lo, s0
	s_cbranch_execnz .LBB6_1071
	s_branch .LBB6_996
.LBB6_1072:
	s_branch .LBB6_1101
.LBB6_1073:
                                        ; implicit-def: $vgpr6_vgpr7
	s_cbranch_execz .LBB6_1101
; %bb.1074:
	v_readfirstlane_b32 s0, v35
	v_mov_b32_e32 v10, 0
	v_mov_b32_e32 v11, 0
	s_wait_alu 0xf1ff
	s_delay_alu instid0(VALU_DEP_3) | instskip(NEXT) | instid1(VALU_DEP_1)
	v_cmp_eq_u32_e64 s0, s0, v35
	s_and_saveexec_b32 s1, s0
	s_cbranch_execz .LBB6_1080
; %bb.1075:
	v_mov_b32_e32 v2, 0
	s_mov_b32 s4, exec_lo
	global_load_b64 v[8:9], v2, s[2:3] offset:24 scope:SCOPE_SYS
	s_wait_loadcnt 0x0
	global_inv scope:SCOPE_SYS
	s_clause 0x1
	global_load_b64 v[6:7], v2, s[2:3] offset:40
	global_load_b64 v[10:11], v2, s[2:3]
	s_wait_loadcnt 0x1
	v_and_b32_e32 v3, v7, v9
	v_and_b32_e32 v6, v6, v8
	s_delay_alu instid0(VALU_DEP_2) | instskip(NEXT) | instid1(VALU_DEP_2)
	v_mul_lo_u32 v3, 24, v3
	v_mul_lo_u32 v7, 0, v6
	v_mul_hi_u32 v12, 24, v6
	v_mul_lo_u32 v6, 24, v6
	s_delay_alu instid0(VALU_DEP_3) | instskip(SKIP_1) | instid1(VALU_DEP_2)
	v_add_nc_u32_e32 v3, v3, v7
	s_wait_loadcnt 0x0
	v_add_co_u32 v6, vcc_lo, v10, v6
	s_delay_alu instid0(VALU_DEP_2) | instskip(SKIP_1) | instid1(VALU_DEP_1)
	v_add_nc_u32_e32 v3, v3, v12
	s_wait_alu 0xfffd
	v_add_co_ci_u32_e32 v7, vcc_lo, v11, v3, vcc_lo
	global_load_b64 v[6:7], v[6:7], off scope:SCOPE_SYS
	s_wait_loadcnt 0x0
	global_atomic_cmpswap_b64 v[10:11], v2, v[6:9], s[2:3] offset:24 th:TH_ATOMIC_RETURN scope:SCOPE_SYS
	s_wait_loadcnt 0x0
	global_inv scope:SCOPE_SYS
	v_cmpx_ne_u64_e64 v[10:11], v[8:9]
	s_cbranch_execz .LBB6_1079
; %bb.1076:
	s_mov_b32 s5, 0
.LBB6_1077:                             ; =>This Inner Loop Header: Depth=1
	s_sleep 1
	s_clause 0x1
	global_load_b64 v[6:7], v2, s[2:3] offset:40
	global_load_b64 v[12:13], v2, s[2:3]
	v_dual_mov_b32 v8, v10 :: v_dual_mov_b32 v9, v11
	s_wait_loadcnt 0x1
	s_delay_alu instid0(VALU_DEP_1) | instskip(NEXT) | instid1(VALU_DEP_2)
	v_and_b32_e32 v3, v6, v8
	v_and_b32_e32 v6, v7, v9
	s_wait_loadcnt 0x0
	s_delay_alu instid0(VALU_DEP_2) | instskip(NEXT) | instid1(VALU_DEP_1)
	v_mad_co_u64_u32 v[10:11], null, v3, 24, v[12:13]
	v_mov_b32_e32 v3, v11
	s_delay_alu instid0(VALU_DEP_1) | instskip(NEXT) | instid1(VALU_DEP_1)
	v_mad_co_u64_u32 v[6:7], null, v6, 24, v[3:4]
	v_mov_b32_e32 v11, v6
	global_load_b64 v[6:7], v[10:11], off scope:SCOPE_SYS
	s_wait_loadcnt 0x0
	global_atomic_cmpswap_b64 v[10:11], v2, v[6:9], s[2:3] offset:24 th:TH_ATOMIC_RETURN scope:SCOPE_SYS
	s_wait_loadcnt 0x0
	global_inv scope:SCOPE_SYS
	v_cmp_eq_u64_e32 vcc_lo, v[10:11], v[8:9]
	s_wait_alu 0xfffe
	s_or_b32 s5, vcc_lo, s5
	s_wait_alu 0xfffe
	s_and_not1_b32 exec_lo, exec_lo, s5
	s_cbranch_execnz .LBB6_1077
; %bb.1078:
	s_or_b32 exec_lo, exec_lo, s5
.LBB6_1079:
	s_wait_alu 0xfffe
	s_or_b32 exec_lo, exec_lo, s4
.LBB6_1080:
	s_wait_alu 0xfffe
	s_or_b32 exec_lo, exec_lo, s1
	v_readfirstlane_b32 s1, v11
	v_mov_b32_e32 v2, 0
	v_readfirstlane_b32 s4, v10
	s_mov_b32 s5, exec_lo
	s_clause 0x1
	global_load_b64 v[12:13], v2, s[2:3] offset:40
	global_load_b128 v[6:9], v2, s[2:3]
	s_wait_loadcnt 0x1
	s_wait_alu 0xf1ff
	v_and_b32_e32 v13, s1, v13
	v_and_b32_e32 v12, s4, v12
	s_delay_alu instid0(VALU_DEP_2) | instskip(NEXT) | instid1(VALU_DEP_2)
	v_mul_lo_u32 v3, 24, v13
	v_mul_lo_u32 v10, 0, v12
	v_mul_hi_u32 v11, 24, v12
	v_mul_lo_u32 v14, 24, v12
	s_delay_alu instid0(VALU_DEP_3) | instskip(SKIP_1) | instid1(VALU_DEP_2)
	v_add_nc_u32_e32 v3, v3, v10
	s_wait_loadcnt 0x0
	v_add_co_u32 v10, vcc_lo, v6, v14
	s_delay_alu instid0(VALU_DEP_2) | instskip(SKIP_1) | instid1(VALU_DEP_1)
	v_add_nc_u32_e32 v3, v3, v11
	s_wait_alu 0xfffd
	v_add_co_ci_u32_e32 v11, vcc_lo, v7, v3, vcc_lo
	s_and_saveexec_b32 s6, s0
	s_cbranch_execz .LBB6_1082
; %bb.1081:
	s_wait_alu 0xfffe
	v_dual_mov_b32 v14, s5 :: v_dual_mov_b32 v15, v2
	v_dual_mov_b32 v16, 2 :: v_dual_mov_b32 v17, 1
	global_store_b128 v[10:11], v[14:17], off offset:8
.LBB6_1082:
	s_wait_alu 0xfffe
	s_or_b32 exec_lo, exec_lo, s6
	v_lshlrev_b64_e32 v[12:13], 12, v[12:13]
	s_mov_b32 s16, 0
	v_and_or_b32 v0, 0xffffff1f, v0, 32
	s_wait_alu 0xfffe
	s_mov_b32 s17, s16
	s_mov_b32 s18, s16
	;; [unrolled: 1-line block ×3, first 2 shown]
	v_add_co_u32 v8, vcc_lo, v8, v12
	s_wait_alu 0xfffd
	v_add_co_ci_u32_e32 v9, vcc_lo, v9, v13, vcc_lo
	v_dual_mov_b32 v3, v2 :: v_dual_mov_b32 v12, s16
	s_delay_alu instid0(VALU_DEP_3) | instskip(SKIP_1) | instid1(VALU_DEP_4)
	v_readfirstlane_b32 s6, v8
	v_add_co_u32 v8, vcc_lo, v8, v34
	v_readfirstlane_b32 s7, v9
	s_wait_alu 0xfffd
	v_add_co_ci_u32_e32 v9, vcc_lo, 0, v9, vcc_lo
	s_wait_alu 0xfffe
	v_dual_mov_b32 v13, s17 :: v_dual_mov_b32 v14, s18
	v_mov_b32_e32 v15, s19
	s_clause 0x3
	global_store_b128 v34, v[0:3], s[6:7]
	global_store_b128 v34, v[12:15], s[6:7] offset:16
	global_store_b128 v34, v[12:15], s[6:7] offset:32
	;; [unrolled: 1-line block ×3, first 2 shown]
	s_and_saveexec_b32 s5, s0
	s_cbranch_execz .LBB6_1090
; %bb.1083:
	v_mov_b32_e32 v12, 0
	s_mov_b32 s6, exec_lo
	s_clause 0x1
	global_load_b64 v[15:16], v12, s[2:3] offset:32 scope:SCOPE_SYS
	global_load_b64 v[0:1], v12, s[2:3] offset:40
	v_dual_mov_b32 v13, s4 :: v_dual_mov_b32 v14, s1
	s_wait_loadcnt 0x0
	v_and_b32_e32 v1, s1, v1
	v_and_b32_e32 v0, s4, v0
	s_delay_alu instid0(VALU_DEP_2) | instskip(NEXT) | instid1(VALU_DEP_2)
	v_mul_lo_u32 v1, 24, v1
	v_mul_lo_u32 v2, 0, v0
	v_mul_hi_u32 v3, 24, v0
	v_mul_lo_u32 v0, 24, v0
	s_delay_alu instid0(VALU_DEP_3) | instskip(NEXT) | instid1(VALU_DEP_2)
	v_add_nc_u32_e32 v1, v1, v2
	v_add_co_u32 v6, vcc_lo, v6, v0
	s_delay_alu instid0(VALU_DEP_2) | instskip(SKIP_1) | instid1(VALU_DEP_1)
	v_add_nc_u32_e32 v1, v1, v3
	s_wait_alu 0xfffd
	v_add_co_ci_u32_e32 v7, vcc_lo, v7, v1, vcc_lo
	global_store_b64 v[6:7], v[15:16], off
	global_wb scope:SCOPE_SYS
	s_wait_storecnt 0x0
	global_atomic_cmpswap_b64 v[2:3], v12, v[13:16], s[2:3] offset:32 th:TH_ATOMIC_RETURN scope:SCOPE_SYS
	s_wait_loadcnt 0x0
	v_cmpx_ne_u64_e64 v[2:3], v[15:16]
	s_cbranch_execz .LBB6_1086
; %bb.1084:
	s_mov_b32 s7, 0
.LBB6_1085:                             ; =>This Inner Loop Header: Depth=1
	v_dual_mov_b32 v0, s4 :: v_dual_mov_b32 v1, s1
	s_sleep 1
	global_store_b64 v[6:7], v[2:3], off
	global_wb scope:SCOPE_SYS
	s_wait_storecnt 0x0
	global_atomic_cmpswap_b64 v[0:1], v12, v[0:3], s[2:3] offset:32 th:TH_ATOMIC_RETURN scope:SCOPE_SYS
	s_wait_loadcnt 0x0
	v_cmp_eq_u64_e32 vcc_lo, v[0:1], v[2:3]
	v_dual_mov_b32 v3, v1 :: v_dual_mov_b32 v2, v0
	s_wait_alu 0xfffe
	s_or_b32 s7, vcc_lo, s7
	s_wait_alu 0xfffe
	s_and_not1_b32 exec_lo, exec_lo, s7
	s_cbranch_execnz .LBB6_1085
.LBB6_1086:
	s_wait_alu 0xfffe
	s_or_b32 exec_lo, exec_lo, s6
	v_mov_b32_e32 v3, 0
	s_mov_b32 s7, exec_lo
	s_mov_b32 s6, exec_lo
	s_wait_alu 0xfffe
	v_mbcnt_lo_u32_b32 v2, s7, 0
	global_load_b64 v[0:1], v3, s[2:3] offset:16
	v_cmpx_eq_u32_e32 0, v2
	s_cbranch_execz .LBB6_1088
; %bb.1087:
	s_bcnt1_i32_b32 s7, s7
	s_wait_alu 0xfffe
	v_mov_b32_e32 v2, s7
	global_wb scope:SCOPE_SYS
	s_wait_loadcnt 0x0
	global_atomic_add_u64 v[0:1], v[2:3], off offset:8 scope:SCOPE_SYS
.LBB6_1088:
	s_or_b32 exec_lo, exec_lo, s6
	s_wait_loadcnt 0x0
	global_load_b64 v[2:3], v[0:1], off offset:16
	s_wait_loadcnt 0x0
	v_cmp_eq_u64_e32 vcc_lo, 0, v[2:3]
	s_cbranch_vccnz .LBB6_1090
; %bb.1089:
	global_load_b32 v0, v[0:1], off offset:24
	s_wait_loadcnt 0x0
	v_dual_mov_b32 v1, 0 :: v_dual_and_b32 v6, 0xffffff, v0
	global_wb scope:SCOPE_SYS
	s_wait_storecnt 0x0
	global_store_b64 v[2:3], v[0:1], off scope:SCOPE_SYS
	v_readfirstlane_b32 m0, v6
	s_sendmsg sendmsg(MSG_INTERRUPT)
.LBB6_1090:
	s_wait_alu 0xfffe
	s_or_b32 exec_lo, exec_lo, s5
	s_branch .LBB6_1094
.LBB6_1091:                             ;   in Loop: Header=BB6_1094 Depth=1
	s_wait_alu 0xfffe
	s_or_b32 exec_lo, exec_lo, s5
	s_delay_alu instid0(VALU_DEP_1) | instskip(NEXT) | instid1(VALU_DEP_1)
	v_readfirstlane_b32 s5, v0
	s_cmp_eq_u32 s5, 0
	s_cbranch_scc1 .LBB6_1093
; %bb.1092:                             ;   in Loop: Header=BB6_1094 Depth=1
	s_sleep 1
	s_cbranch_execnz .LBB6_1094
	s_branch .LBB6_1096
.LBB6_1093:
	s_branch .LBB6_1096
.LBB6_1094:                             ; =>This Inner Loop Header: Depth=1
	v_mov_b32_e32 v0, 1
	s_and_saveexec_b32 s5, s0
	s_cbranch_execz .LBB6_1091
; %bb.1095:                             ;   in Loop: Header=BB6_1094 Depth=1
	global_load_b32 v0, v[10:11], off offset:20 scope:SCOPE_SYS
	s_wait_loadcnt 0x0
	global_inv scope:SCOPE_SYS
	v_and_b32_e32 v0, 1, v0
	s_branch .LBB6_1091
.LBB6_1096:
	global_load_b64 v[6:7], v[8:9], off
	s_and_saveexec_b32 s5, s0
	s_cbranch_execz .LBB6_1100
; %bb.1097:
	v_mov_b32_e32 v10, 0
	s_clause 0x2
	global_load_b64 v[2:3], v10, s[2:3] offset:40
	global_load_b64 v[11:12], v10, s[2:3] offset:24 scope:SCOPE_SYS
	global_load_b64 v[8:9], v10, s[2:3]
	s_wait_loadcnt 0x2
	v_add_co_u32 v13, vcc_lo, v2, 1
	s_wait_alu 0xfffd
	v_add_co_ci_u32_e32 v14, vcc_lo, 0, v3, vcc_lo
	s_delay_alu instid0(VALU_DEP_2) | instskip(SKIP_1) | instid1(VALU_DEP_2)
	v_add_co_u32 v0, vcc_lo, v13, s4
	s_wait_alu 0xfffd
	v_add_co_ci_u32_e32 v1, vcc_lo, s1, v14, vcc_lo
	s_delay_alu instid0(VALU_DEP_1) | instskip(SKIP_2) | instid1(VALU_DEP_1)
	v_cmp_eq_u64_e32 vcc_lo, 0, v[0:1]
	s_wait_alu 0xfffd
	v_dual_cndmask_b32 v1, v1, v14 :: v_dual_cndmask_b32 v0, v0, v13
	v_and_b32_e32 v3, v1, v3
	s_delay_alu instid0(VALU_DEP_2) | instskip(NEXT) | instid1(VALU_DEP_2)
	v_and_b32_e32 v2, v0, v2
	v_mul_lo_u32 v3, 24, v3
	s_delay_alu instid0(VALU_DEP_2) | instskip(SKIP_2) | instid1(VALU_DEP_3)
	v_mul_lo_u32 v13, 0, v2
	v_mul_hi_u32 v14, 24, v2
	v_mul_lo_u32 v2, 24, v2
	v_add_nc_u32_e32 v3, v3, v13
	s_wait_loadcnt 0x0
	s_delay_alu instid0(VALU_DEP_2) | instskip(SKIP_1) | instid1(VALU_DEP_3)
	v_add_co_u32 v8, vcc_lo, v8, v2
	v_mov_b32_e32 v2, v11
	v_add_nc_u32_e32 v3, v3, v14
	s_wait_alu 0xfffd
	s_delay_alu instid0(VALU_DEP_1)
	v_add_co_ci_u32_e32 v9, vcc_lo, v9, v3, vcc_lo
	v_mov_b32_e32 v3, v12
	global_store_b64 v[8:9], v[11:12], off
	global_wb scope:SCOPE_SYS
	s_wait_storecnt 0x0
	global_atomic_cmpswap_b64 v[2:3], v10, v[0:3], s[2:3] offset:24 th:TH_ATOMIC_RETURN scope:SCOPE_SYS
	s_wait_loadcnt 0x0
	v_cmp_ne_u64_e32 vcc_lo, v[2:3], v[11:12]
	s_and_b32 exec_lo, exec_lo, vcc_lo
	s_cbranch_execz .LBB6_1100
; %bb.1098:
	s_mov_b32 s0, 0
.LBB6_1099:                             ; =>This Inner Loop Header: Depth=1
	s_sleep 1
	global_store_b64 v[8:9], v[2:3], off
	global_wb scope:SCOPE_SYS
	s_wait_storecnt 0x0
	global_atomic_cmpswap_b64 v[11:12], v10, v[0:3], s[2:3] offset:24 th:TH_ATOMIC_RETURN scope:SCOPE_SYS
	s_wait_loadcnt 0x0
	v_cmp_eq_u64_e32 vcc_lo, v[11:12], v[2:3]
	v_dual_mov_b32 v2, v11 :: v_dual_mov_b32 v3, v12
	s_wait_alu 0xfffe
	s_or_b32 s0, vcc_lo, s0
	s_wait_alu 0xfffe
	s_and_not1_b32 exec_lo, exec_lo, s0
	s_cbranch_execnz .LBB6_1099
.LBB6_1100:
	s_wait_alu 0xfffe
	s_or_b32 exec_lo, exec_lo, s5
.LBB6_1101:
	v_readfirstlane_b32 s0, v35
	v_mov_b32_e32 v10, 0
	v_mov_b32_e32 v11, 0
	s_wait_alu 0xf1ff
	s_delay_alu instid0(VALU_DEP_3) | instskip(NEXT) | instid1(VALU_DEP_1)
	v_cmp_eq_u32_e64 s0, s0, v35
	s_and_saveexec_b32 s1, s0
	s_cbranch_execz .LBB6_1107
; %bb.1102:
	s_wait_loadcnt 0x0
	v_mov_b32_e32 v0, 0
	s_mov_b32 s4, exec_lo
	global_load_b64 v[12:13], v0, s[2:3] offset:24 scope:SCOPE_SYS
	s_wait_loadcnt 0x0
	global_inv scope:SCOPE_SYS
	s_clause 0x1
	global_load_b64 v[1:2], v0, s[2:3] offset:40
	global_load_b64 v[8:9], v0, s[2:3]
	s_wait_loadcnt 0x1
	v_and_b32_e32 v1, v1, v12
	v_and_b32_e32 v2, v2, v13
	s_delay_alu instid0(VALU_DEP_2) | instskip(NEXT) | instid1(VALU_DEP_2)
	v_mul_lo_u32 v3, 0, v1
	v_mul_lo_u32 v2, 24, v2
	v_mul_hi_u32 v10, 24, v1
	v_mul_lo_u32 v1, 24, v1
	s_delay_alu instid0(VALU_DEP_3) | instskip(SKIP_1) | instid1(VALU_DEP_2)
	v_add_nc_u32_e32 v2, v2, v3
	s_wait_loadcnt 0x0
	v_add_co_u32 v1, vcc_lo, v8, v1
	s_delay_alu instid0(VALU_DEP_2) | instskip(SKIP_1) | instid1(VALU_DEP_1)
	v_add_nc_u32_e32 v2, v2, v10
	s_wait_alu 0xfffd
	v_add_co_ci_u32_e32 v2, vcc_lo, v9, v2, vcc_lo
	global_load_b64 v[10:11], v[1:2], off scope:SCOPE_SYS
	s_wait_loadcnt 0x0
	global_atomic_cmpswap_b64 v[10:11], v0, v[10:13], s[2:3] offset:24 th:TH_ATOMIC_RETURN scope:SCOPE_SYS
	s_wait_loadcnt 0x0
	global_inv scope:SCOPE_SYS
	v_cmpx_ne_u64_e64 v[10:11], v[12:13]
	s_cbranch_execz .LBB6_1106
; %bb.1103:
	s_mov_b32 s5, 0
.LBB6_1104:                             ; =>This Inner Loop Header: Depth=1
	s_sleep 1
	s_clause 0x1
	global_load_b64 v[1:2], v0, s[2:3] offset:40
	global_load_b64 v[8:9], v0, s[2:3]
	v_dual_mov_b32 v13, v11 :: v_dual_mov_b32 v12, v10
	s_wait_loadcnt 0x1
	s_delay_alu instid0(VALU_DEP_1) | instskip(SKIP_1) | instid1(VALU_DEP_1)
	v_and_b32_e32 v1, v1, v12
	s_wait_loadcnt 0x0
	v_mad_co_u64_u32 v[8:9], null, v1, 24, v[8:9]
	s_delay_alu instid0(VALU_DEP_1) | instskip(NEXT) | instid1(VALU_DEP_1)
	v_dual_mov_b32 v1, v9 :: v_dual_and_b32 v2, v2, v13
	v_mad_co_u64_u32 v[1:2], null, v2, 24, v[1:2]
	s_delay_alu instid0(VALU_DEP_1)
	v_mov_b32_e32 v9, v1
	global_load_b64 v[10:11], v[8:9], off scope:SCOPE_SYS
	s_wait_loadcnt 0x0
	global_atomic_cmpswap_b64 v[10:11], v0, v[10:13], s[2:3] offset:24 th:TH_ATOMIC_RETURN scope:SCOPE_SYS
	s_wait_loadcnt 0x0
	global_inv scope:SCOPE_SYS
	v_cmp_eq_u64_e32 vcc_lo, v[10:11], v[12:13]
	s_wait_alu 0xfffe
	s_or_b32 s5, vcc_lo, s5
	s_wait_alu 0xfffe
	s_and_not1_b32 exec_lo, exec_lo, s5
	s_cbranch_execnz .LBB6_1104
; %bb.1105:
	s_or_b32 exec_lo, exec_lo, s5
.LBB6_1106:
	s_wait_alu 0xfffe
	s_or_b32 exec_lo, exec_lo, s4
.LBB6_1107:
	s_wait_alu 0xfffe
	s_or_b32 exec_lo, exec_lo, s1
	v_readfirstlane_b32 s4, v10
	s_wait_loadcnt 0x0
	v_mov_b32_e32 v9, 0
	v_readfirstlane_b32 s1, v11
	s_mov_b32 s5, exec_lo
	s_clause 0x1
	global_load_b64 v[12:13], v9, s[2:3] offset:40
	global_load_b128 v[0:3], v9, s[2:3]
	s_wait_loadcnt 0x1
	s_wait_alu 0xf1ff
	v_and_b32_e32 v12, s4, v12
	v_and_b32_e32 v13, s1, v13
	s_delay_alu instid0(VALU_DEP_2) | instskip(NEXT) | instid1(VALU_DEP_2)
	v_mul_lo_u32 v10, 0, v12
	v_mul_lo_u32 v8, 24, v13
	v_mul_hi_u32 v11, 24, v12
	v_mul_lo_u32 v14, 24, v12
	s_delay_alu instid0(VALU_DEP_3) | instskip(SKIP_1) | instid1(VALU_DEP_2)
	v_add_nc_u32_e32 v8, v8, v10
	s_wait_loadcnt 0x0
	v_add_co_u32 v10, vcc_lo, v0, v14
	s_delay_alu instid0(VALU_DEP_2) | instskip(SKIP_1) | instid1(VALU_DEP_1)
	v_add_nc_u32_e32 v8, v8, v11
	s_wait_alu 0xfffd
	v_add_co_ci_u32_e32 v11, vcc_lo, v1, v8, vcc_lo
	s_and_saveexec_b32 s6, s0
	s_cbranch_execz .LBB6_1109
; %bb.1108:
	s_wait_alu 0xfffe
	v_dual_mov_b32 v8, s5 :: v_dual_mov_b32 v17, 1
	v_dual_mov_b32 v16, 2 :: v_dual_mov_b32 v15, v9
	s_delay_alu instid0(VALU_DEP_2)
	v_mov_b32_e32 v14, v8
	global_store_b128 v[10:11], v[14:17], off offset:8
.LBB6_1109:
	s_wait_alu 0xfffe
	s_or_b32 exec_lo, exec_lo, s6
	v_lshlrev_b64_e32 v[12:13], 12, v[12:13]
	s_mov_b32 s16, 0
	v_and_or_b32 v6, 0xffffff1d, v6, 34
	s_wait_alu 0xfffe
	s_mov_b32 s17, s16
	s_mov_b32 s18, s16
	;; [unrolled: 1-line block ×3, first 2 shown]
	v_add_co_u32 v2, vcc_lo, v2, v12
	s_wait_alu 0xfffd
	v_add_co_ci_u32_e32 v3, vcc_lo, v3, v13, vcc_lo
	v_mov_b32_e32 v8, 58
	s_delay_alu instid0(VALU_DEP_3)
	v_readfirstlane_b32 s6, v2
	s_wait_alu 0xfffe
	v_dual_mov_b32 v12, s16 :: v_dual_mov_b32 v15, s19
	v_readfirstlane_b32 s7, v3
	v_dual_mov_b32 v13, s17 :: v_dual_mov_b32 v14, s18
	s_clause 0x3
	global_store_b128 v34, v[6:9], s[6:7]
	global_store_b128 v34, v[12:15], s[6:7] offset:16
	global_store_b128 v34, v[12:15], s[6:7] offset:32
	;; [unrolled: 1-line block ×3, first 2 shown]
	s_and_saveexec_b32 s5, s0
	s_cbranch_execz .LBB6_1117
; %bb.1110:
	v_mov_b32_e32 v8, 0
	s_mov_b32 s6, exec_lo
	s_clause 0x1
	global_load_b64 v[14:15], v8, s[2:3] offset:32 scope:SCOPE_SYS
	global_load_b64 v[2:3], v8, s[2:3] offset:40
	v_dual_mov_b32 v13, s1 :: v_dual_mov_b32 v12, s4
	s_wait_loadcnt 0x0
	v_and_b32_e32 v3, s1, v3
	v_and_b32_e32 v2, s4, v2
	s_delay_alu instid0(VALU_DEP_2) | instskip(NEXT) | instid1(VALU_DEP_2)
	v_mul_lo_u32 v3, 24, v3
	v_mul_lo_u32 v6, 0, v2
	v_mul_hi_u32 v7, 24, v2
	v_mul_lo_u32 v2, 24, v2
	s_delay_alu instid0(VALU_DEP_3) | instskip(NEXT) | instid1(VALU_DEP_2)
	v_add_nc_u32_e32 v3, v3, v6
	v_add_co_u32 v6, vcc_lo, v0, v2
	s_delay_alu instid0(VALU_DEP_2) | instskip(SKIP_1) | instid1(VALU_DEP_1)
	v_add_nc_u32_e32 v3, v3, v7
	s_wait_alu 0xfffd
	v_add_co_ci_u32_e32 v7, vcc_lo, v1, v3, vcc_lo
	global_store_b64 v[6:7], v[14:15], off
	global_wb scope:SCOPE_SYS
	s_wait_storecnt 0x0
	global_atomic_cmpswap_b64 v[2:3], v8, v[12:15], s[2:3] offset:32 th:TH_ATOMIC_RETURN scope:SCOPE_SYS
	s_wait_loadcnt 0x0
	v_cmpx_ne_u64_e64 v[2:3], v[14:15]
	s_cbranch_execz .LBB6_1113
; %bb.1111:
	s_mov_b32 s7, 0
.LBB6_1112:                             ; =>This Inner Loop Header: Depth=1
	v_dual_mov_b32 v0, s4 :: v_dual_mov_b32 v1, s1
	s_sleep 1
	global_store_b64 v[6:7], v[2:3], off
	global_wb scope:SCOPE_SYS
	s_wait_storecnt 0x0
	global_atomic_cmpswap_b64 v[0:1], v8, v[0:3], s[2:3] offset:32 th:TH_ATOMIC_RETURN scope:SCOPE_SYS
	s_wait_loadcnt 0x0
	v_cmp_eq_u64_e32 vcc_lo, v[0:1], v[2:3]
	v_dual_mov_b32 v3, v1 :: v_dual_mov_b32 v2, v0
	s_wait_alu 0xfffe
	s_or_b32 s7, vcc_lo, s7
	s_wait_alu 0xfffe
	s_and_not1_b32 exec_lo, exec_lo, s7
	s_cbranch_execnz .LBB6_1112
.LBB6_1113:
	s_wait_alu 0xfffe
	s_or_b32 exec_lo, exec_lo, s6
	v_mov_b32_e32 v3, 0
	s_mov_b32 s7, exec_lo
	s_mov_b32 s6, exec_lo
	s_wait_alu 0xfffe
	v_mbcnt_lo_u32_b32 v2, s7, 0
	global_load_b64 v[0:1], v3, s[2:3] offset:16
	v_cmpx_eq_u32_e32 0, v2
	s_cbranch_execz .LBB6_1115
; %bb.1114:
	s_bcnt1_i32_b32 s7, s7
	s_wait_alu 0xfffe
	v_mov_b32_e32 v2, s7
	global_wb scope:SCOPE_SYS
	s_wait_loadcnt 0x0
	global_atomic_add_u64 v[0:1], v[2:3], off offset:8 scope:SCOPE_SYS
.LBB6_1115:
	s_or_b32 exec_lo, exec_lo, s6
	s_wait_loadcnt 0x0
	global_load_b64 v[2:3], v[0:1], off offset:16
	s_wait_loadcnt 0x0
	v_cmp_eq_u64_e32 vcc_lo, 0, v[2:3]
	s_cbranch_vccnz .LBB6_1117
; %bb.1116:
	global_load_b32 v0, v[0:1], off offset:24
	s_wait_loadcnt 0x0
	v_dual_mov_b32 v1, 0 :: v_dual_and_b32 v6, 0xffffff, v0
	global_wb scope:SCOPE_SYS
	s_wait_storecnt 0x0
	global_store_b64 v[2:3], v[0:1], off scope:SCOPE_SYS
	v_readfirstlane_b32 m0, v6
	s_sendmsg sendmsg(MSG_INTERRUPT)
.LBB6_1117:
	s_wait_alu 0xfffe
	s_or_b32 exec_lo, exec_lo, s5
	s_branch .LBB6_1121
.LBB6_1118:                             ;   in Loop: Header=BB6_1121 Depth=1
	s_wait_alu 0xfffe
	s_or_b32 exec_lo, exec_lo, s5
	s_delay_alu instid0(VALU_DEP_1) | instskip(NEXT) | instid1(VALU_DEP_1)
	v_readfirstlane_b32 s5, v0
	s_cmp_eq_u32 s5, 0
	s_cbranch_scc1 .LBB6_1120
; %bb.1119:                             ;   in Loop: Header=BB6_1121 Depth=1
	s_sleep 1
	s_cbranch_execnz .LBB6_1121
	s_branch .LBB6_1123
.LBB6_1120:
	s_branch .LBB6_1123
.LBB6_1121:                             ; =>This Inner Loop Header: Depth=1
	v_mov_b32_e32 v0, 1
	s_and_saveexec_b32 s5, s0
	s_cbranch_execz .LBB6_1118
; %bb.1122:                             ;   in Loop: Header=BB6_1121 Depth=1
	global_load_b32 v0, v[10:11], off offset:20 scope:SCOPE_SYS
	s_wait_loadcnt 0x0
	global_inv scope:SCOPE_SYS
	v_and_b32_e32 v0, 1, v0
	s_branch .LBB6_1118
.LBB6_1123:
	s_and_saveexec_b32 s5, s0
	s_cbranch_execz .LBB6_1127
; %bb.1124:
	v_mov_b32_e32 v8, 0
	s_clause 0x2
	global_load_b64 v[2:3], v8, s[2:3] offset:40
	global_load_b64 v[9:10], v8, s[2:3] offset:24 scope:SCOPE_SYS
	global_load_b64 v[6:7], v8, s[2:3]
	s_wait_loadcnt 0x2
	v_add_co_u32 v11, vcc_lo, v2, 1
	s_wait_alu 0xfffd
	v_add_co_ci_u32_e32 v12, vcc_lo, 0, v3, vcc_lo
	s_delay_alu instid0(VALU_DEP_2) | instskip(SKIP_1) | instid1(VALU_DEP_2)
	v_add_co_u32 v0, vcc_lo, v11, s4
	s_wait_alu 0xfffd
	v_add_co_ci_u32_e32 v1, vcc_lo, s1, v12, vcc_lo
	s_delay_alu instid0(VALU_DEP_1) | instskip(SKIP_2) | instid1(VALU_DEP_1)
	v_cmp_eq_u64_e32 vcc_lo, 0, v[0:1]
	s_wait_alu 0xfffd
	v_dual_cndmask_b32 v1, v1, v12 :: v_dual_cndmask_b32 v0, v0, v11
	v_and_b32_e32 v3, v1, v3
	s_delay_alu instid0(VALU_DEP_2) | instskip(NEXT) | instid1(VALU_DEP_2)
	v_and_b32_e32 v2, v0, v2
	v_mul_lo_u32 v3, 24, v3
	s_delay_alu instid0(VALU_DEP_2) | instskip(SKIP_2) | instid1(VALU_DEP_3)
	v_mul_lo_u32 v11, 0, v2
	v_mul_hi_u32 v12, 24, v2
	v_mul_lo_u32 v2, 24, v2
	v_add_nc_u32_e32 v3, v3, v11
	s_wait_loadcnt 0x0
	s_delay_alu instid0(VALU_DEP_2) | instskip(NEXT) | instid1(VALU_DEP_2)
	v_add_co_u32 v6, vcc_lo, v6, v2
	v_dual_mov_b32 v2, v9 :: v_dual_add_nc_u32 v3, v3, v12
	s_wait_alu 0xfffd
	s_delay_alu instid0(VALU_DEP_1)
	v_add_co_ci_u32_e32 v7, vcc_lo, v7, v3, vcc_lo
	v_mov_b32_e32 v3, v10
	global_store_b64 v[6:7], v[9:10], off
	global_wb scope:SCOPE_SYS
	s_wait_storecnt 0x0
	global_atomic_cmpswap_b64 v[2:3], v8, v[0:3], s[2:3] offset:24 th:TH_ATOMIC_RETURN scope:SCOPE_SYS
	s_wait_loadcnt 0x0
	v_cmp_ne_u64_e32 vcc_lo, v[2:3], v[9:10]
	s_and_b32 exec_lo, exec_lo, vcc_lo
	s_cbranch_execz .LBB6_1127
; %bb.1125:
	s_mov_b32 s0, 0
.LBB6_1126:                             ; =>This Inner Loop Header: Depth=1
	s_sleep 1
	global_store_b64 v[6:7], v[2:3], off
	global_wb scope:SCOPE_SYS
	s_wait_storecnt 0x0
	global_atomic_cmpswap_b64 v[9:10], v8, v[0:3], s[2:3] offset:24 th:TH_ATOMIC_RETURN scope:SCOPE_SYS
	s_wait_loadcnt 0x0
	v_cmp_eq_u64_e32 vcc_lo, v[9:10], v[2:3]
	v_dual_mov_b32 v2, v9 :: v_dual_mov_b32 v3, v10
	s_wait_alu 0xfffe
	s_or_b32 s0, vcc_lo, s0
	s_wait_alu 0xfffe
	s_and_not1_b32 exec_lo, exec_lo, s0
	s_cbranch_execnz .LBB6_1126
.LBB6_1127:
	s_wait_alu 0xfffe
	s_or_b32 exec_lo, exec_lo, s5
	v_readfirstlane_b32 s0, v35
	v_mov_b32_e32 v8, 0
	v_mov_b32_e32 v9, 0
	s_wait_alu 0xf1ff
	s_delay_alu instid0(VALU_DEP_3) | instskip(NEXT) | instid1(VALU_DEP_1)
	v_cmp_eq_u32_e64 s0, s0, v35
	s_and_saveexec_b32 s1, s0
	s_cbranch_execz .LBB6_1133
; %bb.1128:
	v_mov_b32_e32 v0, 0
	s_mov_b32 s4, exec_lo
	global_load_b64 v[10:11], v0, s[2:3] offset:24 scope:SCOPE_SYS
	s_wait_loadcnt 0x0
	global_inv scope:SCOPE_SYS
	s_clause 0x1
	global_load_b64 v[1:2], v0, s[2:3] offset:40
	global_load_b64 v[6:7], v0, s[2:3]
	s_wait_loadcnt 0x1
	v_and_b32_e32 v1, v1, v10
	v_and_b32_e32 v2, v2, v11
	s_delay_alu instid0(VALU_DEP_2) | instskip(NEXT) | instid1(VALU_DEP_2)
	v_mul_lo_u32 v3, 0, v1
	v_mul_lo_u32 v2, 24, v2
	v_mul_hi_u32 v8, 24, v1
	v_mul_lo_u32 v1, 24, v1
	s_delay_alu instid0(VALU_DEP_3) | instskip(SKIP_1) | instid1(VALU_DEP_2)
	v_add_nc_u32_e32 v2, v2, v3
	s_wait_loadcnt 0x0
	v_add_co_u32 v1, vcc_lo, v6, v1
	s_delay_alu instid0(VALU_DEP_2) | instskip(SKIP_1) | instid1(VALU_DEP_1)
	v_add_nc_u32_e32 v2, v2, v8
	s_wait_alu 0xfffd
	v_add_co_ci_u32_e32 v2, vcc_lo, v7, v2, vcc_lo
	global_load_b64 v[8:9], v[1:2], off scope:SCOPE_SYS
	s_wait_loadcnt 0x0
	global_atomic_cmpswap_b64 v[8:9], v0, v[8:11], s[2:3] offset:24 th:TH_ATOMIC_RETURN scope:SCOPE_SYS
	s_wait_loadcnt 0x0
	global_inv scope:SCOPE_SYS
	v_cmpx_ne_u64_e64 v[8:9], v[10:11]
	s_cbranch_execz .LBB6_1132
; %bb.1129:
	s_mov_b32 s5, 0
.LBB6_1130:                             ; =>This Inner Loop Header: Depth=1
	s_sleep 1
	s_clause 0x1
	global_load_b64 v[1:2], v0, s[2:3] offset:40
	global_load_b64 v[6:7], v0, s[2:3]
	v_dual_mov_b32 v11, v9 :: v_dual_mov_b32 v10, v8
	s_wait_loadcnt 0x1
	s_delay_alu instid0(VALU_DEP_1) | instskip(SKIP_1) | instid1(VALU_DEP_1)
	v_and_b32_e32 v1, v1, v10
	s_wait_loadcnt 0x0
	v_mad_co_u64_u32 v[6:7], null, v1, 24, v[6:7]
	s_delay_alu instid0(VALU_DEP_1) | instskip(NEXT) | instid1(VALU_DEP_1)
	v_dual_mov_b32 v1, v7 :: v_dual_and_b32 v2, v2, v11
	v_mad_co_u64_u32 v[1:2], null, v2, 24, v[1:2]
	s_delay_alu instid0(VALU_DEP_1)
	v_mov_b32_e32 v7, v1
	global_load_b64 v[8:9], v[6:7], off scope:SCOPE_SYS
	s_wait_loadcnt 0x0
	global_atomic_cmpswap_b64 v[8:9], v0, v[8:11], s[2:3] offset:24 th:TH_ATOMIC_RETURN scope:SCOPE_SYS
	s_wait_loadcnt 0x0
	global_inv scope:SCOPE_SYS
	v_cmp_eq_u64_e32 vcc_lo, v[8:9], v[10:11]
	s_wait_alu 0xfffe
	s_or_b32 s5, vcc_lo, s5
	s_wait_alu 0xfffe
	s_and_not1_b32 exec_lo, exec_lo, s5
	s_cbranch_execnz .LBB6_1130
; %bb.1131:
	s_or_b32 exec_lo, exec_lo, s5
.LBB6_1132:
	s_wait_alu 0xfffe
	s_or_b32 exec_lo, exec_lo, s4
.LBB6_1133:
	s_wait_alu 0xfffe
	s_or_b32 exec_lo, exec_lo, s1
	v_readfirstlane_b32 s4, v8
	v_mov_b32_e32 v7, 0
	v_readfirstlane_b32 s1, v9
	s_mov_b32 s5, exec_lo
	s_clause 0x1
	global_load_b64 v[10:11], v7, s[2:3] offset:40
	global_load_b128 v[0:3], v7, s[2:3]
	s_wait_loadcnt 0x1
	s_wait_alu 0xf1ff
	v_and_b32_e32 v12, s4, v10
	v_and_b32_e32 v13, s1, v11
	s_delay_alu instid0(VALU_DEP_2) | instskip(NEXT) | instid1(VALU_DEP_2)
	v_mul_lo_u32 v8, 0, v12
	v_mul_lo_u32 v6, 24, v13
	v_mul_hi_u32 v9, 24, v12
	v_mul_lo_u32 v10, 24, v12
	s_delay_alu instid0(VALU_DEP_3) | instskip(SKIP_1) | instid1(VALU_DEP_2)
	v_add_nc_u32_e32 v6, v6, v8
	s_wait_loadcnt 0x0
	v_add_co_u32 v10, vcc_lo, v0, v10
	s_delay_alu instid0(VALU_DEP_2) | instskip(SKIP_1) | instid1(VALU_DEP_1)
	v_add_nc_u32_e32 v6, v6, v9
	s_wait_alu 0xfffd
	v_add_co_ci_u32_e32 v11, vcc_lo, v1, v6, vcc_lo
	s_and_saveexec_b32 s6, s0
	s_cbranch_execz .LBB6_1135
; %bb.1134:
	s_wait_alu 0xfffe
	v_dual_mov_b32 v6, s5 :: v_dual_mov_b32 v9, 1
	v_mov_b32_e32 v8, 2
	global_store_b128 v[10:11], v[6:9], off offset:8
.LBB6_1135:
	s_wait_alu 0xfffe
	s_or_b32 exec_lo, exec_lo, s6
	v_lshlrev_b64_e32 v[12:13], 12, v[12:13]
	s_mov_b32 s16, 0
	v_dual_mov_b32 v6, 33 :: v_dual_mov_b32 v9, v7
	s_wait_alu 0xfffe
	s_mov_b32 s17, s16
	s_mov_b32 s18, s16
	v_add_co_u32 v2, vcc_lo, v2, v12
	s_wait_alu 0xfffd
	v_add_co_ci_u32_e32 v3, vcc_lo, v3, v13, vcc_lo
	s_mov_b32 s19, s16
	s_delay_alu instid0(VALU_DEP_2)
	v_add_co_u32 v12, vcc_lo, v2, v34
	v_mov_b32_e32 v8, v7
	v_readfirstlane_b32 s6, v2
	v_readfirstlane_b32 s7, v3
	s_wait_alu 0xfffe
	v_dual_mov_b32 v14, s16 :: v_dual_mov_b32 v17, s19
	s_wait_alu 0xfffd
	v_add_co_ci_u32_e32 v13, vcc_lo, 0, v3, vcc_lo
	v_dual_mov_b32 v15, s17 :: v_dual_mov_b32 v16, s18
	s_clause 0x3
	global_store_b128 v34, v[6:9], s[6:7]
	global_store_b128 v34, v[14:17], s[6:7] offset:16
	global_store_b128 v34, v[14:17], s[6:7] offset:32
	;; [unrolled: 1-line block ×3, first 2 shown]
	s_and_saveexec_b32 s5, s0
	s_cbranch_execz .LBB6_1143
; %bb.1136:
	v_mov_b32_e32 v8, 0
	s_mov_b32 s6, exec_lo
	s_clause 0x1
	global_load_b64 v[16:17], v8, s[2:3] offset:32 scope:SCOPE_SYS
	global_load_b64 v[2:3], v8, s[2:3] offset:40
	v_dual_mov_b32 v15, s1 :: v_dual_mov_b32 v14, s4
	s_wait_loadcnt 0x0
	v_and_b32_e32 v3, s1, v3
	v_and_b32_e32 v2, s4, v2
	s_delay_alu instid0(VALU_DEP_2) | instskip(NEXT) | instid1(VALU_DEP_2)
	v_mul_lo_u32 v3, 24, v3
	v_mul_lo_u32 v6, 0, v2
	v_mul_hi_u32 v7, 24, v2
	v_mul_lo_u32 v2, 24, v2
	s_delay_alu instid0(VALU_DEP_3) | instskip(NEXT) | instid1(VALU_DEP_2)
	v_add_nc_u32_e32 v3, v3, v6
	v_add_co_u32 v6, vcc_lo, v0, v2
	s_delay_alu instid0(VALU_DEP_2) | instskip(SKIP_1) | instid1(VALU_DEP_1)
	v_add_nc_u32_e32 v3, v3, v7
	s_wait_alu 0xfffd
	v_add_co_ci_u32_e32 v7, vcc_lo, v1, v3, vcc_lo
	global_store_b64 v[6:7], v[16:17], off
	global_wb scope:SCOPE_SYS
	s_wait_storecnt 0x0
	global_atomic_cmpswap_b64 v[2:3], v8, v[14:17], s[2:3] offset:32 th:TH_ATOMIC_RETURN scope:SCOPE_SYS
	s_wait_loadcnt 0x0
	v_cmpx_ne_u64_e64 v[2:3], v[16:17]
	s_cbranch_execz .LBB6_1139
; %bb.1137:
	s_mov_b32 s7, 0
.LBB6_1138:                             ; =>This Inner Loop Header: Depth=1
	v_dual_mov_b32 v0, s4 :: v_dual_mov_b32 v1, s1
	s_sleep 1
	global_store_b64 v[6:7], v[2:3], off
	global_wb scope:SCOPE_SYS
	s_wait_storecnt 0x0
	global_atomic_cmpswap_b64 v[0:1], v8, v[0:3], s[2:3] offset:32 th:TH_ATOMIC_RETURN scope:SCOPE_SYS
	s_wait_loadcnt 0x0
	v_cmp_eq_u64_e32 vcc_lo, v[0:1], v[2:3]
	v_dual_mov_b32 v3, v1 :: v_dual_mov_b32 v2, v0
	s_wait_alu 0xfffe
	s_or_b32 s7, vcc_lo, s7
	s_wait_alu 0xfffe
	s_and_not1_b32 exec_lo, exec_lo, s7
	s_cbranch_execnz .LBB6_1138
.LBB6_1139:
	s_wait_alu 0xfffe
	s_or_b32 exec_lo, exec_lo, s6
	v_mov_b32_e32 v3, 0
	s_mov_b32 s7, exec_lo
	s_mov_b32 s6, exec_lo
	s_wait_alu 0xfffe
	v_mbcnt_lo_u32_b32 v2, s7, 0
	global_load_b64 v[0:1], v3, s[2:3] offset:16
	v_cmpx_eq_u32_e32 0, v2
	s_cbranch_execz .LBB6_1141
; %bb.1140:
	s_bcnt1_i32_b32 s7, s7
	s_wait_alu 0xfffe
	v_mov_b32_e32 v2, s7
	global_wb scope:SCOPE_SYS
	s_wait_loadcnt 0x0
	global_atomic_add_u64 v[0:1], v[2:3], off offset:8 scope:SCOPE_SYS
.LBB6_1141:
	s_or_b32 exec_lo, exec_lo, s6
	s_wait_loadcnt 0x0
	global_load_b64 v[2:3], v[0:1], off offset:16
	s_wait_loadcnt 0x0
	v_cmp_eq_u64_e32 vcc_lo, 0, v[2:3]
	s_cbranch_vccnz .LBB6_1143
; %bb.1142:
	global_load_b32 v0, v[0:1], off offset:24
	s_wait_loadcnt 0x0
	v_dual_mov_b32 v1, 0 :: v_dual_and_b32 v6, 0xffffff, v0
	global_wb scope:SCOPE_SYS
	s_wait_storecnt 0x0
	global_store_b64 v[2:3], v[0:1], off scope:SCOPE_SYS
	v_readfirstlane_b32 m0, v6
	s_sendmsg sendmsg(MSG_INTERRUPT)
.LBB6_1143:
	s_wait_alu 0xfffe
	s_or_b32 exec_lo, exec_lo, s5
	s_branch .LBB6_1147
.LBB6_1144:                             ;   in Loop: Header=BB6_1147 Depth=1
	s_wait_alu 0xfffe
	s_or_b32 exec_lo, exec_lo, s5
	s_delay_alu instid0(VALU_DEP_1) | instskip(NEXT) | instid1(VALU_DEP_1)
	v_readfirstlane_b32 s5, v0
	s_cmp_eq_u32 s5, 0
	s_cbranch_scc1 .LBB6_1146
; %bb.1145:                             ;   in Loop: Header=BB6_1147 Depth=1
	s_sleep 1
	s_cbranch_execnz .LBB6_1147
	s_branch .LBB6_1149
.LBB6_1146:
	s_branch .LBB6_1149
.LBB6_1147:                             ; =>This Inner Loop Header: Depth=1
	v_mov_b32_e32 v0, 1
	s_and_saveexec_b32 s5, s0
	s_cbranch_execz .LBB6_1144
; %bb.1148:                             ;   in Loop: Header=BB6_1147 Depth=1
	global_load_b32 v0, v[10:11], off offset:20 scope:SCOPE_SYS
	s_wait_loadcnt 0x0
	global_inv scope:SCOPE_SYS
	v_and_b32_e32 v0, 1, v0
	s_branch .LBB6_1144
.LBB6_1149:
	global_load_b64 v[0:1], v[12:13], off
	s_and_saveexec_b32 s5, s0
	s_cbranch_execz .LBB6_1153
; %bb.1150:
	v_mov_b32_e32 v10, 0
	s_clause 0x2
	global_load_b64 v[2:3], v10, s[2:3] offset:40
	global_load_b64 v[11:12], v10, s[2:3] offset:24 scope:SCOPE_SYS
	global_load_b64 v[8:9], v10, s[2:3]
	s_wait_loadcnt 0x2
	v_add_co_u32 v13, vcc_lo, v2, 1
	s_wait_alu 0xfffd
	v_add_co_ci_u32_e32 v14, vcc_lo, 0, v3, vcc_lo
	s_delay_alu instid0(VALU_DEP_2) | instskip(SKIP_1) | instid1(VALU_DEP_2)
	v_add_co_u32 v6, vcc_lo, v13, s4
	s_wait_alu 0xfffd
	v_add_co_ci_u32_e32 v7, vcc_lo, s1, v14, vcc_lo
	s_delay_alu instid0(VALU_DEP_1) | instskip(SKIP_2) | instid1(VALU_DEP_1)
	v_cmp_eq_u64_e32 vcc_lo, 0, v[6:7]
	s_wait_alu 0xfffd
	v_dual_cndmask_b32 v7, v7, v14 :: v_dual_cndmask_b32 v6, v6, v13
	v_and_b32_e32 v3, v7, v3
	s_delay_alu instid0(VALU_DEP_2) | instskip(NEXT) | instid1(VALU_DEP_2)
	v_and_b32_e32 v2, v6, v2
	v_mul_lo_u32 v3, 24, v3
	s_delay_alu instid0(VALU_DEP_2) | instskip(SKIP_2) | instid1(VALU_DEP_3)
	v_mul_lo_u32 v13, 0, v2
	v_mul_hi_u32 v14, 24, v2
	v_mul_lo_u32 v2, 24, v2
	v_add_nc_u32_e32 v3, v3, v13
	s_wait_loadcnt 0x0
	s_delay_alu instid0(VALU_DEP_2) | instskip(SKIP_1) | instid1(VALU_DEP_3)
	v_add_co_u32 v2, vcc_lo, v8, v2
	v_mov_b32_e32 v8, v11
	v_add_nc_u32_e32 v3, v3, v14
	s_wait_alu 0xfffd
	s_delay_alu instid0(VALU_DEP_1)
	v_add_co_ci_u32_e32 v3, vcc_lo, v9, v3, vcc_lo
	v_mov_b32_e32 v9, v12
	global_store_b64 v[2:3], v[11:12], off
	global_wb scope:SCOPE_SYS
	s_wait_storecnt 0x0
	global_atomic_cmpswap_b64 v[8:9], v10, v[6:9], s[2:3] offset:24 th:TH_ATOMIC_RETURN scope:SCOPE_SYS
	s_wait_loadcnt 0x0
	v_cmp_ne_u64_e32 vcc_lo, v[8:9], v[11:12]
	s_and_b32 exec_lo, exec_lo, vcc_lo
	s_cbranch_execz .LBB6_1153
; %bb.1151:
	s_mov_b32 s0, 0
.LBB6_1152:                             ; =>This Inner Loop Header: Depth=1
	s_sleep 1
	global_store_b64 v[2:3], v[8:9], off
	global_wb scope:SCOPE_SYS
	s_wait_storecnt 0x0
	global_atomic_cmpswap_b64 v[11:12], v10, v[6:9], s[2:3] offset:24 th:TH_ATOMIC_RETURN scope:SCOPE_SYS
	s_wait_loadcnt 0x0
	v_cmp_eq_u64_e32 vcc_lo, v[11:12], v[8:9]
	v_dual_mov_b32 v8, v11 :: v_dual_mov_b32 v9, v12
	s_wait_alu 0xfffe
	s_or_b32 s0, vcc_lo, s0
	s_wait_alu 0xfffe
	s_and_not1_b32 exec_lo, exec_lo, s0
	s_cbranch_execnz .LBB6_1152
.LBB6_1153:
	s_wait_alu 0xfffe
	s_or_b32 exec_lo, exec_lo, s5
	s_delay_alu instid0(SALU_CYCLE_1)
	s_and_b32 vcc_lo, exec_lo, s20
	s_wait_alu 0xfffe
	s_cbranch_vccz .LBB6_1232
; %bb.1154:
	s_wait_loadcnt 0x0
	v_dual_mov_b32 v10, 0 :: v_dual_and_b32 v33, 2, v0
	v_dual_mov_b32 v7, v1 :: v_dual_and_b32 v6, -3, v0
	v_dual_mov_b32 v11, 2 :: v_dual_mov_b32 v12, 1
	s_mov_b64 s[6:7], 3
	s_getpc_b64 s[4:5]
	s_wait_alu 0xfffe
	s_sext_i32_i16 s5, s5
	s_add_co_u32 s4, s4, .str.8@rel32@lo+12
	s_wait_alu 0xfffe
	s_add_co_ci_u32 s5, s5, .str.8@rel32@hi+24
	s_branch .LBB6_1156
.LBB6_1155:                             ;   in Loop: Header=BB6_1156 Depth=1
	s_wait_alu 0xfffe
	s_or_b32 exec_lo, exec_lo, s17
	s_sub_nc_u64 s[6:7], s[6:7], s[10:11]
	s_add_nc_u64 s[4:5], s[4:5], s[10:11]
	s_wait_alu 0xfffe
	s_cmp_lg_u64 s[6:7], 0
	s_cbranch_scc0 .LBB6_1231
.LBB6_1156:                             ; =>This Loop Header: Depth=1
                                        ;     Child Loop BB6_1165 Depth 2
                                        ;     Child Loop BB6_1161 Depth 2
	;; [unrolled: 1-line block ×11, first 2 shown]
	v_cmp_lt_u64_e64 s0, s[6:7], 56
	v_cmp_gt_u64_e64 s1, s[6:7], 7
                                        ; implicit-def: $vgpr15_vgpr16
                                        ; implicit-def: $sgpr20
	s_delay_alu instid0(VALU_DEP_2) | instskip(SKIP_2) | instid1(VALU_DEP_1)
	s_and_b32 s0, s0, exec_lo
	s_cselect_b32 s11, s7, 0
	s_cselect_b32 s10, s6, 56
	s_and_b32 vcc_lo, exec_lo, s1
	s_mov_b32 s0, -1
	s_wait_alu 0xfffe
	s_cbranch_vccz .LBB6_1163
; %bb.1157:                             ;   in Loop: Header=BB6_1156 Depth=1
	s_and_not1_b32 vcc_lo, exec_lo, s0
	s_mov_b64 s[0:1], s[4:5]
	s_wait_alu 0xfffe
	s_cbranch_vccz .LBB6_1167
.LBB6_1158:                             ;   in Loop: Header=BB6_1156 Depth=1
	s_wait_alu 0xfffe
	s_cmp_gt_u32 s20, 7
	s_cbranch_scc1 .LBB6_1168
.LBB6_1159:                             ;   in Loop: Header=BB6_1156 Depth=1
	v_mov_b32_e32 v17, 0
	v_mov_b32_e32 v18, 0
	s_cmp_eq_u32 s20, 0
	s_cbranch_scc1 .LBB6_1162
; %bb.1160:                             ;   in Loop: Header=BB6_1156 Depth=1
	s_mov_b64 s[16:17], 0
	s_mov_b64 s[18:19], 0
.LBB6_1161:                             ;   Parent Loop BB6_1156 Depth=1
                                        ; =>  This Inner Loop Header: Depth=2
	s_wait_alu 0xfffe
	s_add_nc_u64 s[22:23], s[0:1], s[18:19]
	s_add_nc_u64 s[18:19], s[18:19], 1
	global_load_u8 v2, v10, s[22:23]
	s_wait_alu 0xfffe
	s_cmp_lg_u32 s20, s18
	s_wait_loadcnt 0x0
	v_and_b32_e32 v9, 0xffff, v2
	s_delay_alu instid0(VALU_DEP_1) | instskip(SKIP_1) | instid1(VALU_DEP_1)
	v_lshlrev_b64_e32 v[2:3], s16, v[9:10]
	s_add_nc_u64 s[16:17], s[16:17], 8
	v_or_b32_e32 v17, v2, v17
	s_delay_alu instid0(VALU_DEP_2)
	v_or_b32_e32 v18, v3, v18
	s_cbranch_scc1 .LBB6_1161
.LBB6_1162:                             ;   in Loop: Header=BB6_1156 Depth=1
	s_mov_b32 s21, 0
	s_cbranch_execz .LBB6_1169
	s_branch .LBB6_1170
.LBB6_1163:                             ;   in Loop: Header=BB6_1156 Depth=1
	v_mov_b32_e32 v15, 0
	v_mov_b32_e32 v16, 0
	s_cmp_eq_u64 s[6:7], 0
	s_mov_b64 s[0:1], 0
	s_cbranch_scc1 .LBB6_1166
; %bb.1164:                             ;   in Loop: Header=BB6_1156 Depth=1
	v_mov_b32_e32 v15, 0
	v_mov_b32_e32 v16, 0
	s_mov_b64 s[16:17], 0
.LBB6_1165:                             ;   Parent Loop BB6_1156 Depth=1
                                        ; =>  This Inner Loop Header: Depth=2
	s_wait_alu 0xfffe
	s_add_nc_u64 s[18:19], s[4:5], s[16:17]
	s_add_nc_u64 s[16:17], s[16:17], 1
	global_load_u8 v2, v10, s[18:19]
	s_wait_alu 0xfffe
	s_cmp_lg_u32 s10, s16
	s_wait_loadcnt 0x0
	v_and_b32_e32 v9, 0xffff, v2
	s_delay_alu instid0(VALU_DEP_1) | instskip(SKIP_1) | instid1(VALU_DEP_1)
	v_lshlrev_b64_e32 v[2:3], s0, v[9:10]
	s_add_nc_u64 s[0:1], s[0:1], 8
	v_or_b32_e32 v15, v2, v15
	s_delay_alu instid0(VALU_DEP_2)
	v_or_b32_e32 v16, v3, v16
	s_cbranch_scc1 .LBB6_1165
.LBB6_1166:                             ;   in Loop: Header=BB6_1156 Depth=1
	s_mov_b32 s20, 0
	s_mov_b64 s[0:1], s[4:5]
	s_cbranch_execnz .LBB6_1158
.LBB6_1167:                             ;   in Loop: Header=BB6_1156 Depth=1
	global_load_b64 v[15:16], v10, s[4:5]
	s_add_co_i32 s20, s10, -8
	s_add_nc_u64 s[0:1], s[4:5], 8
	s_wait_alu 0xfffe
	s_cmp_gt_u32 s20, 7
	s_cbranch_scc0 .LBB6_1159
.LBB6_1168:                             ;   in Loop: Header=BB6_1156 Depth=1
                                        ; implicit-def: $vgpr17_vgpr18
                                        ; implicit-def: $sgpr21
.LBB6_1169:                             ;   in Loop: Header=BB6_1156 Depth=1
	global_load_b64 v[17:18], v10, s[0:1]
	s_add_co_i32 s21, s20, -8
	s_add_nc_u64 s[0:1], s[0:1], 8
.LBB6_1170:                             ;   in Loop: Header=BB6_1156 Depth=1
	s_wait_alu 0xfffe
	s_cmp_gt_u32 s21, 7
	s_cbranch_scc1 .LBB6_1175
; %bb.1171:                             ;   in Loop: Header=BB6_1156 Depth=1
	v_mov_b32_e32 v19, 0
	v_mov_b32_e32 v20, 0
	s_cmp_eq_u32 s21, 0
	s_cbranch_scc1 .LBB6_1174
; %bb.1172:                             ;   in Loop: Header=BB6_1156 Depth=1
	s_mov_b64 s[16:17], 0
	s_mov_b64 s[18:19], 0
.LBB6_1173:                             ;   Parent Loop BB6_1156 Depth=1
                                        ; =>  This Inner Loop Header: Depth=2
	s_wait_alu 0xfffe
	s_add_nc_u64 s[22:23], s[0:1], s[18:19]
	s_add_nc_u64 s[18:19], s[18:19], 1
	global_load_u8 v2, v10, s[22:23]
	s_wait_alu 0xfffe
	s_cmp_lg_u32 s21, s18
	s_wait_loadcnt 0x0
	v_and_b32_e32 v9, 0xffff, v2
	s_delay_alu instid0(VALU_DEP_1) | instskip(SKIP_1) | instid1(VALU_DEP_1)
	v_lshlrev_b64_e32 v[2:3], s16, v[9:10]
	s_add_nc_u64 s[16:17], s[16:17], 8
	v_or_b32_e32 v19, v2, v19
	s_delay_alu instid0(VALU_DEP_2)
	v_or_b32_e32 v20, v3, v20
	s_cbranch_scc1 .LBB6_1173
.LBB6_1174:                             ;   in Loop: Header=BB6_1156 Depth=1
	s_mov_b32 s20, 0
	s_cbranch_execz .LBB6_1176
	s_branch .LBB6_1177
.LBB6_1175:                             ;   in Loop: Header=BB6_1156 Depth=1
                                        ; implicit-def: $sgpr20
.LBB6_1176:                             ;   in Loop: Header=BB6_1156 Depth=1
	global_load_b64 v[19:20], v10, s[0:1]
	s_add_co_i32 s20, s21, -8
	s_add_nc_u64 s[0:1], s[0:1], 8
.LBB6_1177:                             ;   in Loop: Header=BB6_1156 Depth=1
	s_wait_alu 0xfffe
	s_cmp_gt_u32 s20, 7
	s_cbranch_scc1 .LBB6_1182
; %bb.1178:                             ;   in Loop: Header=BB6_1156 Depth=1
	v_mov_b32_e32 v21, 0
	v_mov_b32_e32 v22, 0
	s_cmp_eq_u32 s20, 0
	s_cbranch_scc1 .LBB6_1181
; %bb.1179:                             ;   in Loop: Header=BB6_1156 Depth=1
	s_mov_b64 s[16:17], 0
	s_mov_b64 s[18:19], 0
.LBB6_1180:                             ;   Parent Loop BB6_1156 Depth=1
                                        ; =>  This Inner Loop Header: Depth=2
	s_wait_alu 0xfffe
	s_add_nc_u64 s[22:23], s[0:1], s[18:19]
	s_add_nc_u64 s[18:19], s[18:19], 1
	global_load_u8 v2, v10, s[22:23]
	s_wait_alu 0xfffe
	s_cmp_lg_u32 s20, s18
	s_wait_loadcnt 0x0
	v_and_b32_e32 v9, 0xffff, v2
	s_delay_alu instid0(VALU_DEP_1) | instskip(SKIP_1) | instid1(VALU_DEP_1)
	v_lshlrev_b64_e32 v[2:3], s16, v[9:10]
	s_add_nc_u64 s[16:17], s[16:17], 8
	v_or_b32_e32 v21, v2, v21
	s_delay_alu instid0(VALU_DEP_2)
	v_or_b32_e32 v22, v3, v22
	s_cbranch_scc1 .LBB6_1180
.LBB6_1181:                             ;   in Loop: Header=BB6_1156 Depth=1
	s_mov_b32 s21, 0
	s_cbranch_execz .LBB6_1183
	s_branch .LBB6_1184
.LBB6_1182:                             ;   in Loop: Header=BB6_1156 Depth=1
                                        ; implicit-def: $vgpr21_vgpr22
                                        ; implicit-def: $sgpr21
.LBB6_1183:                             ;   in Loop: Header=BB6_1156 Depth=1
	global_load_b64 v[21:22], v10, s[0:1]
	s_add_co_i32 s21, s20, -8
	s_add_nc_u64 s[0:1], s[0:1], 8
.LBB6_1184:                             ;   in Loop: Header=BB6_1156 Depth=1
	s_wait_alu 0xfffe
	s_cmp_gt_u32 s21, 7
	s_cbranch_scc1 .LBB6_1189
; %bb.1185:                             ;   in Loop: Header=BB6_1156 Depth=1
	v_mov_b32_e32 v23, 0
	v_mov_b32_e32 v24, 0
	s_cmp_eq_u32 s21, 0
	s_cbranch_scc1 .LBB6_1188
; %bb.1186:                             ;   in Loop: Header=BB6_1156 Depth=1
	s_mov_b64 s[16:17], 0
	s_mov_b64 s[18:19], 0
.LBB6_1187:                             ;   Parent Loop BB6_1156 Depth=1
                                        ; =>  This Inner Loop Header: Depth=2
	s_wait_alu 0xfffe
	s_add_nc_u64 s[22:23], s[0:1], s[18:19]
	s_add_nc_u64 s[18:19], s[18:19], 1
	global_load_u8 v2, v10, s[22:23]
	s_wait_alu 0xfffe
	s_cmp_lg_u32 s21, s18
	s_wait_loadcnt 0x0
	v_and_b32_e32 v9, 0xffff, v2
	s_delay_alu instid0(VALU_DEP_1) | instskip(SKIP_1) | instid1(VALU_DEP_1)
	v_lshlrev_b64_e32 v[2:3], s16, v[9:10]
	s_add_nc_u64 s[16:17], s[16:17], 8
	v_or_b32_e32 v23, v2, v23
	s_delay_alu instid0(VALU_DEP_2)
	v_or_b32_e32 v24, v3, v24
	s_cbranch_scc1 .LBB6_1187
.LBB6_1188:                             ;   in Loop: Header=BB6_1156 Depth=1
	s_mov_b32 s20, 0
	s_cbranch_execz .LBB6_1190
	s_branch .LBB6_1191
.LBB6_1189:                             ;   in Loop: Header=BB6_1156 Depth=1
                                        ; implicit-def: $sgpr20
.LBB6_1190:                             ;   in Loop: Header=BB6_1156 Depth=1
	global_load_b64 v[23:24], v10, s[0:1]
	s_add_co_i32 s20, s21, -8
	s_add_nc_u64 s[0:1], s[0:1], 8
.LBB6_1191:                             ;   in Loop: Header=BB6_1156 Depth=1
	s_wait_alu 0xfffe
	s_cmp_gt_u32 s20, 7
	s_cbranch_scc1 .LBB6_1196
; %bb.1192:                             ;   in Loop: Header=BB6_1156 Depth=1
	v_mov_b32_e32 v25, 0
	v_mov_b32_e32 v26, 0
	s_cmp_eq_u32 s20, 0
	s_cbranch_scc1 .LBB6_1195
; %bb.1193:                             ;   in Loop: Header=BB6_1156 Depth=1
	s_mov_b64 s[16:17], 0
	s_mov_b64 s[18:19], 0
.LBB6_1194:                             ;   Parent Loop BB6_1156 Depth=1
                                        ; =>  This Inner Loop Header: Depth=2
	s_wait_alu 0xfffe
	s_add_nc_u64 s[22:23], s[0:1], s[18:19]
	s_add_nc_u64 s[18:19], s[18:19], 1
	global_load_u8 v2, v10, s[22:23]
	s_wait_alu 0xfffe
	s_cmp_lg_u32 s20, s18
	s_wait_loadcnt 0x0
	v_and_b32_e32 v9, 0xffff, v2
	s_delay_alu instid0(VALU_DEP_1) | instskip(SKIP_1) | instid1(VALU_DEP_1)
	v_lshlrev_b64_e32 v[2:3], s16, v[9:10]
	s_add_nc_u64 s[16:17], s[16:17], 8
	v_or_b32_e32 v25, v2, v25
	s_delay_alu instid0(VALU_DEP_2)
	v_or_b32_e32 v26, v3, v26
	s_cbranch_scc1 .LBB6_1194
.LBB6_1195:                             ;   in Loop: Header=BB6_1156 Depth=1
	s_mov_b32 s21, 0
	s_cbranch_execz .LBB6_1197
	s_branch .LBB6_1198
.LBB6_1196:                             ;   in Loop: Header=BB6_1156 Depth=1
                                        ; implicit-def: $vgpr25_vgpr26
                                        ; implicit-def: $sgpr21
.LBB6_1197:                             ;   in Loop: Header=BB6_1156 Depth=1
	global_load_b64 v[25:26], v10, s[0:1]
	s_add_co_i32 s21, s20, -8
	s_add_nc_u64 s[0:1], s[0:1], 8
.LBB6_1198:                             ;   in Loop: Header=BB6_1156 Depth=1
	s_wait_alu 0xfffe
	s_cmp_gt_u32 s21, 7
	s_cbranch_scc1 .LBB6_1203
; %bb.1199:                             ;   in Loop: Header=BB6_1156 Depth=1
	v_mov_b32_e32 v27, 0
	v_mov_b32_e32 v28, 0
	s_cmp_eq_u32 s21, 0
	s_cbranch_scc1 .LBB6_1202
; %bb.1200:                             ;   in Loop: Header=BB6_1156 Depth=1
	s_mov_b64 s[16:17], 0
	s_mov_b64 s[18:19], s[0:1]
.LBB6_1201:                             ;   Parent Loop BB6_1156 Depth=1
                                        ; =>  This Inner Loop Header: Depth=2
	global_load_u8 v2, v10, s[18:19]
	s_add_co_i32 s21, s21, -1
	s_wait_alu 0xfffe
	s_add_nc_u64 s[18:19], s[18:19], 1
	s_cmp_lg_u32 s21, 0
	s_wait_loadcnt 0x0
	v_and_b32_e32 v9, 0xffff, v2
	s_delay_alu instid0(VALU_DEP_1) | instskip(SKIP_1) | instid1(VALU_DEP_1)
	v_lshlrev_b64_e32 v[2:3], s16, v[9:10]
	s_add_nc_u64 s[16:17], s[16:17], 8
	v_or_b32_e32 v27, v2, v27
	s_delay_alu instid0(VALU_DEP_2)
	v_or_b32_e32 v28, v3, v28
	s_cbranch_scc1 .LBB6_1201
.LBB6_1202:                             ;   in Loop: Header=BB6_1156 Depth=1
	s_cbranch_execz .LBB6_1204
	s_branch .LBB6_1205
.LBB6_1203:                             ;   in Loop: Header=BB6_1156 Depth=1
.LBB6_1204:                             ;   in Loop: Header=BB6_1156 Depth=1
	global_load_b64 v[27:28], v10, s[0:1]
.LBB6_1205:                             ;   in Loop: Header=BB6_1156 Depth=1
	v_readfirstlane_b32 s0, v35
	v_mov_b32_e32 v2, 0
	v_mov_b32_e32 v3, 0
	s_wait_alu 0xf1ff
	s_delay_alu instid0(VALU_DEP_3) | instskip(NEXT) | instid1(VALU_DEP_1)
	v_cmp_eq_u32_e64 s0, s0, v35
	s_and_saveexec_b32 s1, s0
	s_cbranch_execz .LBB6_1211
; %bb.1206:                             ;   in Loop: Header=BB6_1156 Depth=1
	global_load_b64 v[31:32], v10, s[2:3] offset:24 scope:SCOPE_SYS
	s_wait_loadcnt 0x0
	global_inv scope:SCOPE_SYS
	s_clause 0x1
	global_load_b64 v[2:3], v10, s[2:3] offset:40
	global_load_b64 v[8:9], v10, s[2:3]
	s_mov_b32 s16, exec_lo
	s_wait_loadcnt 0x1
	v_and_b32_e32 v3, v3, v32
	v_and_b32_e32 v2, v2, v31
	s_delay_alu instid0(VALU_DEP_2) | instskip(NEXT) | instid1(VALU_DEP_2)
	v_mul_lo_u32 v3, 24, v3
	v_mul_lo_u32 v13, 0, v2
	v_mul_hi_u32 v14, 24, v2
	v_mul_lo_u32 v2, 24, v2
	s_delay_alu instid0(VALU_DEP_3) | instskip(SKIP_1) | instid1(VALU_DEP_2)
	v_add_nc_u32_e32 v3, v3, v13
	s_wait_loadcnt 0x0
	v_add_co_u32 v2, vcc_lo, v8, v2
	s_delay_alu instid0(VALU_DEP_2) | instskip(SKIP_1) | instid1(VALU_DEP_1)
	v_add_nc_u32_e32 v3, v3, v14
	s_wait_alu 0xfffd
	v_add_co_ci_u32_e32 v3, vcc_lo, v9, v3, vcc_lo
	global_load_b64 v[29:30], v[2:3], off scope:SCOPE_SYS
	s_wait_loadcnt 0x0
	global_atomic_cmpswap_b64 v[2:3], v10, v[29:32], s[2:3] offset:24 th:TH_ATOMIC_RETURN scope:SCOPE_SYS
	s_wait_loadcnt 0x0
	global_inv scope:SCOPE_SYS
	v_cmpx_ne_u64_e64 v[2:3], v[31:32]
	s_cbranch_execz .LBB6_1210
; %bb.1207:                             ;   in Loop: Header=BB6_1156 Depth=1
	s_mov_b32 s17, 0
.LBB6_1208:                             ;   Parent Loop BB6_1156 Depth=1
                                        ; =>  This Inner Loop Header: Depth=2
	s_sleep 1
	s_clause 0x1
	global_load_b64 v[8:9], v10, s[2:3] offset:40
	global_load_b64 v[13:14], v10, s[2:3]
	v_dual_mov_b32 v32, v3 :: v_dual_mov_b32 v31, v2
	s_wait_loadcnt 0x1
	s_delay_alu instid0(VALU_DEP_1) | instskip(NEXT) | instid1(VALU_DEP_2)
	v_and_b32_e32 v2, v8, v31
	v_and_b32_e32 v8, v9, v32
	s_wait_loadcnt 0x0
	s_delay_alu instid0(VALU_DEP_2) | instskip(NEXT) | instid1(VALU_DEP_1)
	v_mad_co_u64_u32 v[2:3], null, v2, 24, v[13:14]
	v_mad_co_u64_u32 v[8:9], null, v8, 24, v[3:4]
	s_delay_alu instid0(VALU_DEP_1)
	v_mov_b32_e32 v3, v8
	global_load_b64 v[29:30], v[2:3], off scope:SCOPE_SYS
	s_wait_loadcnt 0x0
	global_atomic_cmpswap_b64 v[2:3], v10, v[29:32], s[2:3] offset:24 th:TH_ATOMIC_RETURN scope:SCOPE_SYS
	s_wait_loadcnt 0x0
	global_inv scope:SCOPE_SYS
	v_cmp_eq_u64_e32 vcc_lo, v[2:3], v[31:32]
	s_wait_alu 0xfffe
	s_or_b32 s17, vcc_lo, s17
	s_wait_alu 0xfffe
	s_and_not1_b32 exec_lo, exec_lo, s17
	s_cbranch_execnz .LBB6_1208
; %bb.1209:                             ;   in Loop: Header=BB6_1156 Depth=1
	s_or_b32 exec_lo, exec_lo, s17
.LBB6_1210:                             ;   in Loop: Header=BB6_1156 Depth=1
	s_wait_alu 0xfffe
	s_or_b32 exec_lo, exec_lo, s16
.LBB6_1211:                             ;   in Loop: Header=BB6_1156 Depth=1
	s_wait_alu 0xfffe
	s_or_b32 exec_lo, exec_lo, s1
	s_clause 0x1
	global_load_b64 v[8:9], v10, s[2:3] offset:40
	global_load_b128 v[29:32], v10, s[2:3]
	v_readfirstlane_b32 s1, v3
	v_readfirstlane_b32 s16, v2
	s_mov_b32 s17, exec_lo
	s_wait_loadcnt 0x1
	s_wait_alu 0xf1ff
	v_and_b32_e32 v14, s1, v9
	v_and_b32_e32 v13, s16, v8
	s_delay_alu instid0(VALU_DEP_2) | instskip(NEXT) | instid1(VALU_DEP_2)
	v_mul_lo_u32 v2, 24, v14
	v_mul_lo_u32 v3, 0, v13
	v_mul_hi_u32 v8, 24, v13
	v_mul_lo_u32 v9, 24, v13
	s_delay_alu instid0(VALU_DEP_3) | instskip(NEXT) | instid1(VALU_DEP_1)
	v_add_nc_u32_e32 v2, v2, v3
	v_add_nc_u32_e32 v3, v2, v8
	s_wait_loadcnt 0x0
	s_delay_alu instid0(VALU_DEP_3) | instskip(SKIP_1) | instid1(VALU_DEP_2)
	v_add_co_u32 v2, vcc_lo, v29, v9
	s_wait_alu 0xfffd
	v_add_co_ci_u32_e32 v3, vcc_lo, v30, v3, vcc_lo
	s_and_saveexec_b32 s18, s0
	s_cbranch_execz .LBB6_1213
; %bb.1212:                             ;   in Loop: Header=BB6_1156 Depth=1
	s_wait_alu 0xfffe
	v_mov_b32_e32 v9, s17
	global_store_b128 v[2:3], v[9:12], off offset:8
.LBB6_1213:                             ;   in Loop: Header=BB6_1156 Depth=1
	s_wait_alu 0xfffe
	s_or_b32 exec_lo, exec_lo, s18
	v_cmp_gt_u64_e64 vcc_lo, s[6:7], 56
	v_lshlrev_b64_e32 v[8:9], 12, v[13:14]
	v_or_b32_e32 v36, 0, v7
	v_or_b32_e32 v39, v6, v33
	s_lshl_b32 s17, s10, 2
	s_wait_alu 0xfffe
	s_add_co_i32 s17, s17, 28
	s_wait_alu 0xfffd
	v_cndmask_b32_e32 v14, v36, v7, vcc_lo
	v_cndmask_b32_e32 v6, v39, v6, vcc_lo
	v_add_co_u32 v31, vcc_lo, v31, v8
	s_wait_alu 0xfffd
	v_add_co_ci_u32_e32 v32, vcc_lo, v32, v9, vcc_lo
	s_wait_alu 0xfffe
	s_and_b32 s17, s17, 0x1e0
	v_readfirstlane_b32 s18, v31
	s_wait_alu 0xfffe
	v_and_or_b32 v13, 0xffffff1f, v6, s17
	v_readfirstlane_b32 s19, v32
	s_clause 0x3
	global_store_b128 v34, v[13:16], s[18:19]
	global_store_b128 v34, v[17:20], s[18:19] offset:16
	global_store_b128 v34, v[21:24], s[18:19] offset:32
	;; [unrolled: 1-line block ×3, first 2 shown]
	s_and_saveexec_b32 s17, s0
	s_cbranch_execz .LBB6_1221
; %bb.1214:                             ;   in Loop: Header=BB6_1156 Depth=1
	s_clause 0x1
	global_load_b64 v[17:18], v10, s[2:3] offset:32 scope:SCOPE_SYS
	global_load_b64 v[6:7], v10, s[2:3] offset:40
	s_mov_b32 s18, exec_lo
	v_dual_mov_b32 v15, s16 :: v_dual_mov_b32 v16, s1
	s_wait_loadcnt 0x0
	v_and_b32_e32 v7, s1, v7
	v_and_b32_e32 v6, s16, v6
	s_delay_alu instid0(VALU_DEP_2) | instskip(NEXT) | instid1(VALU_DEP_2)
	v_mul_lo_u32 v7, 24, v7
	v_mul_lo_u32 v8, 0, v6
	v_mul_hi_u32 v9, 24, v6
	v_mul_lo_u32 v6, 24, v6
	s_delay_alu instid0(VALU_DEP_3) | instskip(NEXT) | instid1(VALU_DEP_2)
	v_add_nc_u32_e32 v7, v7, v8
	v_add_co_u32 v13, vcc_lo, v29, v6
	s_delay_alu instid0(VALU_DEP_2) | instskip(SKIP_1) | instid1(VALU_DEP_1)
	v_add_nc_u32_e32 v7, v7, v9
	s_wait_alu 0xfffd
	v_add_co_ci_u32_e32 v14, vcc_lo, v30, v7, vcc_lo
	global_store_b64 v[13:14], v[17:18], off
	global_wb scope:SCOPE_SYS
	s_wait_storecnt 0x0
	global_atomic_cmpswap_b64 v[8:9], v10, v[15:18], s[2:3] offset:32 th:TH_ATOMIC_RETURN scope:SCOPE_SYS
	s_wait_loadcnt 0x0
	v_cmpx_ne_u64_e64 v[8:9], v[17:18]
	s_cbranch_execz .LBB6_1217
; %bb.1215:                             ;   in Loop: Header=BB6_1156 Depth=1
	s_mov_b32 s19, 0
.LBB6_1216:                             ;   Parent Loop BB6_1156 Depth=1
                                        ; =>  This Inner Loop Header: Depth=2
	v_dual_mov_b32 v6, s16 :: v_dual_mov_b32 v7, s1
	s_sleep 1
	global_store_b64 v[13:14], v[8:9], off
	global_wb scope:SCOPE_SYS
	s_wait_storecnt 0x0
	global_atomic_cmpswap_b64 v[6:7], v10, v[6:9], s[2:3] offset:32 th:TH_ATOMIC_RETURN scope:SCOPE_SYS
	s_wait_loadcnt 0x0
	v_cmp_eq_u64_e32 vcc_lo, v[6:7], v[8:9]
	v_dual_mov_b32 v9, v7 :: v_dual_mov_b32 v8, v6
	s_wait_alu 0xfffe
	s_or_b32 s19, vcc_lo, s19
	s_wait_alu 0xfffe
	s_and_not1_b32 exec_lo, exec_lo, s19
	s_cbranch_execnz .LBB6_1216
.LBB6_1217:                             ;   in Loop: Header=BB6_1156 Depth=1
	s_wait_alu 0xfffe
	s_or_b32 exec_lo, exec_lo, s18
	global_load_b64 v[6:7], v10, s[2:3] offset:16
	s_mov_b32 s19, exec_lo
	s_mov_b32 s18, exec_lo
	s_wait_alu 0xfffe
	v_mbcnt_lo_u32_b32 v8, s19, 0
	s_delay_alu instid0(VALU_DEP_1)
	v_cmpx_eq_u32_e32 0, v8
	s_cbranch_execz .LBB6_1219
; %bb.1218:                             ;   in Loop: Header=BB6_1156 Depth=1
	s_bcnt1_i32_b32 s19, s19
	s_wait_alu 0xfffe
	v_mov_b32_e32 v9, s19
	global_wb scope:SCOPE_SYS
	s_wait_loadcnt 0x0
	global_atomic_add_u64 v[6:7], v[9:10], off offset:8 scope:SCOPE_SYS
.LBB6_1219:                             ;   in Loop: Header=BB6_1156 Depth=1
	s_or_b32 exec_lo, exec_lo, s18
	s_wait_loadcnt 0x0
	global_load_b64 v[13:14], v[6:7], off offset:16
	s_wait_loadcnt 0x0
	v_cmp_eq_u64_e32 vcc_lo, 0, v[13:14]
	s_cbranch_vccnz .LBB6_1221
; %bb.1220:                             ;   in Loop: Header=BB6_1156 Depth=1
	global_load_b32 v9, v[6:7], off offset:24
	s_wait_loadcnt 0x0
	v_and_b32_e32 v6, 0xffffff, v9
	global_wb scope:SCOPE_SYS
	s_wait_storecnt 0x0
	global_store_b64 v[13:14], v[9:10], off scope:SCOPE_SYS
	v_readfirstlane_b32 m0, v6
	s_sendmsg sendmsg(MSG_INTERRUPT)
.LBB6_1221:                             ;   in Loop: Header=BB6_1156 Depth=1
	s_wait_alu 0xfffe
	s_or_b32 exec_lo, exec_lo, s17
	v_add_co_u32 v6, vcc_lo, v31, v34
	s_wait_alu 0xfffd
	v_add_co_ci_u32_e32 v7, vcc_lo, 0, v32, vcc_lo
	s_branch .LBB6_1225
.LBB6_1222:                             ;   in Loop: Header=BB6_1225 Depth=2
	s_wait_alu 0xfffe
	s_or_b32 exec_lo, exec_lo, s17
	s_delay_alu instid0(VALU_DEP_1) | instskip(NEXT) | instid1(VALU_DEP_1)
	v_readfirstlane_b32 s17, v8
	s_cmp_eq_u32 s17, 0
	s_cbranch_scc1 .LBB6_1224
; %bb.1223:                             ;   in Loop: Header=BB6_1225 Depth=2
	s_sleep 1
	s_cbranch_execnz .LBB6_1225
	s_branch .LBB6_1227
.LBB6_1224:                             ;   in Loop: Header=BB6_1156 Depth=1
	s_branch .LBB6_1227
.LBB6_1225:                             ;   Parent Loop BB6_1156 Depth=1
                                        ; =>  This Inner Loop Header: Depth=2
	v_mov_b32_e32 v8, 1
	s_and_saveexec_b32 s17, s0
	s_cbranch_execz .LBB6_1222
; %bb.1226:                             ;   in Loop: Header=BB6_1225 Depth=2
	global_load_b32 v8, v[2:3], off offset:20 scope:SCOPE_SYS
	s_wait_loadcnt 0x0
	global_inv scope:SCOPE_SYS
	v_and_b32_e32 v8, 1, v8
	s_branch .LBB6_1222
.LBB6_1227:                             ;   in Loop: Header=BB6_1156 Depth=1
	global_load_b128 v[6:9], v[6:7], off
	s_and_saveexec_b32 s17, s0
	s_cbranch_execz .LBB6_1155
; %bb.1228:                             ;   in Loop: Header=BB6_1156 Depth=1
	s_clause 0x2
	global_load_b64 v[2:3], v10, s[2:3] offset:40
	global_load_b64 v[8:9], v10, s[2:3] offset:24 scope:SCOPE_SYS
	global_load_b64 v[15:16], v10, s[2:3]
	s_wait_loadcnt 0x2
	v_add_co_u32 v17, vcc_lo, v2, 1
	s_wait_alu 0xfffd
	v_add_co_ci_u32_e32 v18, vcc_lo, 0, v3, vcc_lo
	s_delay_alu instid0(VALU_DEP_2) | instskip(SKIP_1) | instid1(VALU_DEP_2)
	v_add_co_u32 v13, vcc_lo, v17, s16
	s_wait_alu 0xfffd
	v_add_co_ci_u32_e32 v14, vcc_lo, s1, v18, vcc_lo
	s_delay_alu instid0(VALU_DEP_1) | instskip(SKIP_2) | instid1(VALU_DEP_1)
	v_cmp_eq_u64_e32 vcc_lo, 0, v[13:14]
	s_wait_alu 0xfffd
	v_dual_cndmask_b32 v14, v14, v18 :: v_dual_cndmask_b32 v13, v13, v17
	v_and_b32_e32 v3, v14, v3
	s_delay_alu instid0(VALU_DEP_2) | instskip(NEXT) | instid1(VALU_DEP_2)
	v_and_b32_e32 v2, v13, v2
	v_mul_lo_u32 v3, 24, v3
	s_delay_alu instid0(VALU_DEP_2) | instskip(SKIP_2) | instid1(VALU_DEP_3)
	v_mul_lo_u32 v17, 0, v2
	v_mul_hi_u32 v18, 24, v2
	v_mul_lo_u32 v2, 24, v2
	v_add_nc_u32_e32 v3, v3, v17
	s_wait_loadcnt 0x0
	s_delay_alu instid0(VALU_DEP_2) | instskip(SKIP_1) | instid1(VALU_DEP_3)
	v_add_co_u32 v2, vcc_lo, v15, v2
	v_mov_b32_e32 v15, v8
	v_add_nc_u32_e32 v3, v3, v18
	s_wait_alu 0xfffd
	s_delay_alu instid0(VALU_DEP_1)
	v_add_co_ci_u32_e32 v3, vcc_lo, v16, v3, vcc_lo
	v_mov_b32_e32 v16, v9
	global_store_b64 v[2:3], v[8:9], off
	global_wb scope:SCOPE_SYS
	s_wait_storecnt 0x0
	global_atomic_cmpswap_b64 v[15:16], v10, v[13:16], s[2:3] offset:24 th:TH_ATOMIC_RETURN scope:SCOPE_SYS
	s_wait_loadcnt 0x0
	v_cmp_ne_u64_e32 vcc_lo, v[15:16], v[8:9]
	s_and_b32 exec_lo, exec_lo, vcc_lo
	s_cbranch_execz .LBB6_1155
; %bb.1229:                             ;   in Loop: Header=BB6_1156 Depth=1
	s_mov_b32 s0, 0
.LBB6_1230:                             ;   Parent Loop BB6_1156 Depth=1
                                        ; =>  This Inner Loop Header: Depth=2
	s_sleep 1
	global_store_b64 v[2:3], v[15:16], off
	global_wb scope:SCOPE_SYS
	s_wait_storecnt 0x0
	global_atomic_cmpswap_b64 v[8:9], v10, v[13:16], s[2:3] offset:24 th:TH_ATOMIC_RETURN scope:SCOPE_SYS
	s_wait_loadcnt 0x0
	v_cmp_eq_u64_e32 vcc_lo, v[8:9], v[15:16]
	v_dual_mov_b32 v16, v9 :: v_dual_mov_b32 v15, v8
	s_wait_alu 0xfffe
	s_or_b32 s0, vcc_lo, s0
	s_wait_alu 0xfffe
	s_and_not1_b32 exec_lo, exec_lo, s0
	s_cbranch_execnz .LBB6_1230
	s_branch .LBB6_1155
.LBB6_1231:
	s_branch .LBB6_1260
.LBB6_1232:
                                        ; implicit-def: $vgpr6_vgpr7
	s_cbranch_execz .LBB6_1260
; %bb.1233:
	v_readfirstlane_b32 s0, v35
	v_mov_b32_e32 v10, 0
	v_mov_b32_e32 v11, 0
	s_wait_alu 0xf1ff
	s_delay_alu instid0(VALU_DEP_3) | instskip(NEXT) | instid1(VALU_DEP_1)
	v_cmp_eq_u32_e64 s0, s0, v35
	s_and_saveexec_b32 s1, s0
	s_cbranch_execz .LBB6_1239
; %bb.1234:
	v_mov_b32_e32 v2, 0
	s_mov_b32 s4, exec_lo
	global_load_b64 v[8:9], v2, s[2:3] offset:24 scope:SCOPE_SYS
	s_wait_loadcnt 0x0
	global_inv scope:SCOPE_SYS
	s_clause 0x1
	global_load_b64 v[6:7], v2, s[2:3] offset:40
	global_load_b64 v[10:11], v2, s[2:3]
	s_wait_loadcnt 0x1
	v_and_b32_e32 v3, v7, v9
	v_and_b32_e32 v6, v6, v8
	s_delay_alu instid0(VALU_DEP_2) | instskip(NEXT) | instid1(VALU_DEP_2)
	v_mul_lo_u32 v3, 24, v3
	v_mul_lo_u32 v7, 0, v6
	v_mul_hi_u32 v12, 24, v6
	v_mul_lo_u32 v6, 24, v6
	s_delay_alu instid0(VALU_DEP_3) | instskip(SKIP_1) | instid1(VALU_DEP_2)
	v_add_nc_u32_e32 v3, v3, v7
	s_wait_loadcnt 0x0
	v_add_co_u32 v6, vcc_lo, v10, v6
	s_delay_alu instid0(VALU_DEP_2) | instskip(SKIP_1) | instid1(VALU_DEP_1)
	v_add_nc_u32_e32 v3, v3, v12
	s_wait_alu 0xfffd
	v_add_co_ci_u32_e32 v7, vcc_lo, v11, v3, vcc_lo
	global_load_b64 v[6:7], v[6:7], off scope:SCOPE_SYS
	s_wait_loadcnt 0x0
	global_atomic_cmpswap_b64 v[10:11], v2, v[6:9], s[2:3] offset:24 th:TH_ATOMIC_RETURN scope:SCOPE_SYS
	s_wait_loadcnt 0x0
	global_inv scope:SCOPE_SYS
	v_cmpx_ne_u64_e64 v[10:11], v[8:9]
	s_cbranch_execz .LBB6_1238
; %bb.1235:
	s_mov_b32 s5, 0
.LBB6_1236:                             ; =>This Inner Loop Header: Depth=1
	s_sleep 1
	s_clause 0x1
	global_load_b64 v[6:7], v2, s[2:3] offset:40
	global_load_b64 v[12:13], v2, s[2:3]
	v_dual_mov_b32 v8, v10 :: v_dual_mov_b32 v9, v11
	s_wait_loadcnt 0x1
	s_delay_alu instid0(VALU_DEP_1) | instskip(NEXT) | instid1(VALU_DEP_2)
	v_and_b32_e32 v3, v6, v8
	v_and_b32_e32 v6, v7, v9
	s_wait_loadcnt 0x0
	s_delay_alu instid0(VALU_DEP_2) | instskip(NEXT) | instid1(VALU_DEP_1)
	v_mad_co_u64_u32 v[10:11], null, v3, 24, v[12:13]
	v_mov_b32_e32 v3, v11
	s_delay_alu instid0(VALU_DEP_1) | instskip(NEXT) | instid1(VALU_DEP_1)
	v_mad_co_u64_u32 v[6:7], null, v6, 24, v[3:4]
	v_mov_b32_e32 v11, v6
	global_load_b64 v[6:7], v[10:11], off scope:SCOPE_SYS
	s_wait_loadcnt 0x0
	global_atomic_cmpswap_b64 v[10:11], v2, v[6:9], s[2:3] offset:24 th:TH_ATOMIC_RETURN scope:SCOPE_SYS
	s_wait_loadcnt 0x0
	global_inv scope:SCOPE_SYS
	v_cmp_eq_u64_e32 vcc_lo, v[10:11], v[8:9]
	s_wait_alu 0xfffe
	s_or_b32 s5, vcc_lo, s5
	s_wait_alu 0xfffe
	s_and_not1_b32 exec_lo, exec_lo, s5
	s_cbranch_execnz .LBB6_1236
; %bb.1237:
	s_or_b32 exec_lo, exec_lo, s5
.LBB6_1238:
	s_wait_alu 0xfffe
	s_or_b32 exec_lo, exec_lo, s4
.LBB6_1239:
	s_wait_alu 0xfffe
	s_or_b32 exec_lo, exec_lo, s1
	v_readfirstlane_b32 s1, v11
	v_mov_b32_e32 v2, 0
	v_readfirstlane_b32 s4, v10
	s_mov_b32 s5, exec_lo
	s_clause 0x1
	global_load_b64 v[12:13], v2, s[2:3] offset:40
	global_load_b128 v[6:9], v2, s[2:3]
	s_wait_loadcnt 0x1
	s_wait_alu 0xf1ff
	v_and_b32_e32 v13, s1, v13
	v_and_b32_e32 v12, s4, v12
	s_delay_alu instid0(VALU_DEP_2) | instskip(NEXT) | instid1(VALU_DEP_2)
	v_mul_lo_u32 v3, 24, v13
	v_mul_lo_u32 v10, 0, v12
	v_mul_hi_u32 v11, 24, v12
	v_mul_lo_u32 v14, 24, v12
	s_delay_alu instid0(VALU_DEP_3) | instskip(SKIP_1) | instid1(VALU_DEP_2)
	v_add_nc_u32_e32 v3, v3, v10
	s_wait_loadcnt 0x0
	v_add_co_u32 v10, vcc_lo, v6, v14
	s_delay_alu instid0(VALU_DEP_2) | instskip(SKIP_1) | instid1(VALU_DEP_1)
	v_add_nc_u32_e32 v3, v3, v11
	s_wait_alu 0xfffd
	v_add_co_ci_u32_e32 v11, vcc_lo, v7, v3, vcc_lo
	s_and_saveexec_b32 s6, s0
	s_cbranch_execz .LBB6_1241
; %bb.1240:
	s_wait_alu 0xfffe
	v_dual_mov_b32 v14, s5 :: v_dual_mov_b32 v15, v2
	v_dual_mov_b32 v16, 2 :: v_dual_mov_b32 v17, 1
	global_store_b128 v[10:11], v[14:17], off offset:8
.LBB6_1241:
	s_wait_alu 0xfffe
	s_or_b32 exec_lo, exec_lo, s6
	v_lshlrev_b64_e32 v[12:13], 12, v[12:13]
	s_mov_b32 s16, 0
	v_and_or_b32 v0, 0xffffff1f, v0, 32
	s_wait_alu 0xfffe
	s_mov_b32 s17, s16
	s_mov_b32 s18, s16
	;; [unrolled: 1-line block ×3, first 2 shown]
	v_add_co_u32 v8, vcc_lo, v8, v12
	s_wait_alu 0xfffd
	v_add_co_ci_u32_e32 v9, vcc_lo, v9, v13, vcc_lo
	v_dual_mov_b32 v3, v2 :: v_dual_mov_b32 v12, s16
	s_delay_alu instid0(VALU_DEP_3) | instskip(SKIP_1) | instid1(VALU_DEP_4)
	v_readfirstlane_b32 s6, v8
	v_add_co_u32 v8, vcc_lo, v8, v34
	v_readfirstlane_b32 s7, v9
	s_wait_alu 0xfffd
	v_add_co_ci_u32_e32 v9, vcc_lo, 0, v9, vcc_lo
	s_wait_alu 0xfffe
	v_dual_mov_b32 v13, s17 :: v_dual_mov_b32 v14, s18
	v_mov_b32_e32 v15, s19
	s_clause 0x3
	global_store_b128 v34, v[0:3], s[6:7]
	global_store_b128 v34, v[12:15], s[6:7] offset:16
	global_store_b128 v34, v[12:15], s[6:7] offset:32
	;; [unrolled: 1-line block ×3, first 2 shown]
	s_and_saveexec_b32 s5, s0
	s_cbranch_execz .LBB6_1249
; %bb.1242:
	v_mov_b32_e32 v12, 0
	s_mov_b32 s6, exec_lo
	s_clause 0x1
	global_load_b64 v[15:16], v12, s[2:3] offset:32 scope:SCOPE_SYS
	global_load_b64 v[0:1], v12, s[2:3] offset:40
	v_dual_mov_b32 v13, s4 :: v_dual_mov_b32 v14, s1
	s_wait_loadcnt 0x0
	v_and_b32_e32 v1, s1, v1
	v_and_b32_e32 v0, s4, v0
	s_delay_alu instid0(VALU_DEP_2) | instskip(NEXT) | instid1(VALU_DEP_2)
	v_mul_lo_u32 v1, 24, v1
	v_mul_lo_u32 v2, 0, v0
	v_mul_hi_u32 v3, 24, v0
	v_mul_lo_u32 v0, 24, v0
	s_delay_alu instid0(VALU_DEP_3) | instskip(NEXT) | instid1(VALU_DEP_2)
	v_add_nc_u32_e32 v1, v1, v2
	v_add_co_u32 v6, vcc_lo, v6, v0
	s_delay_alu instid0(VALU_DEP_2) | instskip(SKIP_1) | instid1(VALU_DEP_1)
	v_add_nc_u32_e32 v1, v1, v3
	s_wait_alu 0xfffd
	v_add_co_ci_u32_e32 v7, vcc_lo, v7, v1, vcc_lo
	global_store_b64 v[6:7], v[15:16], off
	global_wb scope:SCOPE_SYS
	s_wait_storecnt 0x0
	global_atomic_cmpswap_b64 v[2:3], v12, v[13:16], s[2:3] offset:32 th:TH_ATOMIC_RETURN scope:SCOPE_SYS
	s_wait_loadcnt 0x0
	v_cmpx_ne_u64_e64 v[2:3], v[15:16]
	s_cbranch_execz .LBB6_1245
; %bb.1243:
	s_mov_b32 s7, 0
.LBB6_1244:                             ; =>This Inner Loop Header: Depth=1
	v_dual_mov_b32 v0, s4 :: v_dual_mov_b32 v1, s1
	s_sleep 1
	global_store_b64 v[6:7], v[2:3], off
	global_wb scope:SCOPE_SYS
	s_wait_storecnt 0x0
	global_atomic_cmpswap_b64 v[0:1], v12, v[0:3], s[2:3] offset:32 th:TH_ATOMIC_RETURN scope:SCOPE_SYS
	s_wait_loadcnt 0x0
	v_cmp_eq_u64_e32 vcc_lo, v[0:1], v[2:3]
	v_dual_mov_b32 v3, v1 :: v_dual_mov_b32 v2, v0
	s_wait_alu 0xfffe
	s_or_b32 s7, vcc_lo, s7
	s_wait_alu 0xfffe
	s_and_not1_b32 exec_lo, exec_lo, s7
	s_cbranch_execnz .LBB6_1244
.LBB6_1245:
	s_wait_alu 0xfffe
	s_or_b32 exec_lo, exec_lo, s6
	v_mov_b32_e32 v3, 0
	s_mov_b32 s7, exec_lo
	s_mov_b32 s6, exec_lo
	s_wait_alu 0xfffe
	v_mbcnt_lo_u32_b32 v2, s7, 0
	global_load_b64 v[0:1], v3, s[2:3] offset:16
	v_cmpx_eq_u32_e32 0, v2
	s_cbranch_execz .LBB6_1247
; %bb.1246:
	s_bcnt1_i32_b32 s7, s7
	s_wait_alu 0xfffe
	v_mov_b32_e32 v2, s7
	global_wb scope:SCOPE_SYS
	s_wait_loadcnt 0x0
	global_atomic_add_u64 v[0:1], v[2:3], off offset:8 scope:SCOPE_SYS
.LBB6_1247:
	s_or_b32 exec_lo, exec_lo, s6
	s_wait_loadcnt 0x0
	global_load_b64 v[2:3], v[0:1], off offset:16
	s_wait_loadcnt 0x0
	v_cmp_eq_u64_e32 vcc_lo, 0, v[2:3]
	s_cbranch_vccnz .LBB6_1249
; %bb.1248:
	global_load_b32 v0, v[0:1], off offset:24
	s_wait_loadcnt 0x0
	v_dual_mov_b32 v1, 0 :: v_dual_and_b32 v6, 0xffffff, v0
	global_wb scope:SCOPE_SYS
	s_wait_storecnt 0x0
	global_store_b64 v[2:3], v[0:1], off scope:SCOPE_SYS
	v_readfirstlane_b32 m0, v6
	s_sendmsg sendmsg(MSG_INTERRUPT)
.LBB6_1249:
	s_wait_alu 0xfffe
	s_or_b32 exec_lo, exec_lo, s5
	s_branch .LBB6_1253
.LBB6_1250:                             ;   in Loop: Header=BB6_1253 Depth=1
	s_wait_alu 0xfffe
	s_or_b32 exec_lo, exec_lo, s5
	s_delay_alu instid0(VALU_DEP_1) | instskip(NEXT) | instid1(VALU_DEP_1)
	v_readfirstlane_b32 s5, v0
	s_cmp_eq_u32 s5, 0
	s_cbranch_scc1 .LBB6_1252
; %bb.1251:                             ;   in Loop: Header=BB6_1253 Depth=1
	s_sleep 1
	s_cbranch_execnz .LBB6_1253
	s_branch .LBB6_1255
.LBB6_1252:
	s_branch .LBB6_1255
.LBB6_1253:                             ; =>This Inner Loop Header: Depth=1
	v_mov_b32_e32 v0, 1
	s_and_saveexec_b32 s5, s0
	s_cbranch_execz .LBB6_1250
; %bb.1254:                             ;   in Loop: Header=BB6_1253 Depth=1
	global_load_b32 v0, v[10:11], off offset:20 scope:SCOPE_SYS
	s_wait_loadcnt 0x0
	global_inv scope:SCOPE_SYS
	v_and_b32_e32 v0, 1, v0
	s_branch .LBB6_1250
.LBB6_1255:
	global_load_b64 v[6:7], v[8:9], off
	s_and_saveexec_b32 s5, s0
	s_cbranch_execz .LBB6_1259
; %bb.1256:
	v_mov_b32_e32 v10, 0
	s_clause 0x2
	global_load_b64 v[2:3], v10, s[2:3] offset:40
	global_load_b64 v[11:12], v10, s[2:3] offset:24 scope:SCOPE_SYS
	global_load_b64 v[8:9], v10, s[2:3]
	s_wait_loadcnt 0x2
	v_add_co_u32 v13, vcc_lo, v2, 1
	s_wait_alu 0xfffd
	v_add_co_ci_u32_e32 v14, vcc_lo, 0, v3, vcc_lo
	s_delay_alu instid0(VALU_DEP_2) | instskip(SKIP_1) | instid1(VALU_DEP_2)
	v_add_co_u32 v0, vcc_lo, v13, s4
	s_wait_alu 0xfffd
	v_add_co_ci_u32_e32 v1, vcc_lo, s1, v14, vcc_lo
	s_delay_alu instid0(VALU_DEP_1) | instskip(SKIP_2) | instid1(VALU_DEP_1)
	v_cmp_eq_u64_e32 vcc_lo, 0, v[0:1]
	s_wait_alu 0xfffd
	v_dual_cndmask_b32 v1, v1, v14 :: v_dual_cndmask_b32 v0, v0, v13
	v_and_b32_e32 v3, v1, v3
	s_delay_alu instid0(VALU_DEP_2) | instskip(NEXT) | instid1(VALU_DEP_2)
	v_and_b32_e32 v2, v0, v2
	v_mul_lo_u32 v3, 24, v3
	s_delay_alu instid0(VALU_DEP_2) | instskip(SKIP_2) | instid1(VALU_DEP_3)
	v_mul_lo_u32 v13, 0, v2
	v_mul_hi_u32 v14, 24, v2
	v_mul_lo_u32 v2, 24, v2
	v_add_nc_u32_e32 v3, v3, v13
	s_wait_loadcnt 0x0
	s_delay_alu instid0(VALU_DEP_2) | instskip(SKIP_1) | instid1(VALU_DEP_3)
	v_add_co_u32 v8, vcc_lo, v8, v2
	v_mov_b32_e32 v2, v11
	v_add_nc_u32_e32 v3, v3, v14
	s_wait_alu 0xfffd
	s_delay_alu instid0(VALU_DEP_1)
	v_add_co_ci_u32_e32 v9, vcc_lo, v9, v3, vcc_lo
	v_mov_b32_e32 v3, v12
	global_store_b64 v[8:9], v[11:12], off
	global_wb scope:SCOPE_SYS
	s_wait_storecnt 0x0
	global_atomic_cmpswap_b64 v[2:3], v10, v[0:3], s[2:3] offset:24 th:TH_ATOMIC_RETURN scope:SCOPE_SYS
	s_wait_loadcnt 0x0
	v_cmp_ne_u64_e32 vcc_lo, v[2:3], v[11:12]
	s_and_b32 exec_lo, exec_lo, vcc_lo
	s_cbranch_execz .LBB6_1259
; %bb.1257:
	s_mov_b32 s0, 0
.LBB6_1258:                             ; =>This Inner Loop Header: Depth=1
	s_sleep 1
	global_store_b64 v[8:9], v[2:3], off
	global_wb scope:SCOPE_SYS
	s_wait_storecnt 0x0
	global_atomic_cmpswap_b64 v[11:12], v10, v[0:3], s[2:3] offset:24 th:TH_ATOMIC_RETURN scope:SCOPE_SYS
	s_wait_loadcnt 0x0
	v_cmp_eq_u64_e32 vcc_lo, v[11:12], v[2:3]
	v_dual_mov_b32 v2, v11 :: v_dual_mov_b32 v3, v12
	s_wait_alu 0xfffe
	s_or_b32 s0, vcc_lo, s0
	s_wait_alu 0xfffe
	s_and_not1_b32 exec_lo, exec_lo, s0
	s_cbranch_execnz .LBB6_1258
.LBB6_1259:
	s_wait_alu 0xfffe
	s_or_b32 exec_lo, exec_lo, s5
.LBB6_1260:
	v_readfirstlane_b32 s0, v35
	v_mov_b32_e32 v10, 0
	v_mov_b32_e32 v11, 0
	s_wait_alu 0xf1ff
	s_delay_alu instid0(VALU_DEP_3) | instskip(NEXT) | instid1(VALU_DEP_1)
	v_cmp_eq_u32_e64 s0, s0, v35
	s_and_saveexec_b32 s1, s0
	s_cbranch_execz .LBB6_1266
; %bb.1261:
	s_wait_loadcnt 0x0
	v_mov_b32_e32 v0, 0
	s_mov_b32 s4, exec_lo
	global_load_b64 v[12:13], v0, s[2:3] offset:24 scope:SCOPE_SYS
	s_wait_loadcnt 0x0
	global_inv scope:SCOPE_SYS
	s_clause 0x1
	global_load_b64 v[1:2], v0, s[2:3] offset:40
	global_load_b64 v[8:9], v0, s[2:3]
	s_wait_loadcnt 0x1
	v_and_b32_e32 v1, v1, v12
	v_and_b32_e32 v2, v2, v13
	s_delay_alu instid0(VALU_DEP_2) | instskip(NEXT) | instid1(VALU_DEP_2)
	v_mul_lo_u32 v3, 0, v1
	v_mul_lo_u32 v2, 24, v2
	v_mul_hi_u32 v10, 24, v1
	v_mul_lo_u32 v1, 24, v1
	s_delay_alu instid0(VALU_DEP_3) | instskip(SKIP_1) | instid1(VALU_DEP_2)
	v_add_nc_u32_e32 v2, v2, v3
	s_wait_loadcnt 0x0
	v_add_co_u32 v1, vcc_lo, v8, v1
	s_delay_alu instid0(VALU_DEP_2) | instskip(SKIP_1) | instid1(VALU_DEP_1)
	v_add_nc_u32_e32 v2, v2, v10
	s_wait_alu 0xfffd
	v_add_co_ci_u32_e32 v2, vcc_lo, v9, v2, vcc_lo
	global_load_b64 v[10:11], v[1:2], off scope:SCOPE_SYS
	s_wait_loadcnt 0x0
	global_atomic_cmpswap_b64 v[10:11], v0, v[10:13], s[2:3] offset:24 th:TH_ATOMIC_RETURN scope:SCOPE_SYS
	s_wait_loadcnt 0x0
	global_inv scope:SCOPE_SYS
	v_cmpx_ne_u64_e64 v[10:11], v[12:13]
	s_cbranch_execz .LBB6_1265
; %bb.1262:
	s_mov_b32 s5, 0
.LBB6_1263:                             ; =>This Inner Loop Header: Depth=1
	s_sleep 1
	s_clause 0x1
	global_load_b64 v[1:2], v0, s[2:3] offset:40
	global_load_b64 v[8:9], v0, s[2:3]
	v_dual_mov_b32 v13, v11 :: v_dual_mov_b32 v12, v10
	s_wait_loadcnt 0x1
	s_delay_alu instid0(VALU_DEP_1) | instskip(SKIP_1) | instid1(VALU_DEP_1)
	v_and_b32_e32 v1, v1, v12
	s_wait_loadcnt 0x0
	v_mad_co_u64_u32 v[8:9], null, v1, 24, v[8:9]
	s_delay_alu instid0(VALU_DEP_1) | instskip(NEXT) | instid1(VALU_DEP_1)
	v_dual_mov_b32 v1, v9 :: v_dual_and_b32 v2, v2, v13
	v_mad_co_u64_u32 v[1:2], null, v2, 24, v[1:2]
	s_delay_alu instid0(VALU_DEP_1)
	v_mov_b32_e32 v9, v1
	global_load_b64 v[10:11], v[8:9], off scope:SCOPE_SYS
	s_wait_loadcnt 0x0
	global_atomic_cmpswap_b64 v[10:11], v0, v[10:13], s[2:3] offset:24 th:TH_ATOMIC_RETURN scope:SCOPE_SYS
	s_wait_loadcnt 0x0
	global_inv scope:SCOPE_SYS
	v_cmp_eq_u64_e32 vcc_lo, v[10:11], v[12:13]
	s_wait_alu 0xfffe
	s_or_b32 s5, vcc_lo, s5
	s_wait_alu 0xfffe
	s_and_not1_b32 exec_lo, exec_lo, s5
	s_cbranch_execnz .LBB6_1263
; %bb.1264:
	s_or_b32 exec_lo, exec_lo, s5
.LBB6_1265:
	s_wait_alu 0xfffe
	s_or_b32 exec_lo, exec_lo, s4
.LBB6_1266:
	s_wait_alu 0xfffe
	s_or_b32 exec_lo, exec_lo, s1
	v_readfirstlane_b32 s4, v10
	s_wait_loadcnt 0x0
	v_mov_b32_e32 v9, 0
	v_readfirstlane_b32 s1, v11
	s_mov_b32 s5, exec_lo
	s_clause 0x1
	global_load_b64 v[12:13], v9, s[2:3] offset:40
	global_load_b128 v[0:3], v9, s[2:3]
	s_wait_loadcnt 0x1
	s_wait_alu 0xf1ff
	v_and_b32_e32 v12, s4, v12
	v_and_b32_e32 v13, s1, v13
	s_delay_alu instid0(VALU_DEP_2) | instskip(NEXT) | instid1(VALU_DEP_2)
	v_mul_lo_u32 v10, 0, v12
	v_mul_lo_u32 v8, 24, v13
	v_mul_hi_u32 v11, 24, v12
	v_mul_lo_u32 v14, 24, v12
	s_delay_alu instid0(VALU_DEP_3) | instskip(SKIP_1) | instid1(VALU_DEP_2)
	v_add_nc_u32_e32 v8, v8, v10
	s_wait_loadcnt 0x0
	v_add_co_u32 v10, vcc_lo, v0, v14
	s_delay_alu instid0(VALU_DEP_2) | instskip(SKIP_1) | instid1(VALU_DEP_1)
	v_add_nc_u32_e32 v8, v8, v11
	s_wait_alu 0xfffd
	v_add_co_ci_u32_e32 v11, vcc_lo, v1, v8, vcc_lo
	s_and_saveexec_b32 s6, s0
	s_cbranch_execz .LBB6_1268
; %bb.1267:
	s_wait_alu 0xfffe
	v_dual_mov_b32 v8, s5 :: v_dual_mov_b32 v17, 1
	v_dual_mov_b32 v16, 2 :: v_dual_mov_b32 v15, v9
	s_delay_alu instid0(VALU_DEP_2)
	v_mov_b32_e32 v14, v8
	global_store_b128 v[10:11], v[14:17], off offset:8
.LBB6_1268:
	s_wait_alu 0xfffe
	s_or_b32 exec_lo, exec_lo, s6
	v_lshlrev_b64_e32 v[12:13], 12, v[12:13]
	s_mov_b32 s16, 0
	v_and_or_b32 v6, 0xffffff1d, v6, 34
	s_wait_alu 0xfffe
	s_mov_b32 s17, s16
	s_mov_b32 s18, s16
	;; [unrolled: 1-line block ×3, first 2 shown]
	v_add_co_u32 v2, vcc_lo, v2, v12
	s_wait_alu 0xfffd
	v_add_co_ci_u32_e32 v3, vcc_lo, v3, v13, vcc_lo
	v_mov_b32_e32 v8, 10
	s_delay_alu instid0(VALU_DEP_3)
	v_readfirstlane_b32 s6, v2
	s_wait_alu 0xfffe
	v_dual_mov_b32 v12, s16 :: v_dual_mov_b32 v15, s19
	v_readfirstlane_b32 s7, v3
	v_dual_mov_b32 v13, s17 :: v_dual_mov_b32 v14, s18
	s_clause 0x3
	global_store_b128 v34, v[6:9], s[6:7]
	global_store_b128 v34, v[12:15], s[6:7] offset:16
	global_store_b128 v34, v[12:15], s[6:7] offset:32
	;; [unrolled: 1-line block ×3, first 2 shown]
	s_and_saveexec_b32 s5, s0
	s_cbranch_execz .LBB6_1276
; %bb.1269:
	v_mov_b32_e32 v8, 0
	s_mov_b32 s6, exec_lo
	s_clause 0x1
	global_load_b64 v[14:15], v8, s[2:3] offset:32 scope:SCOPE_SYS
	global_load_b64 v[2:3], v8, s[2:3] offset:40
	v_dual_mov_b32 v13, s1 :: v_dual_mov_b32 v12, s4
	s_wait_loadcnt 0x0
	v_and_b32_e32 v3, s1, v3
	v_and_b32_e32 v2, s4, v2
	s_delay_alu instid0(VALU_DEP_2) | instskip(NEXT) | instid1(VALU_DEP_2)
	v_mul_lo_u32 v3, 24, v3
	v_mul_lo_u32 v6, 0, v2
	v_mul_hi_u32 v7, 24, v2
	v_mul_lo_u32 v2, 24, v2
	s_delay_alu instid0(VALU_DEP_3) | instskip(NEXT) | instid1(VALU_DEP_2)
	v_add_nc_u32_e32 v3, v3, v6
	v_add_co_u32 v6, vcc_lo, v0, v2
	s_delay_alu instid0(VALU_DEP_2) | instskip(SKIP_1) | instid1(VALU_DEP_1)
	v_add_nc_u32_e32 v3, v3, v7
	s_wait_alu 0xfffd
	v_add_co_ci_u32_e32 v7, vcc_lo, v1, v3, vcc_lo
	global_store_b64 v[6:7], v[14:15], off
	global_wb scope:SCOPE_SYS
	s_wait_storecnt 0x0
	global_atomic_cmpswap_b64 v[2:3], v8, v[12:15], s[2:3] offset:32 th:TH_ATOMIC_RETURN scope:SCOPE_SYS
	s_wait_loadcnt 0x0
	v_cmpx_ne_u64_e64 v[2:3], v[14:15]
	s_cbranch_execz .LBB6_1272
; %bb.1270:
	s_mov_b32 s7, 0
.LBB6_1271:                             ; =>This Inner Loop Header: Depth=1
	v_dual_mov_b32 v0, s4 :: v_dual_mov_b32 v1, s1
	s_sleep 1
	global_store_b64 v[6:7], v[2:3], off
	global_wb scope:SCOPE_SYS
	s_wait_storecnt 0x0
	global_atomic_cmpswap_b64 v[0:1], v8, v[0:3], s[2:3] offset:32 th:TH_ATOMIC_RETURN scope:SCOPE_SYS
	s_wait_loadcnt 0x0
	v_cmp_eq_u64_e32 vcc_lo, v[0:1], v[2:3]
	v_dual_mov_b32 v3, v1 :: v_dual_mov_b32 v2, v0
	s_wait_alu 0xfffe
	s_or_b32 s7, vcc_lo, s7
	s_wait_alu 0xfffe
	s_and_not1_b32 exec_lo, exec_lo, s7
	s_cbranch_execnz .LBB6_1271
.LBB6_1272:
	s_wait_alu 0xfffe
	s_or_b32 exec_lo, exec_lo, s6
	v_mov_b32_e32 v3, 0
	s_mov_b32 s7, exec_lo
	s_mov_b32 s6, exec_lo
	s_wait_alu 0xfffe
	v_mbcnt_lo_u32_b32 v2, s7, 0
	global_load_b64 v[0:1], v3, s[2:3] offset:16
	v_cmpx_eq_u32_e32 0, v2
	s_cbranch_execz .LBB6_1274
; %bb.1273:
	s_bcnt1_i32_b32 s7, s7
	s_wait_alu 0xfffe
	v_mov_b32_e32 v2, s7
	global_wb scope:SCOPE_SYS
	s_wait_loadcnt 0x0
	global_atomic_add_u64 v[0:1], v[2:3], off offset:8 scope:SCOPE_SYS
.LBB6_1274:
	s_or_b32 exec_lo, exec_lo, s6
	s_wait_loadcnt 0x0
	global_load_b64 v[2:3], v[0:1], off offset:16
	s_wait_loadcnt 0x0
	v_cmp_eq_u64_e32 vcc_lo, 0, v[2:3]
	s_cbranch_vccnz .LBB6_1276
; %bb.1275:
	global_load_b32 v0, v[0:1], off offset:24
	s_wait_loadcnt 0x0
	v_dual_mov_b32 v1, 0 :: v_dual_and_b32 v6, 0xffffff, v0
	global_wb scope:SCOPE_SYS
	s_wait_storecnt 0x0
	global_store_b64 v[2:3], v[0:1], off scope:SCOPE_SYS
	v_readfirstlane_b32 m0, v6
	s_sendmsg sendmsg(MSG_INTERRUPT)
.LBB6_1276:
	s_wait_alu 0xfffe
	s_or_b32 exec_lo, exec_lo, s5
	s_branch .LBB6_1280
.LBB6_1277:                             ;   in Loop: Header=BB6_1280 Depth=1
	s_wait_alu 0xfffe
	s_or_b32 exec_lo, exec_lo, s5
	s_delay_alu instid0(VALU_DEP_1) | instskip(NEXT) | instid1(VALU_DEP_1)
	v_readfirstlane_b32 s5, v0
	s_cmp_eq_u32 s5, 0
	s_cbranch_scc1 .LBB6_1279
; %bb.1278:                             ;   in Loop: Header=BB6_1280 Depth=1
	s_sleep 1
	s_cbranch_execnz .LBB6_1280
	s_branch .LBB6_1282
.LBB6_1279:
	s_branch .LBB6_1282
.LBB6_1280:                             ; =>This Inner Loop Header: Depth=1
	v_mov_b32_e32 v0, 1
	s_and_saveexec_b32 s5, s0
	s_cbranch_execz .LBB6_1277
; %bb.1281:                             ;   in Loop: Header=BB6_1280 Depth=1
	global_load_b32 v0, v[10:11], off offset:20 scope:SCOPE_SYS
	s_wait_loadcnt 0x0
	global_inv scope:SCOPE_SYS
	v_and_b32_e32 v0, 1, v0
	s_branch .LBB6_1277
.LBB6_1282:
	s_and_saveexec_b32 s5, s0
	s_cbranch_execz .LBB6_1286
; %bb.1283:
	v_mov_b32_e32 v8, 0
	s_clause 0x2
	global_load_b64 v[2:3], v8, s[2:3] offset:40
	global_load_b64 v[9:10], v8, s[2:3] offset:24 scope:SCOPE_SYS
	global_load_b64 v[6:7], v8, s[2:3]
	s_wait_loadcnt 0x2
	v_add_co_u32 v11, vcc_lo, v2, 1
	s_wait_alu 0xfffd
	v_add_co_ci_u32_e32 v12, vcc_lo, 0, v3, vcc_lo
	s_delay_alu instid0(VALU_DEP_2) | instskip(SKIP_1) | instid1(VALU_DEP_2)
	v_add_co_u32 v0, vcc_lo, v11, s4
	s_wait_alu 0xfffd
	v_add_co_ci_u32_e32 v1, vcc_lo, s1, v12, vcc_lo
	s_delay_alu instid0(VALU_DEP_1) | instskip(SKIP_2) | instid1(VALU_DEP_1)
	v_cmp_eq_u64_e32 vcc_lo, 0, v[0:1]
	s_wait_alu 0xfffd
	v_dual_cndmask_b32 v1, v1, v12 :: v_dual_cndmask_b32 v0, v0, v11
	v_and_b32_e32 v3, v1, v3
	s_delay_alu instid0(VALU_DEP_2) | instskip(NEXT) | instid1(VALU_DEP_2)
	v_and_b32_e32 v2, v0, v2
	v_mul_lo_u32 v3, 24, v3
	s_delay_alu instid0(VALU_DEP_2) | instskip(SKIP_2) | instid1(VALU_DEP_3)
	v_mul_lo_u32 v11, 0, v2
	v_mul_hi_u32 v12, 24, v2
	v_mul_lo_u32 v2, 24, v2
	v_add_nc_u32_e32 v3, v3, v11
	s_wait_loadcnt 0x0
	s_delay_alu instid0(VALU_DEP_2) | instskip(NEXT) | instid1(VALU_DEP_2)
	v_add_co_u32 v6, vcc_lo, v6, v2
	v_dual_mov_b32 v2, v9 :: v_dual_add_nc_u32 v3, v3, v12
	s_wait_alu 0xfffd
	s_delay_alu instid0(VALU_DEP_1)
	v_add_co_ci_u32_e32 v7, vcc_lo, v7, v3, vcc_lo
	v_mov_b32_e32 v3, v10
	global_store_b64 v[6:7], v[9:10], off
	global_wb scope:SCOPE_SYS
	s_wait_storecnt 0x0
	global_atomic_cmpswap_b64 v[2:3], v8, v[0:3], s[2:3] offset:24 th:TH_ATOMIC_RETURN scope:SCOPE_SYS
	s_wait_loadcnt 0x0
	v_cmp_ne_u64_e32 vcc_lo, v[2:3], v[9:10]
	s_and_b32 exec_lo, exec_lo, vcc_lo
	s_cbranch_execz .LBB6_1286
; %bb.1284:
	s_mov_b32 s0, 0
.LBB6_1285:                             ; =>This Inner Loop Header: Depth=1
	s_sleep 1
	global_store_b64 v[6:7], v[2:3], off
	global_wb scope:SCOPE_SYS
	s_wait_storecnt 0x0
	global_atomic_cmpswap_b64 v[9:10], v8, v[0:3], s[2:3] offset:24 th:TH_ATOMIC_RETURN scope:SCOPE_SYS
	s_wait_loadcnt 0x0
	v_cmp_eq_u64_e32 vcc_lo, v[9:10], v[2:3]
	v_dual_mov_b32 v2, v9 :: v_dual_mov_b32 v3, v10
	s_wait_alu 0xfffe
	s_or_b32 s0, vcc_lo, s0
	s_wait_alu 0xfffe
	s_and_not1_b32 exec_lo, exec_lo, s0
	s_cbranch_execnz .LBB6_1285
.LBB6_1286:
	s_wait_alu 0xfffe
	s_or_b32 exec_lo, exec_lo, s5
	v_readfirstlane_b32 s0, v35
	v_mov_b32_e32 v8, 0
	v_mov_b32_e32 v9, 0
	s_wait_alu 0xf1ff
	s_delay_alu instid0(VALU_DEP_3) | instskip(NEXT) | instid1(VALU_DEP_1)
	v_cmp_eq_u32_e64 s0, s0, v35
	s_and_saveexec_b32 s1, s0
	s_cbranch_execz .LBB6_1292
; %bb.1287:
	v_mov_b32_e32 v0, 0
	s_mov_b32 s4, exec_lo
	global_load_b64 v[10:11], v0, s[2:3] offset:24 scope:SCOPE_SYS
	s_wait_loadcnt 0x0
	global_inv scope:SCOPE_SYS
	s_clause 0x1
	global_load_b64 v[1:2], v0, s[2:3] offset:40
	global_load_b64 v[6:7], v0, s[2:3]
	s_wait_loadcnt 0x1
	v_and_b32_e32 v1, v1, v10
	v_and_b32_e32 v2, v2, v11
	s_delay_alu instid0(VALU_DEP_2) | instskip(NEXT) | instid1(VALU_DEP_2)
	v_mul_lo_u32 v3, 0, v1
	v_mul_lo_u32 v2, 24, v2
	v_mul_hi_u32 v8, 24, v1
	v_mul_lo_u32 v1, 24, v1
	s_delay_alu instid0(VALU_DEP_3) | instskip(SKIP_1) | instid1(VALU_DEP_2)
	v_add_nc_u32_e32 v2, v2, v3
	s_wait_loadcnt 0x0
	v_add_co_u32 v1, vcc_lo, v6, v1
	s_delay_alu instid0(VALU_DEP_2) | instskip(SKIP_1) | instid1(VALU_DEP_1)
	v_add_nc_u32_e32 v2, v2, v8
	s_wait_alu 0xfffd
	v_add_co_ci_u32_e32 v2, vcc_lo, v7, v2, vcc_lo
	global_load_b64 v[8:9], v[1:2], off scope:SCOPE_SYS
	s_wait_loadcnt 0x0
	global_atomic_cmpswap_b64 v[8:9], v0, v[8:11], s[2:3] offset:24 th:TH_ATOMIC_RETURN scope:SCOPE_SYS
	s_wait_loadcnt 0x0
	global_inv scope:SCOPE_SYS
	v_cmpx_ne_u64_e64 v[8:9], v[10:11]
	s_cbranch_execz .LBB6_1291
; %bb.1288:
	s_mov_b32 s5, 0
.LBB6_1289:                             ; =>This Inner Loop Header: Depth=1
	s_sleep 1
	s_clause 0x1
	global_load_b64 v[1:2], v0, s[2:3] offset:40
	global_load_b64 v[6:7], v0, s[2:3]
	v_dual_mov_b32 v11, v9 :: v_dual_mov_b32 v10, v8
	s_wait_loadcnt 0x1
	s_delay_alu instid0(VALU_DEP_1) | instskip(SKIP_1) | instid1(VALU_DEP_1)
	v_and_b32_e32 v1, v1, v10
	s_wait_loadcnt 0x0
	v_mad_co_u64_u32 v[6:7], null, v1, 24, v[6:7]
	s_delay_alu instid0(VALU_DEP_1) | instskip(NEXT) | instid1(VALU_DEP_1)
	v_dual_mov_b32 v1, v7 :: v_dual_and_b32 v2, v2, v11
	v_mad_co_u64_u32 v[1:2], null, v2, 24, v[1:2]
	s_delay_alu instid0(VALU_DEP_1)
	v_mov_b32_e32 v7, v1
	global_load_b64 v[8:9], v[6:7], off scope:SCOPE_SYS
	s_wait_loadcnt 0x0
	global_atomic_cmpswap_b64 v[8:9], v0, v[8:11], s[2:3] offset:24 th:TH_ATOMIC_RETURN scope:SCOPE_SYS
	s_wait_loadcnt 0x0
	global_inv scope:SCOPE_SYS
	v_cmp_eq_u64_e32 vcc_lo, v[8:9], v[10:11]
	s_wait_alu 0xfffe
	s_or_b32 s5, vcc_lo, s5
	s_wait_alu 0xfffe
	s_and_not1_b32 exec_lo, exec_lo, s5
	s_cbranch_execnz .LBB6_1289
; %bb.1290:
	s_or_b32 exec_lo, exec_lo, s5
.LBB6_1291:
	s_wait_alu 0xfffe
	s_or_b32 exec_lo, exec_lo, s4
.LBB6_1292:
	s_wait_alu 0xfffe
	s_or_b32 exec_lo, exec_lo, s1
	v_readfirstlane_b32 s4, v8
	v_mov_b32_e32 v7, 0
	v_readfirstlane_b32 s1, v9
	s_mov_b32 s5, exec_lo
	s_clause 0x1
	global_load_b64 v[10:11], v7, s[2:3] offset:40
	global_load_b128 v[0:3], v7, s[2:3]
	s_wait_loadcnt 0x1
	s_wait_alu 0xf1ff
	v_and_b32_e32 v12, s4, v10
	v_and_b32_e32 v13, s1, v11
	s_delay_alu instid0(VALU_DEP_2) | instskip(NEXT) | instid1(VALU_DEP_2)
	v_mul_lo_u32 v8, 0, v12
	v_mul_lo_u32 v6, 24, v13
	v_mul_hi_u32 v9, 24, v12
	v_mul_lo_u32 v10, 24, v12
	s_delay_alu instid0(VALU_DEP_3) | instskip(SKIP_1) | instid1(VALU_DEP_2)
	v_add_nc_u32_e32 v6, v6, v8
	s_wait_loadcnt 0x0
	v_add_co_u32 v10, vcc_lo, v0, v10
	s_delay_alu instid0(VALU_DEP_2) | instskip(SKIP_1) | instid1(VALU_DEP_1)
	v_add_nc_u32_e32 v6, v6, v9
	s_wait_alu 0xfffd
	v_add_co_ci_u32_e32 v11, vcc_lo, v1, v6, vcc_lo
	s_and_saveexec_b32 s6, s0
	s_cbranch_execz .LBB6_1294
; %bb.1293:
	s_wait_alu 0xfffe
	v_dual_mov_b32 v6, s5 :: v_dual_mov_b32 v9, 1
	v_mov_b32_e32 v8, 2
	global_store_b128 v[10:11], v[6:9], off offset:8
.LBB6_1294:
	s_wait_alu 0xfffe
	s_or_b32 exec_lo, exec_lo, s6
	v_lshlrev_b64_e32 v[12:13], 12, v[12:13]
	s_mov_b32 s16, 0
	v_dual_mov_b32 v6, 33 :: v_dual_mov_b32 v9, v7
	s_wait_alu 0xfffe
	s_mov_b32 s17, s16
	s_mov_b32 s18, s16
	v_add_co_u32 v2, vcc_lo, v2, v12
	s_wait_alu 0xfffd
	v_add_co_ci_u32_e32 v3, vcc_lo, v3, v13, vcc_lo
	s_mov_b32 s19, s16
	s_delay_alu instid0(VALU_DEP_2)
	v_add_co_u32 v12, vcc_lo, v2, v34
	v_mov_b32_e32 v8, v7
	v_readfirstlane_b32 s6, v2
	v_readfirstlane_b32 s7, v3
	s_wait_alu 0xfffe
	v_dual_mov_b32 v14, s16 :: v_dual_mov_b32 v17, s19
	s_wait_alu 0xfffd
	v_add_co_ci_u32_e32 v13, vcc_lo, 0, v3, vcc_lo
	v_dual_mov_b32 v15, s17 :: v_dual_mov_b32 v16, s18
	s_clause 0x3
	global_store_b128 v34, v[6:9], s[6:7]
	global_store_b128 v34, v[14:17], s[6:7] offset:16
	global_store_b128 v34, v[14:17], s[6:7] offset:32
	;; [unrolled: 1-line block ×3, first 2 shown]
	s_and_saveexec_b32 s5, s0
	s_cbranch_execz .LBB6_1302
; %bb.1295:
	v_mov_b32_e32 v8, 0
	s_mov_b32 s6, exec_lo
	s_clause 0x1
	global_load_b64 v[16:17], v8, s[2:3] offset:32 scope:SCOPE_SYS
	global_load_b64 v[2:3], v8, s[2:3] offset:40
	v_dual_mov_b32 v15, s1 :: v_dual_mov_b32 v14, s4
	s_wait_loadcnt 0x0
	v_and_b32_e32 v3, s1, v3
	v_and_b32_e32 v2, s4, v2
	s_delay_alu instid0(VALU_DEP_2) | instskip(NEXT) | instid1(VALU_DEP_2)
	v_mul_lo_u32 v3, 24, v3
	v_mul_lo_u32 v6, 0, v2
	v_mul_hi_u32 v7, 24, v2
	v_mul_lo_u32 v2, 24, v2
	s_delay_alu instid0(VALU_DEP_3) | instskip(NEXT) | instid1(VALU_DEP_2)
	v_add_nc_u32_e32 v3, v3, v6
	v_add_co_u32 v6, vcc_lo, v0, v2
	s_delay_alu instid0(VALU_DEP_2) | instskip(SKIP_1) | instid1(VALU_DEP_1)
	v_add_nc_u32_e32 v3, v3, v7
	s_wait_alu 0xfffd
	v_add_co_ci_u32_e32 v7, vcc_lo, v1, v3, vcc_lo
	global_store_b64 v[6:7], v[16:17], off
	global_wb scope:SCOPE_SYS
	s_wait_storecnt 0x0
	global_atomic_cmpswap_b64 v[2:3], v8, v[14:17], s[2:3] offset:32 th:TH_ATOMIC_RETURN scope:SCOPE_SYS
	s_wait_loadcnt 0x0
	v_cmpx_ne_u64_e64 v[2:3], v[16:17]
	s_cbranch_execz .LBB6_1298
; %bb.1296:
	s_mov_b32 s7, 0
.LBB6_1297:                             ; =>This Inner Loop Header: Depth=1
	v_dual_mov_b32 v0, s4 :: v_dual_mov_b32 v1, s1
	s_sleep 1
	global_store_b64 v[6:7], v[2:3], off
	global_wb scope:SCOPE_SYS
	s_wait_storecnt 0x0
	global_atomic_cmpswap_b64 v[0:1], v8, v[0:3], s[2:3] offset:32 th:TH_ATOMIC_RETURN scope:SCOPE_SYS
	s_wait_loadcnt 0x0
	v_cmp_eq_u64_e32 vcc_lo, v[0:1], v[2:3]
	v_dual_mov_b32 v3, v1 :: v_dual_mov_b32 v2, v0
	s_wait_alu 0xfffe
	s_or_b32 s7, vcc_lo, s7
	s_wait_alu 0xfffe
	s_and_not1_b32 exec_lo, exec_lo, s7
	s_cbranch_execnz .LBB6_1297
.LBB6_1298:
	s_wait_alu 0xfffe
	s_or_b32 exec_lo, exec_lo, s6
	v_mov_b32_e32 v3, 0
	s_mov_b32 s7, exec_lo
	s_mov_b32 s6, exec_lo
	s_wait_alu 0xfffe
	v_mbcnt_lo_u32_b32 v2, s7, 0
	global_load_b64 v[0:1], v3, s[2:3] offset:16
	v_cmpx_eq_u32_e32 0, v2
	s_cbranch_execz .LBB6_1300
; %bb.1299:
	s_bcnt1_i32_b32 s7, s7
	s_wait_alu 0xfffe
	v_mov_b32_e32 v2, s7
	global_wb scope:SCOPE_SYS
	s_wait_loadcnt 0x0
	global_atomic_add_u64 v[0:1], v[2:3], off offset:8 scope:SCOPE_SYS
.LBB6_1300:
	s_or_b32 exec_lo, exec_lo, s6
	s_wait_loadcnt 0x0
	global_load_b64 v[2:3], v[0:1], off offset:16
	s_wait_loadcnt 0x0
	v_cmp_eq_u64_e32 vcc_lo, 0, v[2:3]
	s_cbranch_vccnz .LBB6_1302
; %bb.1301:
	global_load_b32 v0, v[0:1], off offset:24
	s_wait_loadcnt 0x0
	v_dual_mov_b32 v1, 0 :: v_dual_and_b32 v6, 0xffffff, v0
	global_wb scope:SCOPE_SYS
	s_wait_storecnt 0x0
	global_store_b64 v[2:3], v[0:1], off scope:SCOPE_SYS
	v_readfirstlane_b32 m0, v6
	s_sendmsg sendmsg(MSG_INTERRUPT)
.LBB6_1302:
	s_wait_alu 0xfffe
	s_or_b32 exec_lo, exec_lo, s5
	s_branch .LBB6_1306
.LBB6_1303:                             ;   in Loop: Header=BB6_1306 Depth=1
	s_wait_alu 0xfffe
	s_or_b32 exec_lo, exec_lo, s5
	s_delay_alu instid0(VALU_DEP_1) | instskip(NEXT) | instid1(VALU_DEP_1)
	v_readfirstlane_b32 s5, v0
	s_cmp_eq_u32 s5, 0
	s_cbranch_scc1 .LBB6_1305
; %bb.1304:                             ;   in Loop: Header=BB6_1306 Depth=1
	s_sleep 1
	s_cbranch_execnz .LBB6_1306
	s_branch .LBB6_1308
.LBB6_1305:
	s_branch .LBB6_1308
.LBB6_1306:                             ; =>This Inner Loop Header: Depth=1
	v_mov_b32_e32 v0, 1
	s_and_saveexec_b32 s5, s0
	s_cbranch_execz .LBB6_1303
; %bb.1307:                             ;   in Loop: Header=BB6_1306 Depth=1
	global_load_b32 v0, v[10:11], off offset:20 scope:SCOPE_SYS
	s_wait_loadcnt 0x0
	global_inv scope:SCOPE_SYS
	v_and_b32_e32 v0, 1, v0
	s_branch .LBB6_1303
.LBB6_1308:
	global_load_b64 v[6:7], v[12:13], off
	s_and_saveexec_b32 s5, s0
	s_cbranch_execz .LBB6_1312
; %bb.1309:
	v_mov_b32_e32 v10, 0
	s_clause 0x2
	global_load_b64 v[2:3], v10, s[2:3] offset:40
	global_load_b64 v[11:12], v10, s[2:3] offset:24 scope:SCOPE_SYS
	global_load_b64 v[8:9], v10, s[2:3]
	s_wait_loadcnt 0x2
	v_add_co_u32 v13, vcc_lo, v2, 1
	s_wait_alu 0xfffd
	v_add_co_ci_u32_e32 v14, vcc_lo, 0, v3, vcc_lo
	s_delay_alu instid0(VALU_DEP_2) | instskip(SKIP_1) | instid1(VALU_DEP_2)
	v_add_co_u32 v0, vcc_lo, v13, s4
	s_wait_alu 0xfffd
	v_add_co_ci_u32_e32 v1, vcc_lo, s1, v14, vcc_lo
	s_delay_alu instid0(VALU_DEP_1) | instskip(SKIP_2) | instid1(VALU_DEP_1)
	v_cmp_eq_u64_e32 vcc_lo, 0, v[0:1]
	s_wait_alu 0xfffd
	v_dual_cndmask_b32 v1, v1, v14 :: v_dual_cndmask_b32 v0, v0, v13
	v_and_b32_e32 v3, v1, v3
	s_delay_alu instid0(VALU_DEP_2) | instskip(NEXT) | instid1(VALU_DEP_2)
	v_and_b32_e32 v2, v0, v2
	v_mul_lo_u32 v3, 24, v3
	s_delay_alu instid0(VALU_DEP_2) | instskip(SKIP_2) | instid1(VALU_DEP_3)
	v_mul_lo_u32 v13, 0, v2
	v_mul_hi_u32 v14, 24, v2
	v_mul_lo_u32 v2, 24, v2
	v_add_nc_u32_e32 v3, v3, v13
	s_wait_loadcnt 0x0
	s_delay_alu instid0(VALU_DEP_2) | instskip(SKIP_1) | instid1(VALU_DEP_3)
	v_add_co_u32 v8, vcc_lo, v8, v2
	v_mov_b32_e32 v2, v11
	v_add_nc_u32_e32 v3, v3, v14
	s_wait_alu 0xfffd
	s_delay_alu instid0(VALU_DEP_1)
	v_add_co_ci_u32_e32 v9, vcc_lo, v9, v3, vcc_lo
	v_mov_b32_e32 v3, v12
	global_store_b64 v[8:9], v[11:12], off
	global_wb scope:SCOPE_SYS
	s_wait_storecnt 0x0
	global_atomic_cmpswap_b64 v[2:3], v10, v[0:3], s[2:3] offset:24 th:TH_ATOMIC_RETURN scope:SCOPE_SYS
	s_wait_loadcnt 0x0
	v_cmp_ne_u64_e32 vcc_lo, v[2:3], v[11:12]
	s_and_b32 exec_lo, exec_lo, vcc_lo
	s_cbranch_execz .LBB6_1312
; %bb.1310:
	s_mov_b32 s0, 0
.LBB6_1311:                             ; =>This Inner Loop Header: Depth=1
	s_sleep 1
	global_store_b64 v[8:9], v[2:3], off
	global_wb scope:SCOPE_SYS
	s_wait_storecnt 0x0
	global_atomic_cmpswap_b64 v[11:12], v10, v[0:3], s[2:3] offset:24 th:TH_ATOMIC_RETURN scope:SCOPE_SYS
	s_wait_loadcnt 0x0
	v_cmp_eq_u64_e32 vcc_lo, v[11:12], v[2:3]
	v_dual_mov_b32 v2, v11 :: v_dual_mov_b32 v3, v12
	s_wait_alu 0xfffe
	s_or_b32 s0, vcc_lo, s0
	s_wait_alu 0xfffe
	s_and_not1_b32 exec_lo, exec_lo, s0
	s_cbranch_execnz .LBB6_1311
.LBB6_1312:
	s_wait_alu 0xfffe
	s_or_b32 exec_lo, exec_lo, s5
	s_delay_alu instid0(SALU_CYCLE_1)
	s_and_b32 vcc_lo, exec_lo, s15
	s_wait_alu 0xfffe
	s_cbranch_vccz .LBB6_1391
; %bb.1313:
	s_wait_loadcnt 0x0
	v_dual_mov_b32 v9, 0 :: v_dual_and_b32 v32, 2, v6
	v_dual_mov_b32 v1, v7 :: v_dual_and_b32 v0, -3, v6
	v_dual_mov_b32 v10, 2 :: v_dual_mov_b32 v11, 1
	s_mov_b64 s[6:7], 3
	s_getpc_b64 s[4:5]
	s_wait_alu 0xfffe
	s_sext_i32_i16 s5, s5
	s_add_co_u32 s4, s4, .str.7@rel32@lo+12
	s_wait_alu 0xfffe
	s_add_co_ci_u32 s5, s5, .str.7@rel32@hi+24
	s_branch .LBB6_1315
.LBB6_1314:                             ;   in Loop: Header=BB6_1315 Depth=1
	s_wait_alu 0xfffe
	s_or_b32 exec_lo, exec_lo, s16
	s_sub_nc_u64 s[6:7], s[6:7], s[10:11]
	s_add_nc_u64 s[4:5], s[4:5], s[10:11]
	s_wait_alu 0xfffe
	s_cmp_lg_u64 s[6:7], 0
	s_cbranch_scc0 .LBB6_1390
.LBB6_1315:                             ; =>This Loop Header: Depth=1
                                        ;     Child Loop BB6_1324 Depth 2
                                        ;     Child Loop BB6_1320 Depth 2
	;; [unrolled: 1-line block ×11, first 2 shown]
	v_cmp_lt_u64_e64 s0, s[6:7], 56
	v_cmp_gt_u64_e64 s1, s[6:7], 7
                                        ; implicit-def: $vgpr2_vgpr3
                                        ; implicit-def: $sgpr15
	s_delay_alu instid0(VALU_DEP_2) | instskip(SKIP_2) | instid1(VALU_DEP_1)
	s_and_b32 s0, s0, exec_lo
	s_cselect_b32 s11, s7, 0
	s_cselect_b32 s10, s6, 56
	s_and_b32 vcc_lo, exec_lo, s1
	s_mov_b32 s0, -1
	s_wait_alu 0xfffe
	s_cbranch_vccz .LBB6_1322
; %bb.1316:                             ;   in Loop: Header=BB6_1315 Depth=1
	s_and_not1_b32 vcc_lo, exec_lo, s0
	s_mov_b64 s[0:1], s[4:5]
	s_wait_alu 0xfffe
	s_cbranch_vccz .LBB6_1326
.LBB6_1317:                             ;   in Loop: Header=BB6_1315 Depth=1
	s_wait_alu 0xfffe
	s_cmp_gt_u32 s15, 7
	s_cbranch_scc1 .LBB6_1327
.LBB6_1318:                             ;   in Loop: Header=BB6_1315 Depth=1
	v_mov_b32_e32 v12, 0
	v_mov_b32_e32 v13, 0
	s_cmp_eq_u32 s15, 0
	s_cbranch_scc1 .LBB6_1321
; %bb.1319:                             ;   in Loop: Header=BB6_1315 Depth=1
	s_mov_b64 s[16:17], 0
	s_mov_b64 s[18:19], 0
.LBB6_1320:                             ;   Parent Loop BB6_1315 Depth=1
                                        ; =>  This Inner Loop Header: Depth=2
	s_wait_alu 0xfffe
	s_add_nc_u64 s[20:21], s[0:1], s[18:19]
	s_add_nc_u64 s[18:19], s[18:19], 1
	global_load_u8 v8, v9, s[20:21]
	s_wait_alu 0xfffe
	s_cmp_lg_u32 s15, s18
	s_wait_loadcnt 0x0
	v_and_b32_e32 v8, 0xffff, v8
	s_delay_alu instid0(VALU_DEP_1) | instskip(SKIP_1) | instid1(VALU_DEP_1)
	v_lshlrev_b64_e32 v[14:15], s16, v[8:9]
	s_add_nc_u64 s[16:17], s[16:17], 8
	v_or_b32_e32 v12, v14, v12
	s_delay_alu instid0(VALU_DEP_2)
	v_or_b32_e32 v13, v15, v13
	s_cbranch_scc1 .LBB6_1320
.LBB6_1321:                             ;   in Loop: Header=BB6_1315 Depth=1
	s_mov_b32 s20, 0
	s_cbranch_execz .LBB6_1328
	s_branch .LBB6_1329
.LBB6_1322:                             ;   in Loop: Header=BB6_1315 Depth=1
	s_wait_loadcnt 0x0
	v_mov_b32_e32 v2, 0
	v_mov_b32_e32 v3, 0
	s_cmp_eq_u64 s[6:7], 0
	s_mov_b64 s[0:1], 0
	s_cbranch_scc1 .LBB6_1325
; %bb.1323:                             ;   in Loop: Header=BB6_1315 Depth=1
	v_mov_b32_e32 v2, 0
	v_mov_b32_e32 v3, 0
	s_mov_b64 s[16:17], 0
.LBB6_1324:                             ;   Parent Loop BB6_1315 Depth=1
                                        ; =>  This Inner Loop Header: Depth=2
	s_wait_alu 0xfffe
	s_add_nc_u64 s[18:19], s[4:5], s[16:17]
	s_add_nc_u64 s[16:17], s[16:17], 1
	global_load_u8 v8, v9, s[18:19]
	s_wait_alu 0xfffe
	s_cmp_lg_u32 s10, s16
	s_wait_loadcnt 0x0
	v_and_b32_e32 v8, 0xffff, v8
	s_delay_alu instid0(VALU_DEP_1) | instskip(SKIP_1) | instid1(VALU_DEP_1)
	v_lshlrev_b64_e32 v[12:13], s0, v[8:9]
	s_add_nc_u64 s[0:1], s[0:1], 8
	v_or_b32_e32 v2, v12, v2
	s_delay_alu instid0(VALU_DEP_2)
	v_or_b32_e32 v3, v13, v3
	s_cbranch_scc1 .LBB6_1324
.LBB6_1325:                             ;   in Loop: Header=BB6_1315 Depth=1
	s_mov_b32 s15, 0
	s_mov_b64 s[0:1], s[4:5]
	s_cbranch_execnz .LBB6_1317
.LBB6_1326:                             ;   in Loop: Header=BB6_1315 Depth=1
	global_load_b64 v[2:3], v9, s[4:5]
	s_add_co_i32 s15, s10, -8
	s_add_nc_u64 s[0:1], s[4:5], 8
	s_wait_alu 0xfffe
	s_cmp_gt_u32 s15, 7
	s_cbranch_scc0 .LBB6_1318
.LBB6_1327:                             ;   in Loop: Header=BB6_1315 Depth=1
                                        ; implicit-def: $vgpr12_vgpr13
                                        ; implicit-def: $sgpr20
.LBB6_1328:                             ;   in Loop: Header=BB6_1315 Depth=1
	global_load_b64 v[12:13], v9, s[0:1]
	s_add_co_i32 s20, s15, -8
	s_add_nc_u64 s[0:1], s[0:1], 8
.LBB6_1329:                             ;   in Loop: Header=BB6_1315 Depth=1
	s_wait_alu 0xfffe
	s_cmp_gt_u32 s20, 7
	s_cbranch_scc1 .LBB6_1334
; %bb.1330:                             ;   in Loop: Header=BB6_1315 Depth=1
	v_mov_b32_e32 v14, 0
	v_mov_b32_e32 v15, 0
	s_cmp_eq_u32 s20, 0
	s_cbranch_scc1 .LBB6_1333
; %bb.1331:                             ;   in Loop: Header=BB6_1315 Depth=1
	s_mov_b64 s[16:17], 0
	s_mov_b64 s[18:19], 0
.LBB6_1332:                             ;   Parent Loop BB6_1315 Depth=1
                                        ; =>  This Inner Loop Header: Depth=2
	s_wait_alu 0xfffe
	s_add_nc_u64 s[22:23], s[0:1], s[18:19]
	s_add_nc_u64 s[18:19], s[18:19], 1
	global_load_u8 v8, v9, s[22:23]
	s_wait_alu 0xfffe
	s_cmp_lg_u32 s20, s18
	s_wait_loadcnt 0x0
	v_and_b32_e32 v8, 0xffff, v8
	s_delay_alu instid0(VALU_DEP_1) | instskip(SKIP_1) | instid1(VALU_DEP_1)
	v_lshlrev_b64_e32 v[16:17], s16, v[8:9]
	s_add_nc_u64 s[16:17], s[16:17], 8
	v_or_b32_e32 v14, v16, v14
	s_delay_alu instid0(VALU_DEP_2)
	v_or_b32_e32 v15, v17, v15
	s_cbranch_scc1 .LBB6_1332
.LBB6_1333:                             ;   in Loop: Header=BB6_1315 Depth=1
	s_mov_b32 s15, 0
	s_cbranch_execz .LBB6_1335
	s_branch .LBB6_1336
.LBB6_1334:                             ;   in Loop: Header=BB6_1315 Depth=1
                                        ; implicit-def: $sgpr15
.LBB6_1335:                             ;   in Loop: Header=BB6_1315 Depth=1
	global_load_b64 v[14:15], v9, s[0:1]
	s_add_co_i32 s15, s20, -8
	s_add_nc_u64 s[0:1], s[0:1], 8
.LBB6_1336:                             ;   in Loop: Header=BB6_1315 Depth=1
	s_wait_alu 0xfffe
	s_cmp_gt_u32 s15, 7
	s_cbranch_scc1 .LBB6_1341
; %bb.1337:                             ;   in Loop: Header=BB6_1315 Depth=1
	v_mov_b32_e32 v16, 0
	v_mov_b32_e32 v17, 0
	s_cmp_eq_u32 s15, 0
	s_cbranch_scc1 .LBB6_1340
; %bb.1338:                             ;   in Loop: Header=BB6_1315 Depth=1
	s_mov_b64 s[16:17], 0
	s_mov_b64 s[18:19], 0
.LBB6_1339:                             ;   Parent Loop BB6_1315 Depth=1
                                        ; =>  This Inner Loop Header: Depth=2
	s_wait_alu 0xfffe
	s_add_nc_u64 s[20:21], s[0:1], s[18:19]
	s_add_nc_u64 s[18:19], s[18:19], 1
	global_load_u8 v8, v9, s[20:21]
	s_wait_alu 0xfffe
	s_cmp_lg_u32 s15, s18
	s_wait_loadcnt 0x0
	v_and_b32_e32 v8, 0xffff, v8
	s_delay_alu instid0(VALU_DEP_1) | instskip(SKIP_1) | instid1(VALU_DEP_1)
	v_lshlrev_b64_e32 v[18:19], s16, v[8:9]
	s_add_nc_u64 s[16:17], s[16:17], 8
	v_or_b32_e32 v16, v18, v16
	s_delay_alu instid0(VALU_DEP_2)
	v_or_b32_e32 v17, v19, v17
	s_cbranch_scc1 .LBB6_1339
.LBB6_1340:                             ;   in Loop: Header=BB6_1315 Depth=1
	s_mov_b32 s20, 0
	s_cbranch_execz .LBB6_1342
	s_branch .LBB6_1343
.LBB6_1341:                             ;   in Loop: Header=BB6_1315 Depth=1
                                        ; implicit-def: $vgpr16_vgpr17
                                        ; implicit-def: $sgpr20
.LBB6_1342:                             ;   in Loop: Header=BB6_1315 Depth=1
	global_load_b64 v[16:17], v9, s[0:1]
	s_add_co_i32 s20, s15, -8
	s_add_nc_u64 s[0:1], s[0:1], 8
.LBB6_1343:                             ;   in Loop: Header=BB6_1315 Depth=1
	s_wait_alu 0xfffe
	s_cmp_gt_u32 s20, 7
	s_cbranch_scc1 .LBB6_1348
; %bb.1344:                             ;   in Loop: Header=BB6_1315 Depth=1
	v_mov_b32_e32 v18, 0
	v_mov_b32_e32 v19, 0
	s_cmp_eq_u32 s20, 0
	s_cbranch_scc1 .LBB6_1347
; %bb.1345:                             ;   in Loop: Header=BB6_1315 Depth=1
	s_mov_b64 s[16:17], 0
	s_mov_b64 s[18:19], 0
.LBB6_1346:                             ;   Parent Loop BB6_1315 Depth=1
                                        ; =>  This Inner Loop Header: Depth=2
	s_wait_alu 0xfffe
	s_add_nc_u64 s[22:23], s[0:1], s[18:19]
	s_add_nc_u64 s[18:19], s[18:19], 1
	global_load_u8 v8, v9, s[22:23]
	s_wait_alu 0xfffe
	s_cmp_lg_u32 s20, s18
	s_wait_loadcnt 0x0
	v_and_b32_e32 v8, 0xffff, v8
	s_delay_alu instid0(VALU_DEP_1) | instskip(SKIP_1) | instid1(VALU_DEP_1)
	v_lshlrev_b64_e32 v[20:21], s16, v[8:9]
	s_add_nc_u64 s[16:17], s[16:17], 8
	v_or_b32_e32 v18, v20, v18
	s_delay_alu instid0(VALU_DEP_2)
	v_or_b32_e32 v19, v21, v19
	s_cbranch_scc1 .LBB6_1346
.LBB6_1347:                             ;   in Loop: Header=BB6_1315 Depth=1
	s_mov_b32 s15, 0
	s_cbranch_execz .LBB6_1349
	s_branch .LBB6_1350
.LBB6_1348:                             ;   in Loop: Header=BB6_1315 Depth=1
                                        ; implicit-def: $sgpr15
.LBB6_1349:                             ;   in Loop: Header=BB6_1315 Depth=1
	global_load_b64 v[18:19], v9, s[0:1]
	s_add_co_i32 s15, s20, -8
	s_add_nc_u64 s[0:1], s[0:1], 8
.LBB6_1350:                             ;   in Loop: Header=BB6_1315 Depth=1
	s_wait_alu 0xfffe
	s_cmp_gt_u32 s15, 7
	s_cbranch_scc1 .LBB6_1355
; %bb.1351:                             ;   in Loop: Header=BB6_1315 Depth=1
	v_mov_b32_e32 v20, 0
	v_mov_b32_e32 v21, 0
	s_cmp_eq_u32 s15, 0
	s_cbranch_scc1 .LBB6_1354
; %bb.1352:                             ;   in Loop: Header=BB6_1315 Depth=1
	s_mov_b64 s[16:17], 0
	s_mov_b64 s[18:19], 0
.LBB6_1353:                             ;   Parent Loop BB6_1315 Depth=1
                                        ; =>  This Inner Loop Header: Depth=2
	s_wait_alu 0xfffe
	s_add_nc_u64 s[20:21], s[0:1], s[18:19]
	s_add_nc_u64 s[18:19], s[18:19], 1
	global_load_u8 v8, v9, s[20:21]
	s_wait_alu 0xfffe
	s_cmp_lg_u32 s15, s18
	s_wait_loadcnt 0x0
	v_and_b32_e32 v8, 0xffff, v8
	s_delay_alu instid0(VALU_DEP_1) | instskip(SKIP_1) | instid1(VALU_DEP_1)
	v_lshlrev_b64_e32 v[22:23], s16, v[8:9]
	s_add_nc_u64 s[16:17], s[16:17], 8
	v_or_b32_e32 v20, v22, v20
	s_delay_alu instid0(VALU_DEP_2)
	v_or_b32_e32 v21, v23, v21
	s_cbranch_scc1 .LBB6_1353
.LBB6_1354:                             ;   in Loop: Header=BB6_1315 Depth=1
	s_mov_b32 s20, 0
	s_cbranch_execz .LBB6_1356
	s_branch .LBB6_1357
.LBB6_1355:                             ;   in Loop: Header=BB6_1315 Depth=1
                                        ; implicit-def: $vgpr20_vgpr21
                                        ; implicit-def: $sgpr20
.LBB6_1356:                             ;   in Loop: Header=BB6_1315 Depth=1
	global_load_b64 v[20:21], v9, s[0:1]
	s_add_co_i32 s20, s15, -8
	s_add_nc_u64 s[0:1], s[0:1], 8
.LBB6_1357:                             ;   in Loop: Header=BB6_1315 Depth=1
	s_wait_alu 0xfffe
	s_cmp_gt_u32 s20, 7
	s_cbranch_scc1 .LBB6_1362
; %bb.1358:                             ;   in Loop: Header=BB6_1315 Depth=1
	v_mov_b32_e32 v22, 0
	v_mov_b32_e32 v23, 0
	s_cmp_eq_u32 s20, 0
	s_cbranch_scc1 .LBB6_1361
; %bb.1359:                             ;   in Loop: Header=BB6_1315 Depth=1
	s_mov_b64 s[16:17], 0
	s_mov_b64 s[18:19], s[0:1]
.LBB6_1360:                             ;   Parent Loop BB6_1315 Depth=1
                                        ; =>  This Inner Loop Header: Depth=2
	global_load_u8 v8, v9, s[18:19]
	s_add_co_i32 s20, s20, -1
	s_wait_alu 0xfffe
	s_add_nc_u64 s[18:19], s[18:19], 1
	s_cmp_lg_u32 s20, 0
	s_wait_loadcnt 0x0
	v_and_b32_e32 v8, 0xffff, v8
	s_delay_alu instid0(VALU_DEP_1) | instskip(SKIP_1) | instid1(VALU_DEP_1)
	v_lshlrev_b64_e32 v[24:25], s16, v[8:9]
	s_add_nc_u64 s[16:17], s[16:17], 8
	v_or_b32_e32 v22, v24, v22
	s_delay_alu instid0(VALU_DEP_2)
	v_or_b32_e32 v23, v25, v23
	s_cbranch_scc1 .LBB6_1360
.LBB6_1361:                             ;   in Loop: Header=BB6_1315 Depth=1
	s_cbranch_execz .LBB6_1363
	s_branch .LBB6_1364
.LBB6_1362:                             ;   in Loop: Header=BB6_1315 Depth=1
.LBB6_1363:                             ;   in Loop: Header=BB6_1315 Depth=1
	global_load_b64 v[22:23], v9, s[0:1]
.LBB6_1364:                             ;   in Loop: Header=BB6_1315 Depth=1
	v_readfirstlane_b32 s0, v35
	v_mov_b32_e32 v28, 0
	v_mov_b32_e32 v29, 0
	s_wait_alu 0xf1ff
	s_delay_alu instid0(VALU_DEP_3) | instskip(NEXT) | instid1(VALU_DEP_1)
	v_cmp_eq_u32_e64 s0, s0, v35
	s_and_saveexec_b32 s1, s0
	s_cbranch_execz .LBB6_1370
; %bb.1365:                             ;   in Loop: Header=BB6_1315 Depth=1
	global_load_b64 v[26:27], v9, s[2:3] offset:24 scope:SCOPE_SYS
	s_wait_loadcnt 0x0
	global_inv scope:SCOPE_SYS
	s_clause 0x1
	global_load_b64 v[24:25], v9, s[2:3] offset:40
	global_load_b64 v[28:29], v9, s[2:3]
	s_mov_b32 s15, exec_lo
	s_wait_loadcnt 0x1
	v_and_b32_e32 v8, v25, v27
	v_and_b32_e32 v24, v24, v26
	s_delay_alu instid0(VALU_DEP_2) | instskip(NEXT) | instid1(VALU_DEP_2)
	v_mul_lo_u32 v8, 24, v8
	v_mul_lo_u32 v25, 0, v24
	v_mul_hi_u32 v30, 24, v24
	v_mul_lo_u32 v24, 24, v24
	s_delay_alu instid0(VALU_DEP_3) | instskip(SKIP_1) | instid1(VALU_DEP_2)
	v_add_nc_u32_e32 v8, v8, v25
	s_wait_loadcnt 0x0
	v_add_co_u32 v24, vcc_lo, v28, v24
	s_delay_alu instid0(VALU_DEP_2) | instskip(SKIP_1) | instid1(VALU_DEP_1)
	v_add_nc_u32_e32 v8, v8, v30
	s_wait_alu 0xfffd
	v_add_co_ci_u32_e32 v25, vcc_lo, v29, v8, vcc_lo
	global_load_b64 v[24:25], v[24:25], off scope:SCOPE_SYS
	s_wait_loadcnt 0x0
	global_atomic_cmpswap_b64 v[28:29], v9, v[24:27], s[2:3] offset:24 th:TH_ATOMIC_RETURN scope:SCOPE_SYS
	s_wait_loadcnt 0x0
	global_inv scope:SCOPE_SYS
	v_cmpx_ne_u64_e64 v[28:29], v[26:27]
	s_cbranch_execz .LBB6_1369
; %bb.1366:                             ;   in Loop: Header=BB6_1315 Depth=1
	s_mov_b32 s16, 0
.LBB6_1367:                             ;   Parent Loop BB6_1315 Depth=1
                                        ; =>  This Inner Loop Header: Depth=2
	s_sleep 1
	s_clause 0x1
	global_load_b64 v[24:25], v9, s[2:3] offset:40
	global_load_b64 v[30:31], v9, s[2:3]
	v_dual_mov_b32 v26, v28 :: v_dual_mov_b32 v27, v29
	s_wait_loadcnt 0x1
	s_delay_alu instid0(VALU_DEP_1) | instskip(NEXT) | instid1(VALU_DEP_2)
	v_and_b32_e32 v8, v24, v26
	v_and_b32_e32 v24, v25, v27
	s_wait_loadcnt 0x0
	s_delay_alu instid0(VALU_DEP_2) | instskip(NEXT) | instid1(VALU_DEP_1)
	v_mad_co_u64_u32 v[28:29], null, v8, 24, v[30:31]
	v_mov_b32_e32 v8, v29
	s_delay_alu instid0(VALU_DEP_1) | instskip(NEXT) | instid1(VALU_DEP_1)
	v_mad_co_u64_u32 v[24:25], null, v24, 24, v[8:9]
	v_mov_b32_e32 v29, v24
	global_load_b64 v[24:25], v[28:29], off scope:SCOPE_SYS
	s_wait_loadcnt 0x0
	global_atomic_cmpswap_b64 v[28:29], v9, v[24:27], s[2:3] offset:24 th:TH_ATOMIC_RETURN scope:SCOPE_SYS
	s_wait_loadcnt 0x0
	global_inv scope:SCOPE_SYS
	v_cmp_eq_u64_e32 vcc_lo, v[28:29], v[26:27]
	s_wait_alu 0xfffe
	s_or_b32 s16, vcc_lo, s16
	s_wait_alu 0xfffe
	s_and_not1_b32 exec_lo, exec_lo, s16
	s_cbranch_execnz .LBB6_1367
; %bb.1368:                             ;   in Loop: Header=BB6_1315 Depth=1
	s_or_b32 exec_lo, exec_lo, s16
.LBB6_1369:                             ;   in Loop: Header=BB6_1315 Depth=1
	s_wait_alu 0xfffe
	s_or_b32 exec_lo, exec_lo, s15
.LBB6_1370:                             ;   in Loop: Header=BB6_1315 Depth=1
	s_wait_alu 0xfffe
	s_or_b32 exec_lo, exec_lo, s1
	s_clause 0x1
	global_load_b64 v[30:31], v9, s[2:3] offset:40
	global_load_b128 v[24:27], v9, s[2:3]
	v_readfirstlane_b32 s1, v29
	v_readfirstlane_b32 s15, v28
	s_mov_b32 s16, exec_lo
	s_wait_loadcnt 0x1
	s_wait_alu 0xf1ff
	v_and_b32_e32 v31, s1, v31
	v_and_b32_e32 v30, s15, v30
	s_delay_alu instid0(VALU_DEP_2) | instskip(NEXT) | instid1(VALU_DEP_2)
	v_mul_lo_u32 v8, 24, v31
	v_mul_lo_u32 v28, 0, v30
	v_mul_hi_u32 v29, 24, v30
	v_mul_lo_u32 v33, 24, v30
	s_delay_alu instid0(VALU_DEP_3) | instskip(SKIP_1) | instid1(VALU_DEP_2)
	v_add_nc_u32_e32 v8, v8, v28
	s_wait_loadcnt 0x0
	v_add_co_u32 v28, vcc_lo, v24, v33
	s_delay_alu instid0(VALU_DEP_2) | instskip(SKIP_1) | instid1(VALU_DEP_1)
	v_add_nc_u32_e32 v8, v8, v29
	s_wait_alu 0xfffd
	v_add_co_ci_u32_e32 v29, vcc_lo, v25, v8, vcc_lo
	s_and_saveexec_b32 s17, s0
	s_cbranch_execz .LBB6_1372
; %bb.1371:                             ;   in Loop: Header=BB6_1315 Depth=1
	s_wait_alu 0xfffe
	v_mov_b32_e32 v8, s16
	global_store_b128 v[28:29], v[8:11], off offset:8
.LBB6_1372:                             ;   in Loop: Header=BB6_1315 Depth=1
	s_wait_alu 0xfffe
	s_or_b32 exec_lo, exec_lo, s17
	v_cmp_gt_u64_e64 vcc_lo, s[6:7], 56
	v_lshlrev_b64_e32 v[30:31], 12, v[30:31]
	v_or_b32_e32 v8, 0, v1
	v_or_b32_e32 v33, v0, v32
	s_lshl_b32 s16, s10, 2
	s_wait_alu 0xfffe
	s_add_co_i32 s16, s16, 28
	s_wait_alu 0xfffd
	v_dual_cndmask_b32 v1, v8, v1 :: v_dual_cndmask_b32 v0, v33, v0
	v_add_co_u32 v26, vcc_lo, v26, v30
	s_wait_alu 0xfffd
	v_add_co_ci_u32_e32 v27, vcc_lo, v27, v31, vcc_lo
	s_wait_alu 0xfffe
	s_and_b32 s16, s16, 0x1e0
	s_wait_alu 0xfffe
	v_and_or_b32 v0, 0xffffff1f, v0, s16
	v_readfirstlane_b32 s16, v26
	v_readfirstlane_b32 s17, v27
	s_clause 0x3
	global_store_b128 v34, v[0:3], s[16:17]
	global_store_b128 v34, v[12:15], s[16:17] offset:16
	global_store_b128 v34, v[16:19], s[16:17] offset:32
	global_store_b128 v34, v[20:23], s[16:17] offset:48
	s_and_saveexec_b32 s16, s0
	s_cbranch_execz .LBB6_1380
; %bb.1373:                             ;   in Loop: Header=BB6_1315 Depth=1
	s_clause 0x1
	global_load_b64 v[16:17], v9, s[2:3] offset:32 scope:SCOPE_SYS
	global_load_b64 v[0:1], v9, s[2:3] offset:40
	s_mov_b32 s17, exec_lo
	v_dual_mov_b32 v14, s15 :: v_dual_mov_b32 v15, s1
	s_wait_loadcnt 0x0
	v_and_b32_e32 v1, s1, v1
	v_and_b32_e32 v0, s15, v0
	s_delay_alu instid0(VALU_DEP_2) | instskip(NEXT) | instid1(VALU_DEP_2)
	v_mul_lo_u32 v1, 24, v1
	v_mul_lo_u32 v2, 0, v0
	v_mul_hi_u32 v3, 24, v0
	v_mul_lo_u32 v0, 24, v0
	s_delay_alu instid0(VALU_DEP_3) | instskip(NEXT) | instid1(VALU_DEP_2)
	v_add_nc_u32_e32 v1, v1, v2
	v_add_co_u32 v12, vcc_lo, v24, v0
	s_delay_alu instid0(VALU_DEP_2) | instskip(SKIP_1) | instid1(VALU_DEP_1)
	v_add_nc_u32_e32 v1, v1, v3
	s_wait_alu 0xfffd
	v_add_co_ci_u32_e32 v13, vcc_lo, v25, v1, vcc_lo
	global_store_b64 v[12:13], v[16:17], off
	global_wb scope:SCOPE_SYS
	s_wait_storecnt 0x0
	global_atomic_cmpswap_b64 v[2:3], v9, v[14:17], s[2:3] offset:32 th:TH_ATOMIC_RETURN scope:SCOPE_SYS
	s_wait_loadcnt 0x0
	v_cmpx_ne_u64_e64 v[2:3], v[16:17]
	s_cbranch_execz .LBB6_1376
; %bb.1374:                             ;   in Loop: Header=BB6_1315 Depth=1
	s_mov_b32 s18, 0
.LBB6_1375:                             ;   Parent Loop BB6_1315 Depth=1
                                        ; =>  This Inner Loop Header: Depth=2
	v_dual_mov_b32 v0, s15 :: v_dual_mov_b32 v1, s1
	s_sleep 1
	global_store_b64 v[12:13], v[2:3], off
	global_wb scope:SCOPE_SYS
	s_wait_storecnt 0x0
	global_atomic_cmpswap_b64 v[0:1], v9, v[0:3], s[2:3] offset:32 th:TH_ATOMIC_RETURN scope:SCOPE_SYS
	s_wait_loadcnt 0x0
	v_cmp_eq_u64_e32 vcc_lo, v[0:1], v[2:3]
	v_dual_mov_b32 v3, v1 :: v_dual_mov_b32 v2, v0
	s_wait_alu 0xfffe
	s_or_b32 s18, vcc_lo, s18
	s_wait_alu 0xfffe
	s_and_not1_b32 exec_lo, exec_lo, s18
	s_cbranch_execnz .LBB6_1375
.LBB6_1376:                             ;   in Loop: Header=BB6_1315 Depth=1
	s_wait_alu 0xfffe
	s_or_b32 exec_lo, exec_lo, s17
	global_load_b64 v[0:1], v9, s[2:3] offset:16
	s_mov_b32 s18, exec_lo
	s_mov_b32 s17, exec_lo
	s_wait_alu 0xfffe
	v_mbcnt_lo_u32_b32 v2, s18, 0
	s_delay_alu instid0(VALU_DEP_1)
	v_cmpx_eq_u32_e32 0, v2
	s_cbranch_execz .LBB6_1378
; %bb.1377:                             ;   in Loop: Header=BB6_1315 Depth=1
	s_bcnt1_i32_b32 s18, s18
	s_wait_alu 0xfffe
	v_mov_b32_e32 v8, s18
	global_wb scope:SCOPE_SYS
	s_wait_loadcnt 0x0
	global_atomic_add_u64 v[0:1], v[8:9], off offset:8 scope:SCOPE_SYS
.LBB6_1378:                             ;   in Loop: Header=BB6_1315 Depth=1
	s_or_b32 exec_lo, exec_lo, s17
	s_wait_loadcnt 0x0
	global_load_b64 v[2:3], v[0:1], off offset:16
	s_wait_loadcnt 0x0
	v_cmp_eq_u64_e32 vcc_lo, 0, v[2:3]
	s_cbranch_vccnz .LBB6_1380
; %bb.1379:                             ;   in Loop: Header=BB6_1315 Depth=1
	global_load_b32 v8, v[0:1], off offset:24
	s_wait_loadcnt 0x0
	v_and_b32_e32 v0, 0xffffff, v8
	global_wb scope:SCOPE_SYS
	s_wait_storecnt 0x0
	global_store_b64 v[2:3], v[8:9], off scope:SCOPE_SYS
	v_readfirstlane_b32 m0, v0
	s_sendmsg sendmsg(MSG_INTERRUPT)
.LBB6_1380:                             ;   in Loop: Header=BB6_1315 Depth=1
	s_wait_alu 0xfffe
	s_or_b32 exec_lo, exec_lo, s16
	v_add_co_u32 v0, vcc_lo, v26, v34
	s_wait_alu 0xfffd
	v_add_co_ci_u32_e32 v1, vcc_lo, 0, v27, vcc_lo
	s_branch .LBB6_1384
.LBB6_1381:                             ;   in Loop: Header=BB6_1384 Depth=2
	s_wait_alu 0xfffe
	s_or_b32 exec_lo, exec_lo, s16
	s_delay_alu instid0(VALU_DEP_1) | instskip(NEXT) | instid1(VALU_DEP_1)
	v_readfirstlane_b32 s16, v2
	s_cmp_eq_u32 s16, 0
	s_cbranch_scc1 .LBB6_1383
; %bb.1382:                             ;   in Loop: Header=BB6_1384 Depth=2
	s_sleep 1
	s_cbranch_execnz .LBB6_1384
	s_branch .LBB6_1386
.LBB6_1383:                             ;   in Loop: Header=BB6_1315 Depth=1
	s_branch .LBB6_1386
.LBB6_1384:                             ;   Parent Loop BB6_1315 Depth=1
                                        ; =>  This Inner Loop Header: Depth=2
	v_mov_b32_e32 v2, 1
	s_and_saveexec_b32 s16, s0
	s_cbranch_execz .LBB6_1381
; %bb.1385:                             ;   in Loop: Header=BB6_1384 Depth=2
	global_load_b32 v2, v[28:29], off offset:20 scope:SCOPE_SYS
	s_wait_loadcnt 0x0
	global_inv scope:SCOPE_SYS
	v_and_b32_e32 v2, 1, v2
	s_branch .LBB6_1381
.LBB6_1386:                             ;   in Loop: Header=BB6_1315 Depth=1
	global_load_b128 v[0:3], v[0:1], off
	s_and_saveexec_b32 s16, s0
	s_cbranch_execz .LBB6_1314
; %bb.1387:                             ;   in Loop: Header=BB6_1315 Depth=1
	s_clause 0x2
	global_load_b64 v[2:3], v9, s[2:3] offset:40
	global_load_b64 v[16:17], v9, s[2:3] offset:24 scope:SCOPE_SYS
	global_load_b64 v[14:15], v9, s[2:3]
	s_wait_loadcnt 0x2
	v_add_co_u32 v8, vcc_lo, v2, 1
	s_wait_alu 0xfffd
	v_add_co_ci_u32_e32 v18, vcc_lo, 0, v3, vcc_lo
	s_delay_alu instid0(VALU_DEP_2) | instskip(SKIP_1) | instid1(VALU_DEP_2)
	v_add_co_u32 v12, vcc_lo, v8, s15
	s_wait_alu 0xfffd
	v_add_co_ci_u32_e32 v13, vcc_lo, s1, v18, vcc_lo
	s_delay_alu instid0(VALU_DEP_1) | instskip(SKIP_2) | instid1(VALU_DEP_1)
	v_cmp_eq_u64_e32 vcc_lo, 0, v[12:13]
	s_wait_alu 0xfffd
	v_dual_cndmask_b32 v13, v13, v18 :: v_dual_cndmask_b32 v12, v12, v8
	v_and_b32_e32 v3, v13, v3
	s_delay_alu instid0(VALU_DEP_2) | instskip(NEXT) | instid1(VALU_DEP_1)
	v_and_b32_e32 v2, v12, v2
	v_mul_lo_u32 v8, 0, v2
	v_mul_hi_u32 v18, 24, v2
	v_mul_lo_u32 v2, 24, v2
	s_wait_loadcnt 0x0
	s_delay_alu instid0(VALU_DEP_1) | instskip(SKIP_2) | instid1(VALU_DEP_1)
	v_add_co_u32 v2, vcc_lo, v14, v2
	v_mov_b32_e32 v14, v16
	v_mul_lo_u32 v3, 24, v3
	v_add_nc_u32_e32 v3, v3, v8
	s_delay_alu instid0(VALU_DEP_1) | instskip(SKIP_1) | instid1(VALU_DEP_1)
	v_add_nc_u32_e32 v3, v3, v18
	s_wait_alu 0xfffd
	v_add_co_ci_u32_e32 v3, vcc_lo, v15, v3, vcc_lo
	v_mov_b32_e32 v15, v17
	global_store_b64 v[2:3], v[16:17], off
	global_wb scope:SCOPE_SYS
	s_wait_storecnt 0x0
	global_atomic_cmpswap_b64 v[14:15], v9, v[12:15], s[2:3] offset:24 th:TH_ATOMIC_RETURN scope:SCOPE_SYS
	s_wait_loadcnt 0x0
	v_cmp_ne_u64_e32 vcc_lo, v[14:15], v[16:17]
	s_and_b32 exec_lo, exec_lo, vcc_lo
	s_cbranch_execz .LBB6_1314
; %bb.1388:                             ;   in Loop: Header=BB6_1315 Depth=1
	s_mov_b32 s0, 0
.LBB6_1389:                             ;   Parent Loop BB6_1315 Depth=1
                                        ; =>  This Inner Loop Header: Depth=2
	s_sleep 1
	global_store_b64 v[2:3], v[14:15], off
	global_wb scope:SCOPE_SYS
	s_wait_storecnt 0x0
	global_atomic_cmpswap_b64 v[16:17], v9, v[12:15], s[2:3] offset:24 th:TH_ATOMIC_RETURN scope:SCOPE_SYS
	s_wait_loadcnt 0x0
	v_cmp_eq_u64_e32 vcc_lo, v[16:17], v[14:15]
	v_dual_mov_b32 v14, v16 :: v_dual_mov_b32 v15, v17
	s_wait_alu 0xfffe
	s_or_b32 s0, vcc_lo, s0
	s_wait_alu 0xfffe
	s_and_not1_b32 exec_lo, exec_lo, s0
	s_cbranch_execnz .LBB6_1389
	s_branch .LBB6_1314
.LBB6_1390:
	s_branch .LBB6_1419
.LBB6_1391:
                                        ; implicit-def: $vgpr0_vgpr1
	s_cbranch_execz .LBB6_1419
; %bb.1392:
	v_readfirstlane_b32 s0, v35
	v_mov_b32_e32 v9, 0
	v_mov_b32_e32 v10, 0
	s_wait_alu 0xf1ff
	s_delay_alu instid0(VALU_DEP_3) | instskip(NEXT) | instid1(VALU_DEP_1)
	v_cmp_eq_u32_e64 s0, s0, v35
	s_and_saveexec_b32 s1, s0
	s_cbranch_execz .LBB6_1398
; %bb.1393:
	s_wait_loadcnt 0x0
	v_mov_b32_e32 v0, 0
	s_mov_b32 s4, exec_lo
	global_load_b64 v[11:12], v0, s[2:3] offset:24 scope:SCOPE_SYS
	s_wait_loadcnt 0x0
	global_inv scope:SCOPE_SYS
	s_clause 0x1
	global_load_b64 v[1:2], v0, s[2:3] offset:40
	global_load_b64 v[8:9], v0, s[2:3]
	s_wait_loadcnt 0x1
	v_and_b32_e32 v1, v1, v11
	v_and_b32_e32 v2, v2, v12
	s_delay_alu instid0(VALU_DEP_2) | instskip(NEXT) | instid1(VALU_DEP_2)
	v_mul_lo_u32 v3, 0, v1
	v_mul_lo_u32 v2, 24, v2
	v_mul_hi_u32 v10, 24, v1
	v_mul_lo_u32 v1, 24, v1
	s_delay_alu instid0(VALU_DEP_3) | instskip(SKIP_1) | instid1(VALU_DEP_2)
	v_add_nc_u32_e32 v2, v2, v3
	s_wait_loadcnt 0x0
	v_add_co_u32 v1, vcc_lo, v8, v1
	s_delay_alu instid0(VALU_DEP_2) | instskip(SKIP_1) | instid1(VALU_DEP_1)
	v_add_nc_u32_e32 v2, v2, v10
	s_wait_alu 0xfffd
	v_add_co_ci_u32_e32 v2, vcc_lo, v9, v2, vcc_lo
	global_load_b64 v[9:10], v[1:2], off scope:SCOPE_SYS
	s_wait_loadcnt 0x0
	global_atomic_cmpswap_b64 v[9:10], v0, v[9:12], s[2:3] offset:24 th:TH_ATOMIC_RETURN scope:SCOPE_SYS
	s_wait_loadcnt 0x0
	global_inv scope:SCOPE_SYS
	v_cmpx_ne_u64_e64 v[9:10], v[11:12]
	s_cbranch_execz .LBB6_1397
; %bb.1394:
	s_mov_b32 s5, 0
.LBB6_1395:                             ; =>This Inner Loop Header: Depth=1
	s_sleep 1
	s_clause 0x1
	global_load_b64 v[1:2], v0, s[2:3] offset:40
	global_load_b64 v[13:14], v0, s[2:3]
	v_dual_mov_b32 v12, v10 :: v_dual_mov_b32 v11, v9
	s_wait_loadcnt 0x1
	s_delay_alu instid0(VALU_DEP_1) | instskip(SKIP_1) | instid1(VALU_DEP_1)
	v_and_b32_e32 v1, v1, v11
	s_wait_loadcnt 0x0
	v_mad_co_u64_u32 v[8:9], null, v1, 24, v[13:14]
	s_delay_alu instid0(VALU_DEP_1) | instskip(NEXT) | instid1(VALU_DEP_1)
	v_dual_mov_b32 v1, v9 :: v_dual_and_b32 v2, v2, v12
	v_mad_co_u64_u32 v[1:2], null, v2, 24, v[1:2]
	s_delay_alu instid0(VALU_DEP_1)
	v_mov_b32_e32 v9, v1
	global_load_b64 v[9:10], v[8:9], off scope:SCOPE_SYS
	s_wait_loadcnt 0x0
	global_atomic_cmpswap_b64 v[9:10], v0, v[9:12], s[2:3] offset:24 th:TH_ATOMIC_RETURN scope:SCOPE_SYS
	s_wait_loadcnt 0x0
	global_inv scope:SCOPE_SYS
	v_cmp_eq_u64_e32 vcc_lo, v[9:10], v[11:12]
	s_wait_alu 0xfffe
	s_or_b32 s5, vcc_lo, s5
	s_wait_alu 0xfffe
	s_and_not1_b32 exec_lo, exec_lo, s5
	s_cbranch_execnz .LBB6_1395
; %bb.1396:
	s_or_b32 exec_lo, exec_lo, s5
.LBB6_1397:
	s_wait_alu 0xfffe
	s_or_b32 exec_lo, exec_lo, s4
.LBB6_1398:
	s_wait_alu 0xfffe
	s_or_b32 exec_lo, exec_lo, s1
	v_readfirstlane_b32 s1, v10
	v_mov_b32_e32 v8, 0
	v_readfirstlane_b32 s4, v9
	s_mov_b32 s5, exec_lo
	s_clause 0x1
	global_load_b64 v[11:12], v8, s[2:3] offset:40
	global_load_b128 v[0:3], v8, s[2:3]
	s_wait_loadcnt 0x1
	s_wait_alu 0xf1ff
	v_and_b32_e32 v13, s1, v12
	v_and_b32_e32 v12, s4, v11
	s_delay_alu instid0(VALU_DEP_2) | instskip(NEXT) | instid1(VALU_DEP_2)
	v_mul_lo_u32 v9, 24, v13
	v_mul_lo_u32 v10, 0, v12
	v_mul_hi_u32 v11, 24, v12
	v_mul_lo_u32 v14, 24, v12
	s_delay_alu instid0(VALU_DEP_3) | instskip(SKIP_1) | instid1(VALU_DEP_2)
	v_add_nc_u32_e32 v9, v9, v10
	s_wait_loadcnt 0x0
	v_add_co_u32 v10, vcc_lo, v0, v14
	s_delay_alu instid0(VALU_DEP_2) | instskip(SKIP_1) | instid1(VALU_DEP_1)
	v_add_nc_u32_e32 v9, v9, v11
	s_wait_alu 0xfffd
	v_add_co_ci_u32_e32 v11, vcc_lo, v1, v9, vcc_lo
	s_and_saveexec_b32 s6, s0
	s_cbranch_execz .LBB6_1400
; %bb.1399:
	s_wait_alu 0xfffe
	v_dual_mov_b32 v14, s5 :: v_dual_mov_b32 v15, v8
	v_dual_mov_b32 v16, 2 :: v_dual_mov_b32 v17, 1
	global_store_b128 v[10:11], v[14:17], off offset:8
.LBB6_1400:
	s_wait_alu 0xfffe
	s_or_b32 exec_lo, exec_lo, s6
	v_lshlrev_b64_e32 v[12:13], 12, v[12:13]
	s_mov_b32 s16, 0
	v_and_or_b32 v6, 0xffffff1f, v6, 32
	s_wait_alu 0xfffe
	s_mov_b32 s17, s16
	s_mov_b32 s18, s16
	;; [unrolled: 1-line block ×3, first 2 shown]
	v_add_co_u32 v2, vcc_lo, v2, v12
	s_wait_alu 0xfffd
	v_add_co_ci_u32_e32 v3, vcc_lo, v3, v13, vcc_lo
	v_dual_mov_b32 v9, v8 :: v_dual_mov_b32 v14, s16
	s_delay_alu instid0(VALU_DEP_3) | instskip(SKIP_1) | instid1(VALU_DEP_4)
	v_add_co_u32 v12, vcc_lo, v2, v34
	v_readfirstlane_b32 s6, v2
	v_readfirstlane_b32 s7, v3
	s_wait_alu 0xfffd
	v_add_co_ci_u32_e32 v13, vcc_lo, 0, v3, vcc_lo
	s_wait_alu 0xfffe
	v_dual_mov_b32 v15, s17 :: v_dual_mov_b32 v16, s18
	v_mov_b32_e32 v17, s19
	s_clause 0x3
	global_store_b128 v34, v[6:9], s[6:7]
	global_store_b128 v34, v[14:17], s[6:7] offset:16
	global_store_b128 v34, v[14:17], s[6:7] offset:32
	global_store_b128 v34, v[14:17], s[6:7] offset:48
	s_and_saveexec_b32 s5, s0
	s_cbranch_execz .LBB6_1408
; %bb.1401:
	v_mov_b32_e32 v8, 0
	s_mov_b32 s6, exec_lo
	s_clause 0x1
	global_load_b64 v[16:17], v8, s[2:3] offset:32 scope:SCOPE_SYS
	global_load_b64 v[2:3], v8, s[2:3] offset:40
	v_dual_mov_b32 v15, s1 :: v_dual_mov_b32 v14, s4
	s_wait_loadcnt 0x0
	v_and_b32_e32 v3, s1, v3
	v_and_b32_e32 v2, s4, v2
	s_delay_alu instid0(VALU_DEP_2) | instskip(NEXT) | instid1(VALU_DEP_2)
	v_mul_lo_u32 v3, 24, v3
	v_mul_lo_u32 v6, 0, v2
	v_mul_hi_u32 v7, 24, v2
	v_mul_lo_u32 v2, 24, v2
	s_delay_alu instid0(VALU_DEP_3) | instskip(NEXT) | instid1(VALU_DEP_2)
	v_add_nc_u32_e32 v3, v3, v6
	v_add_co_u32 v6, vcc_lo, v0, v2
	s_delay_alu instid0(VALU_DEP_2) | instskip(SKIP_1) | instid1(VALU_DEP_1)
	v_add_nc_u32_e32 v3, v3, v7
	s_wait_alu 0xfffd
	v_add_co_ci_u32_e32 v7, vcc_lo, v1, v3, vcc_lo
	global_store_b64 v[6:7], v[16:17], off
	global_wb scope:SCOPE_SYS
	s_wait_storecnt 0x0
	global_atomic_cmpswap_b64 v[2:3], v8, v[14:17], s[2:3] offset:32 th:TH_ATOMIC_RETURN scope:SCOPE_SYS
	s_wait_loadcnt 0x0
	v_cmpx_ne_u64_e64 v[2:3], v[16:17]
	s_cbranch_execz .LBB6_1404
; %bb.1402:
	s_mov_b32 s7, 0
.LBB6_1403:                             ; =>This Inner Loop Header: Depth=1
	v_dual_mov_b32 v0, s4 :: v_dual_mov_b32 v1, s1
	s_sleep 1
	global_store_b64 v[6:7], v[2:3], off
	global_wb scope:SCOPE_SYS
	s_wait_storecnt 0x0
	global_atomic_cmpswap_b64 v[0:1], v8, v[0:3], s[2:3] offset:32 th:TH_ATOMIC_RETURN scope:SCOPE_SYS
	s_wait_loadcnt 0x0
	v_cmp_eq_u64_e32 vcc_lo, v[0:1], v[2:3]
	v_dual_mov_b32 v3, v1 :: v_dual_mov_b32 v2, v0
	s_wait_alu 0xfffe
	s_or_b32 s7, vcc_lo, s7
	s_wait_alu 0xfffe
	s_and_not1_b32 exec_lo, exec_lo, s7
	s_cbranch_execnz .LBB6_1403
.LBB6_1404:
	s_wait_alu 0xfffe
	s_or_b32 exec_lo, exec_lo, s6
	v_mov_b32_e32 v3, 0
	s_mov_b32 s7, exec_lo
	s_mov_b32 s6, exec_lo
	s_wait_alu 0xfffe
	v_mbcnt_lo_u32_b32 v2, s7, 0
	global_load_b64 v[0:1], v3, s[2:3] offset:16
	v_cmpx_eq_u32_e32 0, v2
	s_cbranch_execz .LBB6_1406
; %bb.1405:
	s_bcnt1_i32_b32 s7, s7
	s_wait_alu 0xfffe
	v_mov_b32_e32 v2, s7
	global_wb scope:SCOPE_SYS
	s_wait_loadcnt 0x0
	global_atomic_add_u64 v[0:1], v[2:3], off offset:8 scope:SCOPE_SYS
.LBB6_1406:
	s_or_b32 exec_lo, exec_lo, s6
	s_wait_loadcnt 0x0
	global_load_b64 v[2:3], v[0:1], off offset:16
	s_wait_loadcnt 0x0
	v_cmp_eq_u64_e32 vcc_lo, 0, v[2:3]
	s_cbranch_vccnz .LBB6_1408
; %bb.1407:
	global_load_b32 v0, v[0:1], off offset:24
	s_wait_loadcnt 0x0
	v_dual_mov_b32 v1, 0 :: v_dual_and_b32 v6, 0xffffff, v0
	global_wb scope:SCOPE_SYS
	s_wait_storecnt 0x0
	global_store_b64 v[2:3], v[0:1], off scope:SCOPE_SYS
	v_readfirstlane_b32 m0, v6
	s_sendmsg sendmsg(MSG_INTERRUPT)
.LBB6_1408:
	s_wait_alu 0xfffe
	s_or_b32 exec_lo, exec_lo, s5
	s_branch .LBB6_1412
.LBB6_1409:                             ;   in Loop: Header=BB6_1412 Depth=1
	s_wait_alu 0xfffe
	s_or_b32 exec_lo, exec_lo, s5
	s_delay_alu instid0(VALU_DEP_1) | instskip(NEXT) | instid1(VALU_DEP_1)
	v_readfirstlane_b32 s5, v0
	s_cmp_eq_u32 s5, 0
	s_cbranch_scc1 .LBB6_1411
; %bb.1410:                             ;   in Loop: Header=BB6_1412 Depth=1
	s_sleep 1
	s_cbranch_execnz .LBB6_1412
	s_branch .LBB6_1414
.LBB6_1411:
	s_branch .LBB6_1414
.LBB6_1412:                             ; =>This Inner Loop Header: Depth=1
	v_mov_b32_e32 v0, 1
	s_and_saveexec_b32 s5, s0
	s_cbranch_execz .LBB6_1409
; %bb.1413:                             ;   in Loop: Header=BB6_1412 Depth=1
	global_load_b32 v0, v[10:11], off offset:20 scope:SCOPE_SYS
	s_wait_loadcnt 0x0
	global_inv scope:SCOPE_SYS
	v_and_b32_e32 v0, 1, v0
	s_branch .LBB6_1409
.LBB6_1414:
	global_load_b64 v[0:1], v[12:13], off
	s_and_saveexec_b32 s5, s0
	s_cbranch_execz .LBB6_1418
; %bb.1415:
	v_mov_b32_e32 v10, 0
	s_clause 0x2
	global_load_b64 v[2:3], v10, s[2:3] offset:40
	global_load_b64 v[11:12], v10, s[2:3] offset:24 scope:SCOPE_SYS
	global_load_b64 v[8:9], v10, s[2:3]
	s_wait_loadcnt 0x2
	v_add_co_u32 v13, vcc_lo, v2, 1
	s_wait_alu 0xfffd
	v_add_co_ci_u32_e32 v14, vcc_lo, 0, v3, vcc_lo
	s_delay_alu instid0(VALU_DEP_2) | instskip(SKIP_1) | instid1(VALU_DEP_2)
	v_add_co_u32 v6, vcc_lo, v13, s4
	s_wait_alu 0xfffd
	v_add_co_ci_u32_e32 v7, vcc_lo, s1, v14, vcc_lo
	s_delay_alu instid0(VALU_DEP_1) | instskip(SKIP_2) | instid1(VALU_DEP_1)
	v_cmp_eq_u64_e32 vcc_lo, 0, v[6:7]
	s_wait_alu 0xfffd
	v_dual_cndmask_b32 v7, v7, v14 :: v_dual_cndmask_b32 v6, v6, v13
	v_and_b32_e32 v3, v7, v3
	s_delay_alu instid0(VALU_DEP_2) | instskip(NEXT) | instid1(VALU_DEP_2)
	v_and_b32_e32 v2, v6, v2
	v_mul_lo_u32 v3, 24, v3
	s_delay_alu instid0(VALU_DEP_2) | instskip(SKIP_2) | instid1(VALU_DEP_3)
	v_mul_lo_u32 v13, 0, v2
	v_mul_hi_u32 v14, 24, v2
	v_mul_lo_u32 v2, 24, v2
	v_add_nc_u32_e32 v3, v3, v13
	s_wait_loadcnt 0x0
	s_delay_alu instid0(VALU_DEP_2) | instskip(SKIP_1) | instid1(VALU_DEP_3)
	v_add_co_u32 v2, vcc_lo, v8, v2
	v_mov_b32_e32 v8, v11
	v_add_nc_u32_e32 v3, v3, v14
	s_wait_alu 0xfffd
	s_delay_alu instid0(VALU_DEP_1)
	v_add_co_ci_u32_e32 v3, vcc_lo, v9, v3, vcc_lo
	v_mov_b32_e32 v9, v12
	global_store_b64 v[2:3], v[11:12], off
	global_wb scope:SCOPE_SYS
	s_wait_storecnt 0x0
	global_atomic_cmpswap_b64 v[8:9], v10, v[6:9], s[2:3] offset:24 th:TH_ATOMIC_RETURN scope:SCOPE_SYS
	s_wait_loadcnt 0x0
	v_cmp_ne_u64_e32 vcc_lo, v[8:9], v[11:12]
	s_and_b32 exec_lo, exec_lo, vcc_lo
	s_cbranch_execz .LBB6_1418
; %bb.1416:
	s_mov_b32 s0, 0
.LBB6_1417:                             ; =>This Inner Loop Header: Depth=1
	s_sleep 1
	global_store_b64 v[2:3], v[8:9], off
	global_wb scope:SCOPE_SYS
	s_wait_storecnt 0x0
	global_atomic_cmpswap_b64 v[11:12], v10, v[6:9], s[2:3] offset:24 th:TH_ATOMIC_RETURN scope:SCOPE_SYS
	s_wait_loadcnt 0x0
	v_cmp_eq_u64_e32 vcc_lo, v[11:12], v[8:9]
	v_dual_mov_b32 v8, v11 :: v_dual_mov_b32 v9, v12
	s_wait_alu 0xfffe
	s_or_b32 s0, vcc_lo, s0
	s_wait_alu 0xfffe
	s_and_not1_b32 exec_lo, exec_lo, s0
	s_cbranch_execnz .LBB6_1417
.LBB6_1418:
	s_wait_alu 0xfffe
	s_or_b32 exec_lo, exec_lo, s5
.LBB6_1419:
	s_getpc_b64 s[4:5]
	s_wait_alu 0xfffe
	s_sext_i32_i16 s5, s5
	s_add_co_u32 s4, s4, .str.4@rel32@lo+12
	s_wait_alu 0xfffe
	s_add_co_ci_u32 s5, s5, .str.4@rel32@hi+24
	s_wait_alu 0xfffe
	s_cmp_lg_u64 s[4:5], 0
	s_cbranch_scc0 .LBB6_1498
; %bb.1420:
	s_wait_loadcnt 0x0
	v_dual_mov_b32 v11, v1 :: v_dual_and_b32 v10, -3, v0
	v_dual_mov_b32 v7, 0 :: v_dual_mov_b32 v8, 2
	v_mov_b32_e32 v9, 1
	s_mov_b64 s[6:7], 13
	s_branch .LBB6_1422
.LBB6_1421:                             ;   in Loop: Header=BB6_1422 Depth=1
	s_wait_alu 0xfffe
	s_or_b32 exec_lo, exec_lo, s16
	s_sub_nc_u64 s[6:7], s[6:7], s[10:11]
	s_add_nc_u64 s[4:5], s[4:5], s[10:11]
	s_wait_alu 0xfffe
	s_cmp_lg_u64 s[6:7], 0
	s_cbranch_scc0 .LBB6_1497
.LBB6_1422:                             ; =>This Loop Header: Depth=1
                                        ;     Child Loop BB6_1431 Depth 2
                                        ;     Child Loop BB6_1427 Depth 2
	;; [unrolled: 1-line block ×11, first 2 shown]
	s_wait_alu 0xfffe
	v_cmp_lt_u64_e64 s0, s[6:7], 56
	v_cmp_gt_u64_e64 s1, s[6:7], 7
                                        ; implicit-def: $sgpr15
	s_delay_alu instid0(VALU_DEP_2) | instskip(SKIP_2) | instid1(VALU_DEP_1)
	s_and_b32 s0, s0, exec_lo
	s_cselect_b32 s11, s7, 0
	s_cselect_b32 s10, s6, 56
	s_and_b32 vcc_lo, exec_lo, s1
	s_mov_b32 s0, -1
	s_wait_alu 0xfffe
	s_cbranch_vccz .LBB6_1429
; %bb.1423:                             ;   in Loop: Header=BB6_1422 Depth=1
	s_and_not1_b32 vcc_lo, exec_lo, s0
	s_mov_b64 s[0:1], s[4:5]
	s_wait_alu 0xfffe
	s_cbranch_vccz .LBB6_1433
.LBB6_1424:                             ;   in Loop: Header=BB6_1422 Depth=1
	s_wait_alu 0xfffe
	s_cmp_gt_u32 s15, 7
	s_cbranch_scc1 .LBB6_1434
.LBB6_1425:                             ;   in Loop: Header=BB6_1422 Depth=1
	v_mov_b32_e32 v14, 0
	v_mov_b32_e32 v15, 0
	s_cmp_eq_u32 s15, 0
	s_cbranch_scc1 .LBB6_1428
; %bb.1426:                             ;   in Loop: Header=BB6_1422 Depth=1
	s_mov_b64 s[16:17], 0
	s_mov_b64 s[18:19], 0
.LBB6_1427:                             ;   Parent Loop BB6_1422 Depth=1
                                        ; =>  This Inner Loop Header: Depth=2
	s_wait_alu 0xfffe
	s_add_nc_u64 s[20:21], s[0:1], s[18:19]
	s_add_nc_u64 s[18:19], s[18:19], 1
	global_load_u8 v2, v7, s[20:21]
	s_wait_alu 0xfffe
	s_cmp_lg_u32 s15, s18
	s_wait_loadcnt 0x0
	v_and_b32_e32 v6, 0xffff, v2
	s_delay_alu instid0(VALU_DEP_1) | instskip(SKIP_1) | instid1(VALU_DEP_1)
	v_lshlrev_b64_e32 v[2:3], s16, v[6:7]
	s_add_nc_u64 s[16:17], s[16:17], 8
	v_or_b32_e32 v14, v2, v14
	s_delay_alu instid0(VALU_DEP_2)
	v_or_b32_e32 v15, v3, v15
	s_cbranch_scc1 .LBB6_1427
.LBB6_1428:                             ;   in Loop: Header=BB6_1422 Depth=1
	s_mov_b32 s20, 0
	s_cbranch_execz .LBB6_1435
	s_branch .LBB6_1436
.LBB6_1429:                             ;   in Loop: Header=BB6_1422 Depth=1
	s_wait_loadcnt 0x0
	v_mov_b32_e32 v12, 0
	v_mov_b32_e32 v13, 0
	s_cmp_eq_u64 s[6:7], 0
	s_mov_b64 s[0:1], 0
	s_cbranch_scc1 .LBB6_1432
; %bb.1430:                             ;   in Loop: Header=BB6_1422 Depth=1
	v_mov_b32_e32 v12, 0
	v_mov_b32_e32 v13, 0
	s_mov_b64 s[16:17], 0
.LBB6_1431:                             ;   Parent Loop BB6_1422 Depth=1
                                        ; =>  This Inner Loop Header: Depth=2
	s_wait_alu 0xfffe
	s_add_nc_u64 s[18:19], s[4:5], s[16:17]
	s_add_nc_u64 s[16:17], s[16:17], 1
	global_load_u8 v2, v7, s[18:19]
	s_wait_alu 0xfffe
	s_cmp_lg_u32 s10, s16
	s_wait_loadcnt 0x0
	v_and_b32_e32 v6, 0xffff, v2
	s_delay_alu instid0(VALU_DEP_1) | instskip(SKIP_1) | instid1(VALU_DEP_1)
	v_lshlrev_b64_e32 v[2:3], s0, v[6:7]
	s_add_nc_u64 s[0:1], s[0:1], 8
	v_or_b32_e32 v12, v2, v12
	s_delay_alu instid0(VALU_DEP_2)
	v_or_b32_e32 v13, v3, v13
	s_cbranch_scc1 .LBB6_1431
.LBB6_1432:                             ;   in Loop: Header=BB6_1422 Depth=1
	s_mov_b32 s15, 0
	s_mov_b64 s[0:1], s[4:5]
	s_cbranch_execnz .LBB6_1424
.LBB6_1433:                             ;   in Loop: Header=BB6_1422 Depth=1
	global_load_b64 v[12:13], v7, s[4:5]
	s_add_co_i32 s15, s10, -8
	s_add_nc_u64 s[0:1], s[4:5], 8
	s_wait_alu 0xfffe
	s_cmp_gt_u32 s15, 7
	s_cbranch_scc0 .LBB6_1425
.LBB6_1434:                             ;   in Loop: Header=BB6_1422 Depth=1
                                        ; implicit-def: $vgpr14_vgpr15
                                        ; implicit-def: $sgpr20
.LBB6_1435:                             ;   in Loop: Header=BB6_1422 Depth=1
	global_load_b64 v[14:15], v7, s[0:1]
	s_add_co_i32 s20, s15, -8
	s_add_nc_u64 s[0:1], s[0:1], 8
.LBB6_1436:                             ;   in Loop: Header=BB6_1422 Depth=1
	s_wait_alu 0xfffe
	s_cmp_gt_u32 s20, 7
	s_cbranch_scc1 .LBB6_1441
; %bb.1437:                             ;   in Loop: Header=BB6_1422 Depth=1
	v_mov_b32_e32 v16, 0
	v_mov_b32_e32 v17, 0
	s_cmp_eq_u32 s20, 0
	s_cbranch_scc1 .LBB6_1440
; %bb.1438:                             ;   in Loop: Header=BB6_1422 Depth=1
	s_mov_b64 s[16:17], 0
	s_mov_b64 s[18:19], 0
.LBB6_1439:                             ;   Parent Loop BB6_1422 Depth=1
                                        ; =>  This Inner Loop Header: Depth=2
	s_wait_alu 0xfffe
	s_add_nc_u64 s[22:23], s[0:1], s[18:19]
	s_add_nc_u64 s[18:19], s[18:19], 1
	global_load_u8 v2, v7, s[22:23]
	s_wait_alu 0xfffe
	s_cmp_lg_u32 s20, s18
	s_wait_loadcnt 0x0
	v_and_b32_e32 v6, 0xffff, v2
	s_delay_alu instid0(VALU_DEP_1) | instskip(SKIP_1) | instid1(VALU_DEP_1)
	v_lshlrev_b64_e32 v[2:3], s16, v[6:7]
	s_add_nc_u64 s[16:17], s[16:17], 8
	v_or_b32_e32 v16, v2, v16
	s_delay_alu instid0(VALU_DEP_2)
	v_or_b32_e32 v17, v3, v17
	s_cbranch_scc1 .LBB6_1439
.LBB6_1440:                             ;   in Loop: Header=BB6_1422 Depth=1
	s_mov_b32 s15, 0
	s_cbranch_execz .LBB6_1442
	s_branch .LBB6_1443
.LBB6_1441:                             ;   in Loop: Header=BB6_1422 Depth=1
                                        ; implicit-def: $sgpr15
.LBB6_1442:                             ;   in Loop: Header=BB6_1422 Depth=1
	global_load_b64 v[16:17], v7, s[0:1]
	s_add_co_i32 s15, s20, -8
	s_add_nc_u64 s[0:1], s[0:1], 8
.LBB6_1443:                             ;   in Loop: Header=BB6_1422 Depth=1
	s_wait_alu 0xfffe
	s_cmp_gt_u32 s15, 7
	s_cbranch_scc1 .LBB6_1448
; %bb.1444:                             ;   in Loop: Header=BB6_1422 Depth=1
	v_mov_b32_e32 v18, 0
	v_mov_b32_e32 v19, 0
	s_cmp_eq_u32 s15, 0
	s_cbranch_scc1 .LBB6_1447
; %bb.1445:                             ;   in Loop: Header=BB6_1422 Depth=1
	s_mov_b64 s[16:17], 0
	s_mov_b64 s[18:19], 0
.LBB6_1446:                             ;   Parent Loop BB6_1422 Depth=1
                                        ; =>  This Inner Loop Header: Depth=2
	s_wait_alu 0xfffe
	s_add_nc_u64 s[20:21], s[0:1], s[18:19]
	s_add_nc_u64 s[18:19], s[18:19], 1
	global_load_u8 v2, v7, s[20:21]
	s_wait_alu 0xfffe
	s_cmp_lg_u32 s15, s18
	s_wait_loadcnt 0x0
	v_and_b32_e32 v6, 0xffff, v2
	s_delay_alu instid0(VALU_DEP_1) | instskip(SKIP_1) | instid1(VALU_DEP_1)
	v_lshlrev_b64_e32 v[2:3], s16, v[6:7]
	s_add_nc_u64 s[16:17], s[16:17], 8
	v_or_b32_e32 v18, v2, v18
	s_delay_alu instid0(VALU_DEP_2)
	v_or_b32_e32 v19, v3, v19
	s_cbranch_scc1 .LBB6_1446
.LBB6_1447:                             ;   in Loop: Header=BB6_1422 Depth=1
	s_mov_b32 s20, 0
	s_cbranch_execz .LBB6_1449
	s_branch .LBB6_1450
.LBB6_1448:                             ;   in Loop: Header=BB6_1422 Depth=1
                                        ; implicit-def: $vgpr18_vgpr19
                                        ; implicit-def: $sgpr20
.LBB6_1449:                             ;   in Loop: Header=BB6_1422 Depth=1
	global_load_b64 v[18:19], v7, s[0:1]
	s_add_co_i32 s20, s15, -8
	s_add_nc_u64 s[0:1], s[0:1], 8
.LBB6_1450:                             ;   in Loop: Header=BB6_1422 Depth=1
	s_wait_alu 0xfffe
	s_cmp_gt_u32 s20, 7
	s_cbranch_scc1 .LBB6_1455
; %bb.1451:                             ;   in Loop: Header=BB6_1422 Depth=1
	v_mov_b32_e32 v20, 0
	v_mov_b32_e32 v21, 0
	s_cmp_eq_u32 s20, 0
	s_cbranch_scc1 .LBB6_1454
; %bb.1452:                             ;   in Loop: Header=BB6_1422 Depth=1
	s_mov_b64 s[16:17], 0
	s_mov_b64 s[18:19], 0
.LBB6_1453:                             ;   Parent Loop BB6_1422 Depth=1
                                        ; =>  This Inner Loop Header: Depth=2
	s_wait_alu 0xfffe
	s_add_nc_u64 s[22:23], s[0:1], s[18:19]
	s_add_nc_u64 s[18:19], s[18:19], 1
	global_load_u8 v2, v7, s[22:23]
	s_wait_alu 0xfffe
	s_cmp_lg_u32 s20, s18
	s_wait_loadcnt 0x0
	v_and_b32_e32 v6, 0xffff, v2
	s_delay_alu instid0(VALU_DEP_1) | instskip(SKIP_1) | instid1(VALU_DEP_1)
	v_lshlrev_b64_e32 v[2:3], s16, v[6:7]
	s_add_nc_u64 s[16:17], s[16:17], 8
	v_or_b32_e32 v20, v2, v20
	s_delay_alu instid0(VALU_DEP_2)
	v_or_b32_e32 v21, v3, v21
	s_cbranch_scc1 .LBB6_1453
.LBB6_1454:                             ;   in Loop: Header=BB6_1422 Depth=1
	s_mov_b32 s15, 0
	s_cbranch_execz .LBB6_1456
	s_branch .LBB6_1457
.LBB6_1455:                             ;   in Loop: Header=BB6_1422 Depth=1
                                        ; implicit-def: $sgpr15
.LBB6_1456:                             ;   in Loop: Header=BB6_1422 Depth=1
	global_load_b64 v[20:21], v7, s[0:1]
	s_add_co_i32 s15, s20, -8
	s_add_nc_u64 s[0:1], s[0:1], 8
.LBB6_1457:                             ;   in Loop: Header=BB6_1422 Depth=1
	s_wait_alu 0xfffe
	s_cmp_gt_u32 s15, 7
	s_cbranch_scc1 .LBB6_1462
; %bb.1458:                             ;   in Loop: Header=BB6_1422 Depth=1
	v_mov_b32_e32 v22, 0
	v_mov_b32_e32 v23, 0
	s_cmp_eq_u32 s15, 0
	s_cbranch_scc1 .LBB6_1461
; %bb.1459:                             ;   in Loop: Header=BB6_1422 Depth=1
	s_mov_b64 s[16:17], 0
	s_mov_b64 s[18:19], 0
.LBB6_1460:                             ;   Parent Loop BB6_1422 Depth=1
                                        ; =>  This Inner Loop Header: Depth=2
	s_wait_alu 0xfffe
	s_add_nc_u64 s[20:21], s[0:1], s[18:19]
	s_add_nc_u64 s[18:19], s[18:19], 1
	global_load_u8 v2, v7, s[20:21]
	s_wait_alu 0xfffe
	s_cmp_lg_u32 s15, s18
	s_wait_loadcnt 0x0
	v_and_b32_e32 v6, 0xffff, v2
	s_delay_alu instid0(VALU_DEP_1) | instskip(SKIP_1) | instid1(VALU_DEP_1)
	v_lshlrev_b64_e32 v[2:3], s16, v[6:7]
	s_add_nc_u64 s[16:17], s[16:17], 8
	v_or_b32_e32 v22, v2, v22
	s_delay_alu instid0(VALU_DEP_2)
	v_or_b32_e32 v23, v3, v23
	s_cbranch_scc1 .LBB6_1460
.LBB6_1461:                             ;   in Loop: Header=BB6_1422 Depth=1
	s_mov_b32 s20, 0
	s_cbranch_execz .LBB6_1463
	s_branch .LBB6_1464
.LBB6_1462:                             ;   in Loop: Header=BB6_1422 Depth=1
                                        ; implicit-def: $vgpr22_vgpr23
                                        ; implicit-def: $sgpr20
.LBB6_1463:                             ;   in Loop: Header=BB6_1422 Depth=1
	global_load_b64 v[22:23], v7, s[0:1]
	s_add_co_i32 s20, s15, -8
	s_add_nc_u64 s[0:1], s[0:1], 8
.LBB6_1464:                             ;   in Loop: Header=BB6_1422 Depth=1
	s_wait_alu 0xfffe
	s_cmp_gt_u32 s20, 7
	s_cbranch_scc1 .LBB6_1469
; %bb.1465:                             ;   in Loop: Header=BB6_1422 Depth=1
	v_mov_b32_e32 v24, 0
	v_mov_b32_e32 v25, 0
	s_cmp_eq_u32 s20, 0
	s_cbranch_scc1 .LBB6_1468
; %bb.1466:                             ;   in Loop: Header=BB6_1422 Depth=1
	s_mov_b64 s[16:17], 0
	s_mov_b64 s[18:19], s[0:1]
.LBB6_1467:                             ;   Parent Loop BB6_1422 Depth=1
                                        ; =>  This Inner Loop Header: Depth=2
	global_load_u8 v2, v7, s[18:19]
	s_add_co_i32 s20, s20, -1
	s_wait_alu 0xfffe
	s_add_nc_u64 s[18:19], s[18:19], 1
	s_cmp_lg_u32 s20, 0
	s_wait_loadcnt 0x0
	v_and_b32_e32 v6, 0xffff, v2
	s_delay_alu instid0(VALU_DEP_1) | instskip(SKIP_1) | instid1(VALU_DEP_1)
	v_lshlrev_b64_e32 v[2:3], s16, v[6:7]
	s_add_nc_u64 s[16:17], s[16:17], 8
	v_or_b32_e32 v24, v2, v24
	s_delay_alu instid0(VALU_DEP_2)
	v_or_b32_e32 v25, v3, v25
	s_cbranch_scc1 .LBB6_1467
.LBB6_1468:                             ;   in Loop: Header=BB6_1422 Depth=1
	s_cbranch_execz .LBB6_1470
	s_branch .LBB6_1471
.LBB6_1469:                             ;   in Loop: Header=BB6_1422 Depth=1
.LBB6_1470:                             ;   in Loop: Header=BB6_1422 Depth=1
	global_load_b64 v[24:25], v7, s[0:1]
.LBB6_1471:                             ;   in Loop: Header=BB6_1422 Depth=1
	v_readfirstlane_b32 s0, v35
	v_mov_b32_e32 v2, 0
	v_mov_b32_e32 v3, 0
	s_wait_alu 0xf1ff
	s_delay_alu instid0(VALU_DEP_3) | instskip(NEXT) | instid1(VALU_DEP_1)
	v_cmp_eq_u32_e64 s0, s0, v35
	s_and_saveexec_b32 s1, s0
	s_cbranch_execz .LBB6_1477
; %bb.1472:                             ;   in Loop: Header=BB6_1422 Depth=1
	global_load_b64 v[28:29], v7, s[2:3] offset:24 scope:SCOPE_SYS
	s_wait_loadcnt 0x0
	global_inv scope:SCOPE_SYS
	s_clause 0x1
	global_load_b64 v[2:3], v7, s[2:3] offset:40
	global_load_b64 v[26:27], v7, s[2:3]
	s_mov_b32 s15, exec_lo
	s_wait_loadcnt 0x1
	v_and_b32_e32 v3, v3, v29
	v_and_b32_e32 v2, v2, v28
	s_delay_alu instid0(VALU_DEP_2) | instskip(NEXT) | instid1(VALU_DEP_2)
	v_mul_lo_u32 v3, 24, v3
	v_mul_lo_u32 v6, 0, v2
	v_mul_hi_u32 v30, 24, v2
	v_mul_lo_u32 v2, 24, v2
	s_delay_alu instid0(VALU_DEP_3) | instskip(SKIP_1) | instid1(VALU_DEP_2)
	v_add_nc_u32_e32 v3, v3, v6
	s_wait_loadcnt 0x0
	v_add_co_u32 v2, vcc_lo, v26, v2
	s_delay_alu instid0(VALU_DEP_2) | instskip(SKIP_1) | instid1(VALU_DEP_1)
	v_add_nc_u32_e32 v3, v3, v30
	s_wait_alu 0xfffd
	v_add_co_ci_u32_e32 v3, vcc_lo, v27, v3, vcc_lo
	global_load_b64 v[26:27], v[2:3], off scope:SCOPE_SYS
	s_wait_loadcnt 0x0
	global_atomic_cmpswap_b64 v[2:3], v7, v[26:29], s[2:3] offset:24 th:TH_ATOMIC_RETURN scope:SCOPE_SYS
	s_wait_loadcnt 0x0
	global_inv scope:SCOPE_SYS
	v_cmpx_ne_u64_e64 v[2:3], v[28:29]
	s_cbranch_execz .LBB6_1476
; %bb.1473:                             ;   in Loop: Header=BB6_1422 Depth=1
	s_mov_b32 s16, 0
.LBB6_1474:                             ;   Parent Loop BB6_1422 Depth=1
                                        ; =>  This Inner Loop Header: Depth=2
	s_sleep 1
	s_clause 0x1
	global_load_b64 v[26:27], v7, s[2:3] offset:40
	global_load_b64 v[30:31], v7, s[2:3]
	v_dual_mov_b32 v29, v3 :: v_dual_mov_b32 v28, v2
	s_wait_loadcnt 0x1
	s_delay_alu instid0(VALU_DEP_1) | instskip(NEXT) | instid1(VALU_DEP_2)
	v_and_b32_e32 v2, v26, v28
	v_and_b32_e32 v6, v27, v29
	s_wait_loadcnt 0x0
	s_delay_alu instid0(VALU_DEP_2) | instskip(NEXT) | instid1(VALU_DEP_1)
	v_mad_co_u64_u32 v[2:3], null, v2, 24, v[30:31]
	v_mad_co_u64_u32 v[26:27], null, v6, 24, v[3:4]
	s_delay_alu instid0(VALU_DEP_1)
	v_mov_b32_e32 v3, v26
	global_load_b64 v[26:27], v[2:3], off scope:SCOPE_SYS
	s_wait_loadcnt 0x0
	global_atomic_cmpswap_b64 v[2:3], v7, v[26:29], s[2:3] offset:24 th:TH_ATOMIC_RETURN scope:SCOPE_SYS
	s_wait_loadcnt 0x0
	global_inv scope:SCOPE_SYS
	v_cmp_eq_u64_e32 vcc_lo, v[2:3], v[28:29]
	s_wait_alu 0xfffe
	s_or_b32 s16, vcc_lo, s16
	s_wait_alu 0xfffe
	s_and_not1_b32 exec_lo, exec_lo, s16
	s_cbranch_execnz .LBB6_1474
; %bb.1475:                             ;   in Loop: Header=BB6_1422 Depth=1
	s_or_b32 exec_lo, exec_lo, s16
.LBB6_1476:                             ;   in Loop: Header=BB6_1422 Depth=1
	s_wait_alu 0xfffe
	s_or_b32 exec_lo, exec_lo, s15
.LBB6_1477:                             ;   in Loop: Header=BB6_1422 Depth=1
	s_wait_alu 0xfffe
	s_or_b32 exec_lo, exec_lo, s1
	s_clause 0x1
	global_load_b64 v[30:31], v7, s[2:3] offset:40
	global_load_b128 v[26:29], v7, s[2:3]
	v_readfirstlane_b32 s1, v3
	v_readfirstlane_b32 s15, v2
	s_mov_b32 s16, exec_lo
	s_wait_loadcnt 0x1
	s_wait_alu 0xf1ff
	v_and_b32_e32 v31, s1, v31
	v_and_b32_e32 v30, s15, v30
	s_delay_alu instid0(VALU_DEP_2) | instskip(NEXT) | instid1(VALU_DEP_2)
	v_mul_lo_u32 v2, 24, v31
	v_mul_lo_u32 v3, 0, v30
	v_mul_hi_u32 v6, 24, v30
	v_mul_lo_u32 v32, 24, v30
	s_delay_alu instid0(VALU_DEP_3) | instskip(NEXT) | instid1(VALU_DEP_1)
	v_add_nc_u32_e32 v2, v2, v3
	v_add_nc_u32_e32 v3, v2, v6
	s_wait_loadcnt 0x0
	s_delay_alu instid0(VALU_DEP_3) | instskip(SKIP_1) | instid1(VALU_DEP_2)
	v_add_co_u32 v2, vcc_lo, v26, v32
	s_wait_alu 0xfffd
	v_add_co_ci_u32_e32 v3, vcc_lo, v27, v3, vcc_lo
	s_and_saveexec_b32 s17, s0
	s_cbranch_execz .LBB6_1479
; %bb.1478:                             ;   in Loop: Header=BB6_1422 Depth=1
	s_wait_alu 0xfffe
	v_mov_b32_e32 v6, s16
	global_store_b128 v[2:3], v[6:9], off offset:8
.LBB6_1479:                             ;   in Loop: Header=BB6_1422 Depth=1
	s_wait_alu 0xfffe
	s_or_b32 exec_lo, exec_lo, s17
	v_lshlrev_b64_e32 v[30:31], 12, v[30:31]
	v_cmp_gt_u64_e64 vcc_lo, s[6:7], 56
	v_or_b32_e32 v6, 2, v10
	s_lshl_b32 s16, s10, 2
	s_wait_alu 0xfffe
	s_add_co_i32 s16, s16, 28
	s_wait_alu 0xfffd
	v_cndmask_b32_e32 v6, v6, v10, vcc_lo
	v_add_co_u32 v28, vcc_lo, v28, v30
	s_wait_alu 0xfffd
	v_add_co_ci_u32_e32 v29, vcc_lo, v29, v31, vcc_lo
	s_wait_alu 0xfffe
	s_and_b32 s16, s16, 0x1e0
	s_wait_alu 0xfffe
	v_and_or_b32 v10, 0xffffff1f, v6, s16
	v_readfirstlane_b32 s16, v28
	v_readfirstlane_b32 s17, v29
	s_clause 0x3
	global_store_b128 v34, v[10:13], s[16:17]
	global_store_b128 v34, v[14:17], s[16:17] offset:16
	global_store_b128 v34, v[18:21], s[16:17] offset:32
	global_store_b128 v34, v[22:25], s[16:17] offset:48
	s_and_saveexec_b32 s16, s0
	s_cbranch_execz .LBB6_1487
; %bb.1480:                             ;   in Loop: Header=BB6_1422 Depth=1
	s_clause 0x1
	global_load_b64 v[18:19], v7, s[2:3] offset:32 scope:SCOPE_SYS
	global_load_b64 v[10:11], v7, s[2:3] offset:40
	v_mov_b32_e32 v16, s15
	s_mov_b32 s17, exec_lo
	s_wait_loadcnt 0x0
	v_dual_mov_b32 v17, s1 :: v_dual_and_b32 v6, s1, v11
	v_and_b32_e32 v10, s15, v10
	s_delay_alu instid0(VALU_DEP_2) | instskip(NEXT) | instid1(VALU_DEP_2)
	v_mul_lo_u32 v6, 24, v6
	v_mul_lo_u32 v11, 0, v10
	v_mul_hi_u32 v12, 24, v10
	v_mul_lo_u32 v10, 24, v10
	s_delay_alu instid0(VALU_DEP_3) | instskip(NEXT) | instid1(VALU_DEP_2)
	v_add_nc_u32_e32 v6, v6, v11
	v_add_co_u32 v14, vcc_lo, v26, v10
	s_delay_alu instid0(VALU_DEP_2) | instskip(SKIP_1) | instid1(VALU_DEP_1)
	v_add_nc_u32_e32 v6, v6, v12
	s_wait_alu 0xfffd
	v_add_co_ci_u32_e32 v15, vcc_lo, v27, v6, vcc_lo
	global_store_b64 v[14:15], v[18:19], off
	global_wb scope:SCOPE_SYS
	s_wait_storecnt 0x0
	global_atomic_cmpswap_b64 v[12:13], v7, v[16:19], s[2:3] offset:32 th:TH_ATOMIC_RETURN scope:SCOPE_SYS
	s_wait_loadcnt 0x0
	v_cmpx_ne_u64_e64 v[12:13], v[18:19]
	s_cbranch_execz .LBB6_1483
; %bb.1481:                             ;   in Loop: Header=BB6_1422 Depth=1
	s_mov_b32 s18, 0
.LBB6_1482:                             ;   Parent Loop BB6_1422 Depth=1
                                        ; =>  This Inner Loop Header: Depth=2
	v_dual_mov_b32 v10, s15 :: v_dual_mov_b32 v11, s1
	s_sleep 1
	global_store_b64 v[14:15], v[12:13], off
	global_wb scope:SCOPE_SYS
	s_wait_storecnt 0x0
	global_atomic_cmpswap_b64 v[10:11], v7, v[10:13], s[2:3] offset:32 th:TH_ATOMIC_RETURN scope:SCOPE_SYS
	s_wait_loadcnt 0x0
	v_cmp_eq_u64_e32 vcc_lo, v[10:11], v[12:13]
	v_dual_mov_b32 v13, v11 :: v_dual_mov_b32 v12, v10
	s_wait_alu 0xfffe
	s_or_b32 s18, vcc_lo, s18
	s_wait_alu 0xfffe
	s_and_not1_b32 exec_lo, exec_lo, s18
	s_cbranch_execnz .LBB6_1482
.LBB6_1483:                             ;   in Loop: Header=BB6_1422 Depth=1
	s_wait_alu 0xfffe
	s_or_b32 exec_lo, exec_lo, s17
	global_load_b64 v[10:11], v7, s[2:3] offset:16
	s_mov_b32 s18, exec_lo
	s_mov_b32 s17, exec_lo
	s_wait_alu 0xfffe
	v_mbcnt_lo_u32_b32 v6, s18, 0
	s_delay_alu instid0(VALU_DEP_1)
	v_cmpx_eq_u32_e32 0, v6
	s_cbranch_execz .LBB6_1485
; %bb.1484:                             ;   in Loop: Header=BB6_1422 Depth=1
	s_bcnt1_i32_b32 s18, s18
	s_wait_alu 0xfffe
	v_mov_b32_e32 v6, s18
	global_wb scope:SCOPE_SYS
	s_wait_loadcnt 0x0
	global_atomic_add_u64 v[10:11], v[6:7], off offset:8 scope:SCOPE_SYS
.LBB6_1485:                             ;   in Loop: Header=BB6_1422 Depth=1
	s_or_b32 exec_lo, exec_lo, s17
	s_wait_loadcnt 0x0
	global_load_b64 v[12:13], v[10:11], off offset:16
	s_wait_loadcnt 0x0
	v_cmp_eq_u64_e32 vcc_lo, 0, v[12:13]
	s_cbranch_vccnz .LBB6_1487
; %bb.1486:                             ;   in Loop: Header=BB6_1422 Depth=1
	global_load_b32 v6, v[10:11], off offset:24
	s_wait_loadcnt 0x0
	v_and_b32_e32 v10, 0xffffff, v6
	global_wb scope:SCOPE_SYS
	s_wait_storecnt 0x0
	global_store_b64 v[12:13], v[6:7], off scope:SCOPE_SYS
	v_readfirstlane_b32 m0, v10
	s_sendmsg sendmsg(MSG_INTERRUPT)
.LBB6_1487:                             ;   in Loop: Header=BB6_1422 Depth=1
	s_wait_alu 0xfffe
	s_or_b32 exec_lo, exec_lo, s16
	v_add_co_u32 v10, vcc_lo, v28, v34
	s_wait_alu 0xfffd
	v_add_co_ci_u32_e32 v11, vcc_lo, 0, v29, vcc_lo
	s_branch .LBB6_1491
.LBB6_1488:                             ;   in Loop: Header=BB6_1491 Depth=2
	s_wait_alu 0xfffe
	s_or_b32 exec_lo, exec_lo, s16
	s_delay_alu instid0(VALU_DEP_1) | instskip(NEXT) | instid1(VALU_DEP_1)
	v_readfirstlane_b32 s16, v6
	s_cmp_eq_u32 s16, 0
	s_cbranch_scc1 .LBB6_1490
; %bb.1489:                             ;   in Loop: Header=BB6_1491 Depth=2
	s_sleep 1
	s_cbranch_execnz .LBB6_1491
	s_branch .LBB6_1493
.LBB6_1490:                             ;   in Loop: Header=BB6_1422 Depth=1
	s_branch .LBB6_1493
.LBB6_1491:                             ;   Parent Loop BB6_1422 Depth=1
                                        ; =>  This Inner Loop Header: Depth=2
	v_mov_b32_e32 v6, 1
	s_and_saveexec_b32 s16, s0
	s_cbranch_execz .LBB6_1488
; %bb.1492:                             ;   in Loop: Header=BB6_1491 Depth=2
	global_load_b32 v6, v[2:3], off offset:20 scope:SCOPE_SYS
	s_wait_loadcnt 0x0
	global_inv scope:SCOPE_SYS
	v_and_b32_e32 v6, 1, v6
	s_branch .LBB6_1488
.LBB6_1493:                             ;   in Loop: Header=BB6_1422 Depth=1
	global_load_b128 v[10:13], v[10:11], off
	s_and_saveexec_b32 s16, s0
	s_cbranch_execz .LBB6_1421
; %bb.1494:                             ;   in Loop: Header=BB6_1422 Depth=1
	s_clause 0x2
	global_load_b64 v[2:3], v7, s[2:3] offset:40
	global_load_b64 v[16:17], v7, s[2:3] offset:24 scope:SCOPE_SYS
	global_load_b64 v[14:15], v7, s[2:3]
	s_wait_loadcnt 0x2
	v_add_co_u32 v6, vcc_lo, v2, 1
	s_wait_alu 0xfffd
	v_add_co_ci_u32_e32 v18, vcc_lo, 0, v3, vcc_lo
	s_delay_alu instid0(VALU_DEP_2) | instskip(SKIP_1) | instid1(VALU_DEP_2)
	v_add_co_u32 v12, vcc_lo, v6, s15
	s_wait_alu 0xfffd
	v_add_co_ci_u32_e32 v13, vcc_lo, s1, v18, vcc_lo
	s_delay_alu instid0(VALU_DEP_1) | instskip(SKIP_3) | instid1(VALU_DEP_1)
	v_cmp_eq_u64_e32 vcc_lo, 0, v[12:13]
	s_wait_alu 0xfffd
	v_cndmask_b32_e32 v13, v13, v18, vcc_lo
	v_cndmask_b32_e32 v12, v12, v6, vcc_lo
	v_and_b32_e32 v2, v12, v2
	s_delay_alu instid0(VALU_DEP_1) | instskip(SKIP_3) | instid1(VALU_DEP_1)
	v_mul_lo_u32 v6, 0, v2
	v_mul_hi_u32 v18, 24, v2
	v_mul_lo_u32 v2, 24, v2
	s_wait_loadcnt 0x0
	v_add_co_u32 v2, vcc_lo, v14, v2
	v_dual_mov_b32 v14, v16 :: v_dual_and_b32 v3, v13, v3
	s_delay_alu instid0(VALU_DEP_1) | instskip(NEXT) | instid1(VALU_DEP_1)
	v_mul_lo_u32 v3, 24, v3
	v_add_nc_u32_e32 v3, v3, v6
	s_delay_alu instid0(VALU_DEP_1) | instskip(SKIP_1) | instid1(VALU_DEP_1)
	v_add_nc_u32_e32 v3, v3, v18
	s_wait_alu 0xfffd
	v_add_co_ci_u32_e32 v3, vcc_lo, v15, v3, vcc_lo
	v_mov_b32_e32 v15, v17
	global_store_b64 v[2:3], v[16:17], off
	global_wb scope:SCOPE_SYS
	s_wait_storecnt 0x0
	global_atomic_cmpswap_b64 v[14:15], v7, v[12:15], s[2:3] offset:24 th:TH_ATOMIC_RETURN scope:SCOPE_SYS
	s_wait_loadcnt 0x0
	v_cmp_ne_u64_e32 vcc_lo, v[14:15], v[16:17]
	s_and_b32 exec_lo, exec_lo, vcc_lo
	s_cbranch_execz .LBB6_1421
; %bb.1495:                             ;   in Loop: Header=BB6_1422 Depth=1
	s_mov_b32 s0, 0
.LBB6_1496:                             ;   Parent Loop BB6_1422 Depth=1
                                        ; =>  This Inner Loop Header: Depth=2
	s_sleep 1
	global_store_b64 v[2:3], v[14:15], off
	global_wb scope:SCOPE_SYS
	s_wait_storecnt 0x0
	global_atomic_cmpswap_b64 v[16:17], v7, v[12:15], s[2:3] offset:24 th:TH_ATOMIC_RETURN scope:SCOPE_SYS
	s_wait_loadcnt 0x0
	v_cmp_eq_u64_e32 vcc_lo, v[16:17], v[14:15]
	v_dual_mov_b32 v14, v16 :: v_dual_mov_b32 v15, v17
	s_wait_alu 0xfffe
	s_or_b32 s0, vcc_lo, s0
	s_wait_alu 0xfffe
	s_and_not1_b32 exec_lo, exec_lo, s0
	s_cbranch_execnz .LBB6_1496
	s_branch .LBB6_1421
.LBB6_1497:
	s_mov_b32 s0, 0
	s_branch .LBB6_1499
.LBB6_1498:
	s_mov_b32 s0, -1
.LBB6_1499:
	s_mov_b32 s38, s12
	s_mov_b32 s39, s13
	;; [unrolled: 1-line block ×3, first 2 shown]
	s_wait_alu 0xfffe
	s_and_b32 vcc_lo, exec_lo, s0
	s_wait_alu 0xfffe
	s_cbranch_vccz .LBB6_1527
; %bb.1500:
	v_readfirstlane_b32 s0, v35
	s_wait_loadcnt 0x0
	v_mov_b32_e32 v10, 0
	v_mov_b32_e32 v11, 0
	s_wait_alu 0xf1ff
	v_cmp_eq_u32_e64 s0, s0, v35
	s_delay_alu instid0(VALU_DEP_1)
	s_and_saveexec_b32 s1, s0
	s_cbranch_execz .LBB6_1506
; %bb.1501:
	v_mov_b32_e32 v2, 0
	s_mov_b32 s4, exec_lo
	global_load_b64 v[8:9], v2, s[2:3] offset:24 scope:SCOPE_SYS
	s_wait_loadcnt 0x0
	global_inv scope:SCOPE_SYS
	s_clause 0x1
	global_load_b64 v[6:7], v2, s[2:3] offset:40
	global_load_b64 v[10:11], v2, s[2:3]
	s_wait_loadcnt 0x1
	v_and_b32_e32 v3, v7, v9
	v_and_b32_e32 v6, v6, v8
	s_delay_alu instid0(VALU_DEP_2) | instskip(NEXT) | instid1(VALU_DEP_2)
	v_mul_lo_u32 v3, 24, v3
	v_mul_lo_u32 v7, 0, v6
	v_mul_hi_u32 v12, 24, v6
	v_mul_lo_u32 v6, 24, v6
	s_delay_alu instid0(VALU_DEP_3) | instskip(SKIP_1) | instid1(VALU_DEP_2)
	v_add_nc_u32_e32 v3, v3, v7
	s_wait_loadcnt 0x0
	v_add_co_u32 v6, vcc_lo, v10, v6
	s_delay_alu instid0(VALU_DEP_2) | instskip(SKIP_1) | instid1(VALU_DEP_1)
	v_add_nc_u32_e32 v3, v3, v12
	s_wait_alu 0xfffd
	v_add_co_ci_u32_e32 v7, vcc_lo, v11, v3, vcc_lo
	global_load_b64 v[6:7], v[6:7], off scope:SCOPE_SYS
	s_wait_loadcnt 0x0
	global_atomic_cmpswap_b64 v[10:11], v2, v[6:9], s[2:3] offset:24 th:TH_ATOMIC_RETURN scope:SCOPE_SYS
	s_wait_loadcnt 0x0
	global_inv scope:SCOPE_SYS
	v_cmpx_ne_u64_e64 v[10:11], v[8:9]
	s_cbranch_execz .LBB6_1505
; %bb.1502:
	s_mov_b32 s5, 0
.LBB6_1503:                             ; =>This Inner Loop Header: Depth=1
	s_sleep 1
	s_clause 0x1
	global_load_b64 v[6:7], v2, s[2:3] offset:40
	global_load_b64 v[12:13], v2, s[2:3]
	v_dual_mov_b32 v8, v10 :: v_dual_mov_b32 v9, v11
	s_wait_loadcnt 0x1
	s_delay_alu instid0(VALU_DEP_1) | instskip(NEXT) | instid1(VALU_DEP_2)
	v_and_b32_e32 v3, v6, v8
	v_and_b32_e32 v6, v7, v9
	s_wait_loadcnt 0x0
	s_delay_alu instid0(VALU_DEP_2) | instskip(NEXT) | instid1(VALU_DEP_1)
	v_mad_co_u64_u32 v[10:11], null, v3, 24, v[12:13]
	v_mov_b32_e32 v3, v11
	s_delay_alu instid0(VALU_DEP_1) | instskip(NEXT) | instid1(VALU_DEP_1)
	v_mad_co_u64_u32 v[6:7], null, v6, 24, v[3:4]
	v_mov_b32_e32 v11, v6
	global_load_b64 v[6:7], v[10:11], off scope:SCOPE_SYS
	s_wait_loadcnt 0x0
	global_atomic_cmpswap_b64 v[10:11], v2, v[6:9], s[2:3] offset:24 th:TH_ATOMIC_RETURN scope:SCOPE_SYS
	s_wait_loadcnt 0x0
	global_inv scope:SCOPE_SYS
	v_cmp_eq_u64_e32 vcc_lo, v[10:11], v[8:9]
	s_wait_alu 0xfffe
	s_or_b32 s5, vcc_lo, s5
	s_wait_alu 0xfffe
	s_and_not1_b32 exec_lo, exec_lo, s5
	s_cbranch_execnz .LBB6_1503
; %bb.1504:
	s_or_b32 exec_lo, exec_lo, s5
.LBB6_1505:
	s_wait_alu 0xfffe
	s_or_b32 exec_lo, exec_lo, s4
.LBB6_1506:
	s_wait_alu 0xfffe
	s_or_b32 exec_lo, exec_lo, s1
	v_readfirstlane_b32 s1, v11
	v_mov_b32_e32 v2, 0
	v_readfirstlane_b32 s4, v10
	s_mov_b32 s5, exec_lo
	s_clause 0x1
	global_load_b64 v[12:13], v2, s[2:3] offset:40
	global_load_b128 v[6:9], v2, s[2:3]
	s_wait_loadcnt 0x1
	s_wait_alu 0xf1ff
	v_and_b32_e32 v13, s1, v13
	v_and_b32_e32 v12, s4, v12
	s_delay_alu instid0(VALU_DEP_2) | instskip(NEXT) | instid1(VALU_DEP_2)
	v_mul_lo_u32 v3, 24, v13
	v_mul_lo_u32 v10, 0, v12
	v_mul_hi_u32 v11, 24, v12
	v_mul_lo_u32 v14, 24, v12
	s_delay_alu instid0(VALU_DEP_3) | instskip(SKIP_1) | instid1(VALU_DEP_2)
	v_add_nc_u32_e32 v3, v3, v10
	s_wait_loadcnt 0x0
	v_add_co_u32 v10, vcc_lo, v6, v14
	s_delay_alu instid0(VALU_DEP_2) | instskip(SKIP_1) | instid1(VALU_DEP_1)
	v_add_nc_u32_e32 v3, v3, v11
	s_wait_alu 0xfffd
	v_add_co_ci_u32_e32 v11, vcc_lo, v7, v3, vcc_lo
	s_and_saveexec_b32 s6, s0
	s_cbranch_execz .LBB6_1508
; %bb.1507:
	s_wait_alu 0xfffe
	v_dual_mov_b32 v14, s5 :: v_dual_mov_b32 v15, v2
	v_dual_mov_b32 v16, 2 :: v_dual_mov_b32 v17, 1
	global_store_b128 v[10:11], v[14:17], off offset:8
.LBB6_1508:
	s_wait_alu 0xfffe
	s_or_b32 exec_lo, exec_lo, s6
	v_lshlrev_b64_e32 v[12:13], 12, v[12:13]
	s_mov_b32 s12, 0
	v_and_or_b32 v0, 0xffffff1d, v0, 34
	s_wait_alu 0xfffe
	s_mov_b32 s13, s12
	s_mov_b32 s14, s12
	s_mov_b32 s15, s12
	v_add_co_u32 v8, vcc_lo, v8, v12
	s_wait_alu 0xfffd
	v_add_co_ci_u32_e32 v9, vcc_lo, v9, v13, vcc_lo
	v_dual_mov_b32 v3, v2 :: v_dual_mov_b32 v12, s12
	s_delay_alu instid0(VALU_DEP_3) | instskip(NEXT) | instid1(VALU_DEP_3)
	v_readfirstlane_b32 s6, v8
	v_readfirstlane_b32 s7, v9
	s_wait_alu 0xfffe
	v_dual_mov_b32 v13, s13 :: v_dual_mov_b32 v14, s14
	v_mov_b32_e32 v15, s15
	s_clause 0x3
	global_store_b128 v34, v[0:3], s[6:7]
	global_store_b128 v34, v[12:15], s[6:7] offset:16
	global_store_b128 v34, v[12:15], s[6:7] offset:32
	;; [unrolled: 1-line block ×3, first 2 shown]
	s_and_saveexec_b32 s5, s0
	s_cbranch_execz .LBB6_1516
; %bb.1509:
	v_mov_b32_e32 v8, 0
	s_mov_b32 s6, exec_lo
	s_clause 0x1
	global_load_b64 v[14:15], v8, s[2:3] offset:32 scope:SCOPE_SYS
	global_load_b64 v[0:1], v8, s[2:3] offset:40
	v_dual_mov_b32 v13, s1 :: v_dual_mov_b32 v12, s4
	s_wait_loadcnt 0x0
	v_and_b32_e32 v1, s1, v1
	v_and_b32_e32 v0, s4, v0
	s_delay_alu instid0(VALU_DEP_2) | instskip(NEXT) | instid1(VALU_DEP_2)
	v_mul_lo_u32 v1, 24, v1
	v_mul_lo_u32 v2, 0, v0
	v_mul_hi_u32 v3, 24, v0
	v_mul_lo_u32 v0, 24, v0
	s_delay_alu instid0(VALU_DEP_3) | instskip(NEXT) | instid1(VALU_DEP_2)
	v_add_nc_u32_e32 v1, v1, v2
	v_add_co_u32 v6, vcc_lo, v6, v0
	s_delay_alu instid0(VALU_DEP_2) | instskip(SKIP_1) | instid1(VALU_DEP_1)
	v_add_nc_u32_e32 v1, v1, v3
	s_wait_alu 0xfffd
	v_add_co_ci_u32_e32 v7, vcc_lo, v7, v1, vcc_lo
	global_store_b64 v[6:7], v[14:15], off
	global_wb scope:SCOPE_SYS
	s_wait_storecnt 0x0
	global_atomic_cmpswap_b64 v[2:3], v8, v[12:15], s[2:3] offset:32 th:TH_ATOMIC_RETURN scope:SCOPE_SYS
	s_wait_loadcnt 0x0
	v_cmpx_ne_u64_e64 v[2:3], v[14:15]
	s_cbranch_execz .LBB6_1512
; %bb.1510:
	s_mov_b32 s7, 0
.LBB6_1511:                             ; =>This Inner Loop Header: Depth=1
	v_dual_mov_b32 v0, s4 :: v_dual_mov_b32 v1, s1
	s_sleep 1
	global_store_b64 v[6:7], v[2:3], off
	global_wb scope:SCOPE_SYS
	s_wait_storecnt 0x0
	global_atomic_cmpswap_b64 v[0:1], v8, v[0:3], s[2:3] offset:32 th:TH_ATOMIC_RETURN scope:SCOPE_SYS
	s_wait_loadcnt 0x0
	v_cmp_eq_u64_e32 vcc_lo, v[0:1], v[2:3]
	v_dual_mov_b32 v3, v1 :: v_dual_mov_b32 v2, v0
	s_wait_alu 0xfffe
	s_or_b32 s7, vcc_lo, s7
	s_wait_alu 0xfffe
	s_and_not1_b32 exec_lo, exec_lo, s7
	s_cbranch_execnz .LBB6_1511
.LBB6_1512:
	s_wait_alu 0xfffe
	s_or_b32 exec_lo, exec_lo, s6
	v_mov_b32_e32 v3, 0
	s_mov_b32 s7, exec_lo
	s_mov_b32 s6, exec_lo
	s_wait_alu 0xfffe
	v_mbcnt_lo_u32_b32 v2, s7, 0
	global_load_b64 v[0:1], v3, s[2:3] offset:16
	v_cmpx_eq_u32_e32 0, v2
	s_cbranch_execz .LBB6_1514
; %bb.1513:
	s_bcnt1_i32_b32 s7, s7
	s_wait_alu 0xfffe
	v_mov_b32_e32 v2, s7
	global_wb scope:SCOPE_SYS
	s_wait_loadcnt 0x0
	global_atomic_add_u64 v[0:1], v[2:3], off offset:8 scope:SCOPE_SYS
.LBB6_1514:
	s_or_b32 exec_lo, exec_lo, s6
	s_wait_loadcnt 0x0
	global_load_b64 v[2:3], v[0:1], off offset:16
	s_wait_loadcnt 0x0
	v_cmp_eq_u64_e32 vcc_lo, 0, v[2:3]
	s_cbranch_vccnz .LBB6_1516
; %bb.1515:
	global_load_b32 v0, v[0:1], off offset:24
	s_wait_loadcnt 0x0
	v_dual_mov_b32 v1, 0 :: v_dual_and_b32 v6, 0xffffff, v0
	global_wb scope:SCOPE_SYS
	s_wait_storecnt 0x0
	global_store_b64 v[2:3], v[0:1], off scope:SCOPE_SYS
	v_readfirstlane_b32 m0, v6
	s_sendmsg sendmsg(MSG_INTERRUPT)
.LBB6_1516:
	s_wait_alu 0xfffe
	s_or_b32 exec_lo, exec_lo, s5
	s_branch .LBB6_1520
.LBB6_1517:                             ;   in Loop: Header=BB6_1520 Depth=1
	s_wait_alu 0xfffe
	s_or_b32 exec_lo, exec_lo, s5
	s_delay_alu instid0(VALU_DEP_1) | instskip(NEXT) | instid1(VALU_DEP_1)
	v_readfirstlane_b32 s5, v0
	s_cmp_eq_u32 s5, 0
	s_cbranch_scc1 .LBB6_1519
; %bb.1518:                             ;   in Loop: Header=BB6_1520 Depth=1
	s_sleep 1
	s_cbranch_execnz .LBB6_1520
	s_branch .LBB6_1522
.LBB6_1519:
	s_branch .LBB6_1522
.LBB6_1520:                             ; =>This Inner Loop Header: Depth=1
	v_mov_b32_e32 v0, 1
	s_and_saveexec_b32 s5, s0
	s_cbranch_execz .LBB6_1517
; %bb.1521:                             ;   in Loop: Header=BB6_1520 Depth=1
	global_load_b32 v0, v[10:11], off offset:20 scope:SCOPE_SYS
	s_wait_loadcnt 0x0
	global_inv scope:SCOPE_SYS
	v_and_b32_e32 v0, 1, v0
	s_branch .LBB6_1517
.LBB6_1522:
	s_and_saveexec_b32 s5, s0
	s_cbranch_execz .LBB6_1526
; %bb.1523:
	v_mov_b32_e32 v8, 0
	s_clause 0x2
	global_load_b64 v[2:3], v8, s[2:3] offset:40
	global_load_b64 v[9:10], v8, s[2:3] offset:24 scope:SCOPE_SYS
	global_load_b64 v[6:7], v8, s[2:3]
	s_wait_loadcnt 0x2
	v_add_co_u32 v11, vcc_lo, v2, 1
	s_wait_alu 0xfffd
	v_add_co_ci_u32_e32 v12, vcc_lo, 0, v3, vcc_lo
	s_delay_alu instid0(VALU_DEP_2) | instskip(SKIP_1) | instid1(VALU_DEP_2)
	v_add_co_u32 v0, vcc_lo, v11, s4
	s_wait_alu 0xfffd
	v_add_co_ci_u32_e32 v1, vcc_lo, s1, v12, vcc_lo
	s_delay_alu instid0(VALU_DEP_1) | instskip(SKIP_2) | instid1(VALU_DEP_1)
	v_cmp_eq_u64_e32 vcc_lo, 0, v[0:1]
	s_wait_alu 0xfffd
	v_dual_cndmask_b32 v1, v1, v12 :: v_dual_cndmask_b32 v0, v0, v11
	v_and_b32_e32 v3, v1, v3
	s_delay_alu instid0(VALU_DEP_2) | instskip(NEXT) | instid1(VALU_DEP_2)
	v_and_b32_e32 v2, v0, v2
	v_mul_lo_u32 v3, 24, v3
	s_delay_alu instid0(VALU_DEP_2) | instskip(SKIP_2) | instid1(VALU_DEP_3)
	v_mul_lo_u32 v11, 0, v2
	v_mul_hi_u32 v12, 24, v2
	v_mul_lo_u32 v2, 24, v2
	v_add_nc_u32_e32 v3, v3, v11
	s_wait_loadcnt 0x0
	s_delay_alu instid0(VALU_DEP_2) | instskip(NEXT) | instid1(VALU_DEP_2)
	v_add_co_u32 v6, vcc_lo, v6, v2
	v_dual_mov_b32 v2, v9 :: v_dual_add_nc_u32 v3, v3, v12
	s_wait_alu 0xfffd
	s_delay_alu instid0(VALU_DEP_1)
	v_add_co_ci_u32_e32 v7, vcc_lo, v7, v3, vcc_lo
	v_mov_b32_e32 v3, v10
	global_store_b64 v[6:7], v[9:10], off
	global_wb scope:SCOPE_SYS
	s_wait_storecnt 0x0
	global_atomic_cmpswap_b64 v[2:3], v8, v[0:3], s[2:3] offset:24 th:TH_ATOMIC_RETURN scope:SCOPE_SYS
	s_wait_loadcnt 0x0
	v_cmp_ne_u64_e32 vcc_lo, v[2:3], v[9:10]
	s_and_b32 exec_lo, exec_lo, vcc_lo
	s_cbranch_execz .LBB6_1526
; %bb.1524:
	s_mov_b32 s0, 0
.LBB6_1525:                             ; =>This Inner Loop Header: Depth=1
	s_sleep 1
	global_store_b64 v[6:7], v[2:3], off
	global_wb scope:SCOPE_SYS
	s_wait_storecnt 0x0
	global_atomic_cmpswap_b64 v[9:10], v8, v[0:3], s[2:3] offset:24 th:TH_ATOMIC_RETURN scope:SCOPE_SYS
	s_wait_loadcnt 0x0
	v_cmp_eq_u64_e32 vcc_lo, v[9:10], v[2:3]
	v_dual_mov_b32 v2, v9 :: v_dual_mov_b32 v3, v10
	s_wait_alu 0xfffe
	s_or_b32 s0, vcc_lo, s0
	s_wait_alu 0xfffe
	s_and_not1_b32 exec_lo, exec_lo, s0
	s_cbranch_execnz .LBB6_1525
.LBB6_1526:
	s_wait_alu 0xfffe
	s_or_b32 exec_lo, exec_lo, s5
.LBB6_1527:
	s_wait_loadcnt 0x0
	v_dual_mov_b32 v0, v4 :: v_dual_mov_b32 v1, v5
	s_getpc_b64 s[42:43]
	s_wait_alu 0xfffe
	s_sext_i32_i16 s43, s43
	s_add_co_u32 s42, s42, _ZNK8migraphx13basic_printerIZNS_4coutEvEUlT_E_ElsEPKc@rel32@lo+12
	s_wait_alu 0xfffe
	s_add_co_ci_u32 s43, s43, _ZNK8migraphx13basic_printerIZNS_4coutEvEUlT_E_ElsEPKc@rel32@hi+24
	s_mov_b64 s[34:35], s[8:9]
	s_wait_alu 0xfffc
	s_swappc_b64 s[30:31], s[42:43]
	s_getpc_b64 s[0:1]
	s_wait_alu 0xfffe
	s_sext_i32_i16 s1, s1
	s_add_co_u32 s0, s0, .str.5@rel32@lo+12
	s_wait_alu 0xfffe
	s_add_co_ci_u32 s1, s1, .str.5@rel32@hi+24
	s_wait_alu 0xfffe
	v_dual_mov_b32 v0, s0 :: v_dual_mov_b32 v1, s1
	s_mov_b64 s[8:9], s[34:35]
	s_wait_alu 0xfffe
	s_swappc_b64 s[30:31], s[42:43]
	v_dual_mov_b32 v0, v37 :: v_dual_mov_b32 v1, v38
	s_mov_b64 s[8:9], s[34:35]
	s_getpc_b64 s[0:1]
	s_wait_alu 0xfffe
	s_sext_i32_i16 s1, s1
	s_add_co_u32 s0, s0, _ZN8migraphx4testlsIKNS_13basic_printerIZNS_4coutEvEUlT_E_EEEERS3_S7_RKNS0_10expressionINS0_14lhs_expressionIRNS_5arrayIiLj3EEENS0_3nopEEESC_NS0_18greater_than_equalEEE@rel32@lo+12
	s_wait_alu 0xfffe
	s_add_co_ci_u32 s1, s1, _ZN8migraphx4testlsIKNS_13basic_printerIZNS_4coutEvEUlT_E_EEEERS3_S7_RKNS0_10expressionINS0_14lhs_expressionIRNS_5arrayIiLj3EEENS0_3nopEEESC_NS0_18greater_than_equalEEE@rel32@hi+24
	s_wait_alu 0xfffe
	s_swappc_b64 s[30:31], s[0:1]
	s_getpc_b64 s[0:1]
	s_wait_alu 0xfffe
	s_sext_i32_i16 s1, s1
	s_add_co_u32 s0, s0, .str.6@rel32@lo+12
	s_wait_alu 0xfffe
	s_add_co_ci_u32 s1, s1, .str.6@rel32@hi+24
	s_wait_alu 0xfffe
	v_dual_mov_b32 v0, s0 :: v_dual_mov_b32 v1, s1
	s_mov_b64 s[8:9], s[34:35]
	s_wait_alu 0xfffe
	s_swappc_b64 s[30:31], s[42:43]
	v_mov_b32_e32 v0, 10
	s_mov_b64 s[8:9], s[34:35]
	s_getpc_b64 s[0:1]
	s_wait_alu 0xfffe
	s_sext_i32_i16 s1, s1
	s_add_co_u32 s0, s0, _ZNK8migraphx13basic_printerIZNS_4coutEvEUlT_E_ElsEc@rel32@lo+12
	s_wait_alu 0xfffe
	s_add_co_ci_u32 s1, s1, _ZNK8migraphx13basic_printerIZNS_4coutEvEUlT_E_ElsEc@rel32@hi+24
	s_wait_alu 0xfffe
	s_swappc_b64 s[30:31], s[0:1]
	flat_load_b64 v[0:1], v[80:81]
	s_mov_b64 s[8:9], s[34:35]
	s_mov_b32 s14, s40
	s_mov_b32 s13, s39
	;; [unrolled: 1-line block ×3, first 2 shown]
	s_wait_loadcnt_dscnt 0x0
	flat_load_b32 v2, v[0:1]
	s_wait_loadcnt_dscnt 0x0
	v_add_nc_u32_e32 v2, 1, v2
	flat_store_b32 v[0:1], v2
.LBB6_1528:
	s_wait_alu 0xfffe
	s_or_b32 exec_lo, exec_lo, s37
	s_getpc_b64 s[0:1]
	s_wait_alu 0xfffe
	s_sext_i32_i16 s1, s1
	s_add_co_u32 s0, s0, _ZN8migraphx4test4failEv@rel32@lo+12
	s_wait_alu 0xfffe
	s_add_co_ci_u32 s1, s1, _ZN8migraphx4test4failEv@rel32@hi+24
	s_wait_alu 0xfffe
	s_swappc_b64 s[30:31], s[0:1]
	; divergent unreachable
.LBB6_1529:
	s_wait_alu 0xfffe
	s_or_b32 exec_lo, exec_lo, s36
	v_readlane_b32 s30, v41, 0
	v_readlane_b32 s31, v41, 1
	;; [unrolled: 1-line block ×3, first 2 shown]
	s_or_saveexec_b32 s1, -1
	scratch_load_b32 v41, off, s33          ; 4-byte Folded Reload
	s_wait_alu 0xfffe
	s_mov_b32 exec_lo, s1
	s_add_co_i32 s32, s32, -16
	s_mov_b32 s33, s0
	s_wait_loadcnt 0x0
	s_wait_alu 0xfffe
	s_setpc_b64 s[30:31]
.Lfunc_end6:
	.size	_ZN8migraphx4test12test_manager6failedINS0_10expressionINS0_14lhs_expressionIRNS_5arrayIiLj3EEENS0_3nopEEES7_NS0_18greater_than_equalEEEPFvvEEEvRKT_PKcSI_SI_iT0_, .Lfunc_end6-_ZN8migraphx4test12test_manager6failedINS0_10expressionINS0_14lhs_expressionIRNS_5arrayIiLj3EEENS0_3nopEEES7_NS0_18greater_than_equalEEEPFvvEEEvRKT_PKcSI_SI_iT0_
                                        ; -- End function
	.section	.AMDGPU.csdata,"",@progbits
; Function info:
; codeLenInByte = 72392
; NumSgprs: 46
; NumVgprs: 82
; ScratchSize: 32
; MemoryBound: 0
	.text
	.p2align	2                               ; -- Begin function _ZN8migraphx4testlsIKNS_13basic_printerIZNS_4coutEvEUlT_E_EEEERS3_S7_RKNS0_10expressionINS0_14lhs_expressionIRiNS0_3nopEEEiNS0_5equalEEE
	.type	_ZN8migraphx4testlsIKNS_13basic_printerIZNS_4coutEvEUlT_E_EEEERS3_S7_RKNS0_10expressionINS0_14lhs_expressionIRiNS0_3nopEEEiNS0_5equalEEE,@function
_ZN8migraphx4testlsIKNS_13basic_printerIZNS_4coutEvEUlT_E_EEEERS3_S7_RKNS0_10expressionINS0_14lhs_expressionIRiNS0_3nopEEEiNS0_5equalEEE: ; @_ZN8migraphx4testlsIKNS_13basic_printerIZNS_4coutEvEUlT_E_EEEERS3_S7_RKNS0_10expressionINS0_14lhs_expressionIRiNS0_3nopEEEiNS0_5equalEEE
; %bb.0:
	s_wait_loadcnt_dscnt 0x0
	s_wait_expcnt 0x0
	s_wait_samplecnt 0x0
	s_wait_bvhcnt 0x0
	s_wait_kmcnt 0x0
	s_mov_b32 s23, s33
	s_mov_b32 s33, s32
	s_or_saveexec_b32 s0, -1
	scratch_store_b32 off, v40, s33         ; 4-byte Folded Spill
	s_wait_alu 0xfffe
	s_mov_b32 exec_lo, s0
	v_writelane_b32 v40, s30, 0
	s_add_co_i32 s32, s32, 16
	v_writelane_b32 v40, s31, 1
	v_dual_mov_b32 v38, v1 :: v_dual_mov_b32 v37, v0
	s_load_b64 s[20:21], s[8:9], 0x50
	v_mbcnt_lo_u32_b32 v48, -1, 0
	v_mov_b32_e32 v6, 0
	v_mov_b32_e32 v7, 0
	flat_load_b64 v[0:1], v[37:38]
	s_mov_b64 s[18:19], s[8:9]
	v_readfirstlane_b32 s0, v48
	s_wait_alu 0xf1ff
	s_delay_alu instid0(VALU_DEP_1)
	v_cmp_eq_u32_e64 s0, s0, v48
	s_wait_loadcnt_dscnt 0x0
	flat_load_b32 v31, v[0:1]
	s_and_saveexec_b32 s1, s0
	s_cbranch_execz .LBB7_6
; %bb.1:
	v_mov_b32_e32 v0, 0
	s_mov_b32 s2, exec_lo
	s_wait_kmcnt 0x0
	global_load_b64 v[3:4], v0, s[20:21] offset:24 scope:SCOPE_SYS
	s_wait_loadcnt 0x0
	global_inv scope:SCOPE_SYS
	s_clause 0x1
	global_load_b64 v[1:2], v0, s[20:21] offset:40
	global_load_b64 v[5:6], v0, s[20:21]
	s_wait_loadcnt 0x1
	v_and_b32_e32 v1, v1, v3
	v_and_b32_e32 v2, v2, v4
	s_delay_alu instid0(VALU_DEP_2) | instskip(NEXT) | instid1(VALU_DEP_2)
	v_mul_lo_u32 v7, 0, v1
	v_mul_lo_u32 v2, 24, v2
	v_mul_hi_u32 v8, 24, v1
	v_mul_lo_u32 v1, 24, v1
	s_delay_alu instid0(VALU_DEP_3) | instskip(SKIP_1) | instid1(VALU_DEP_2)
	v_add_nc_u32_e32 v2, v2, v7
	s_wait_loadcnt 0x0
	v_add_co_u32 v1, vcc_lo, v5, v1
	s_delay_alu instid0(VALU_DEP_2) | instskip(SKIP_1) | instid1(VALU_DEP_1)
	v_add_nc_u32_e32 v2, v2, v8
	s_wait_alu 0xfffd
	v_add_co_ci_u32_e32 v2, vcc_lo, v6, v2, vcc_lo
	global_load_b64 v[1:2], v[1:2], off scope:SCOPE_SYS
	s_wait_loadcnt 0x0
	global_atomic_cmpswap_b64 v[6:7], v0, v[1:4], s[20:21] offset:24 th:TH_ATOMIC_RETURN scope:SCOPE_SYS
	s_wait_loadcnt 0x0
	global_inv scope:SCOPE_SYS
	v_cmpx_ne_u64_e64 v[6:7], v[3:4]
	s_cbranch_execz .LBB7_5
; %bb.2:
	s_mov_b32 s3, 0
.LBB7_3:                                ; =>This Inner Loop Header: Depth=1
	s_sleep 1
	s_clause 0x1
	global_load_b64 v[1:2], v0, s[20:21] offset:40
	global_load_b64 v[8:9], v0, s[20:21]
	v_dual_mov_b32 v3, v6 :: v_dual_mov_b32 v4, v7
	s_wait_loadcnt 0x1
	s_delay_alu instid0(VALU_DEP_1) | instskip(NEXT) | instid1(VALU_DEP_2)
	v_and_b32_e32 v1, v1, v3
	v_and_b32_e32 v2, v2, v4
	s_wait_loadcnt 0x0
	s_delay_alu instid0(VALU_DEP_2) | instskip(NEXT) | instid1(VALU_DEP_1)
	v_mad_co_u64_u32 v[5:6], null, v1, 24, v[8:9]
	v_mov_b32_e32 v1, v6
	s_delay_alu instid0(VALU_DEP_1) | instskip(NEXT) | instid1(VALU_DEP_1)
	v_mad_co_u64_u32 v[1:2], null, v2, 24, v[1:2]
	v_mov_b32_e32 v6, v1
	global_load_b64 v[1:2], v[5:6], off scope:SCOPE_SYS
	s_wait_loadcnt 0x0
	global_atomic_cmpswap_b64 v[6:7], v0, v[1:4], s[20:21] offset:24 th:TH_ATOMIC_RETURN scope:SCOPE_SYS
	s_wait_loadcnt 0x0
	global_inv scope:SCOPE_SYS
	v_cmp_eq_u64_e32 vcc_lo, v[6:7], v[3:4]
	s_wait_alu 0xfffe
	s_or_b32 s3, vcc_lo, s3
	s_wait_alu 0xfffe
	s_and_not1_b32 exec_lo, exec_lo, s3
	s_cbranch_execnz .LBB7_3
; %bb.4:
	s_or_b32 exec_lo, exec_lo, s3
.LBB7_5:
	s_wait_alu 0xfffe
	s_or_b32 exec_lo, exec_lo, s2
.LBB7_6:
	s_wait_alu 0xfffe
	s_or_b32 exec_lo, exec_lo, s1
	v_readfirstlane_b32 s2, v6
	v_mov_b32_e32 v5, 0
	v_readfirstlane_b32 s1, v7
	s_mov_b32 s3, exec_lo
	s_wait_kmcnt 0x0
	s_clause 0x1
	global_load_b64 v[8:9], v5, s[20:21] offset:40
	global_load_b128 v[0:3], v5, s[20:21]
	s_wait_loadcnt 0x1
	s_wait_alu 0xf1ff
	v_and_b32_e32 v10, s2, v8
	v_and_b32_e32 v11, s1, v9
	s_delay_alu instid0(VALU_DEP_2) | instskip(NEXT) | instid1(VALU_DEP_2)
	v_mul_lo_u32 v6, 0, v10
	v_mul_lo_u32 v4, 24, v11
	v_mul_hi_u32 v7, 24, v10
	v_mul_lo_u32 v8, 24, v10
	s_delay_alu instid0(VALU_DEP_3) | instskip(SKIP_1) | instid1(VALU_DEP_2)
	v_add_nc_u32_e32 v4, v4, v6
	s_wait_loadcnt 0x0
	v_add_co_u32 v8, vcc_lo, v0, v8
	s_delay_alu instid0(VALU_DEP_2) | instskip(SKIP_1) | instid1(VALU_DEP_1)
	v_add_nc_u32_e32 v4, v4, v7
	s_wait_alu 0xfffd
	v_add_co_ci_u32_e32 v9, vcc_lo, v1, v4, vcc_lo
	s_and_saveexec_b32 s4, s0
	s_cbranch_execz .LBB7_8
; %bb.7:
	s_wait_alu 0xfffe
	v_dual_mov_b32 v4, s3 :: v_dual_mov_b32 v7, 1
	v_mov_b32_e32 v6, 2
	global_store_b128 v[8:9], v[4:7], off offset:8
.LBB7_8:
	s_wait_alu 0xfffe
	s_or_b32 exec_lo, exec_lo, s4
	v_lshlrev_b64_e32 v[10:11], 12, v[10:11]
	v_dual_mov_b32 v4, 33 :: v_dual_lshlrev_b32 v39, 6, v48
	s_mov_b32 s4, 0
	v_dual_mov_b32 v6, v5 :: v_dual_mov_b32 v7, v5
	s_delay_alu instid0(VALU_DEP_3)
	v_add_co_u32 v2, vcc_lo, v2, v10
	s_wait_alu 0xfffd
	v_add_co_ci_u32_e32 v3, vcc_lo, v3, v11, vcc_lo
	s_wait_alu 0xfffe
	s_mov_b32 s7, s4
	v_add_co_u32 v10, vcc_lo, v2, v39
	s_mov_b32 s5, s4
	s_mov_b32 s6, s4
	v_readfirstlane_b32 s10, v2
	v_readfirstlane_b32 s11, v3
	s_wait_alu 0xfffe
	v_dual_mov_b32 v15, s7 :: v_dual_mov_b32 v14, s6
	s_wait_alu 0xfffd
	v_add_co_ci_u32_e32 v11, vcc_lo, 0, v3, vcc_lo
	v_dual_mov_b32 v13, s5 :: v_dual_mov_b32 v12, s4
	s_clause 0x3
	global_store_b128 v39, v[4:7], s[10:11]
	global_store_b128 v39, v[12:15], s[10:11] offset:16
	global_store_b128 v39, v[12:15], s[10:11] offset:32
	;; [unrolled: 1-line block ×3, first 2 shown]
	s_and_saveexec_b32 s3, s0
	s_cbranch_execz .LBB7_16
; %bb.9:
	v_mov_b32_e32 v6, 0
	s_mov_b32 s4, exec_lo
	s_clause 0x1
	global_load_b64 v[14:15], v6, s[20:21] offset:32 scope:SCOPE_SYS
	global_load_b64 v[2:3], v6, s[20:21] offset:40
	v_dual_mov_b32 v13, s1 :: v_dual_mov_b32 v12, s2
	s_wait_loadcnt 0x0
	v_and_b32_e32 v3, s1, v3
	v_and_b32_e32 v2, s2, v2
	s_delay_alu instid0(VALU_DEP_2) | instskip(NEXT) | instid1(VALU_DEP_2)
	v_mul_lo_u32 v3, 24, v3
	v_mul_lo_u32 v4, 0, v2
	v_mul_hi_u32 v5, 24, v2
	v_mul_lo_u32 v2, 24, v2
	s_delay_alu instid0(VALU_DEP_3) | instskip(NEXT) | instid1(VALU_DEP_2)
	v_add_nc_u32_e32 v3, v3, v4
	v_add_co_u32 v4, vcc_lo, v0, v2
	s_delay_alu instid0(VALU_DEP_2) | instskip(SKIP_1) | instid1(VALU_DEP_1)
	v_add_nc_u32_e32 v3, v3, v5
	s_wait_alu 0xfffd
	v_add_co_ci_u32_e32 v5, vcc_lo, v1, v3, vcc_lo
	global_store_b64 v[4:5], v[14:15], off
	global_wb scope:SCOPE_SYS
	s_wait_storecnt 0x0
	global_atomic_cmpswap_b64 v[2:3], v6, v[12:15], s[20:21] offset:32 th:TH_ATOMIC_RETURN scope:SCOPE_SYS
	s_wait_loadcnt 0x0
	v_cmpx_ne_u64_e64 v[2:3], v[14:15]
	s_cbranch_execz .LBB7_12
; %bb.10:
	s_mov_b32 s5, 0
.LBB7_11:                               ; =>This Inner Loop Header: Depth=1
	v_dual_mov_b32 v0, s2 :: v_dual_mov_b32 v1, s1
	s_sleep 1
	global_store_b64 v[4:5], v[2:3], off
	global_wb scope:SCOPE_SYS
	s_wait_storecnt 0x0
	global_atomic_cmpswap_b64 v[0:1], v6, v[0:3], s[20:21] offset:32 th:TH_ATOMIC_RETURN scope:SCOPE_SYS
	s_wait_loadcnt 0x0
	v_cmp_eq_u64_e32 vcc_lo, v[0:1], v[2:3]
	v_dual_mov_b32 v3, v1 :: v_dual_mov_b32 v2, v0
	s_wait_alu 0xfffe
	s_or_b32 s5, vcc_lo, s5
	s_wait_alu 0xfffe
	s_and_not1_b32 exec_lo, exec_lo, s5
	s_cbranch_execnz .LBB7_11
.LBB7_12:
	s_wait_alu 0xfffe
	s_or_b32 exec_lo, exec_lo, s4
	v_mov_b32_e32 v3, 0
	s_mov_b32 s5, exec_lo
	s_mov_b32 s4, exec_lo
	s_wait_alu 0xfffe
	v_mbcnt_lo_u32_b32 v2, s5, 0
	global_load_b64 v[0:1], v3, s[20:21] offset:16
	v_cmpx_eq_u32_e32 0, v2
	s_cbranch_execz .LBB7_14
; %bb.13:
	s_bcnt1_i32_b32 s5, s5
	s_wait_alu 0xfffe
	v_mov_b32_e32 v2, s5
	global_wb scope:SCOPE_SYS
	s_wait_loadcnt 0x0
	global_atomic_add_u64 v[0:1], v[2:3], off offset:8 scope:SCOPE_SYS
.LBB7_14:
	s_or_b32 exec_lo, exec_lo, s4
	s_wait_loadcnt 0x0
	global_load_b64 v[2:3], v[0:1], off offset:16
	s_wait_loadcnt 0x0
	v_cmp_eq_u64_e32 vcc_lo, 0, v[2:3]
	s_cbranch_vccnz .LBB7_16
; %bb.15:
	global_load_b32 v0, v[0:1], off offset:24
	s_wait_loadcnt 0x0
	v_dual_mov_b32 v1, 0 :: v_dual_and_b32 v4, 0xffffff, v0
	global_wb scope:SCOPE_SYS
	s_wait_storecnt 0x0
	global_store_b64 v[2:3], v[0:1], off scope:SCOPE_SYS
	v_readfirstlane_b32 m0, v4
	s_sendmsg sendmsg(MSG_INTERRUPT)
.LBB7_16:
	s_wait_alu 0xfffe
	s_or_b32 exec_lo, exec_lo, s3
	s_branch .LBB7_20
.LBB7_17:                               ;   in Loop: Header=BB7_20 Depth=1
	s_wait_alu 0xfffe
	s_or_b32 exec_lo, exec_lo, s3
	s_delay_alu instid0(VALU_DEP_1) | instskip(NEXT) | instid1(VALU_DEP_1)
	v_readfirstlane_b32 s3, v0
	s_cmp_eq_u32 s3, 0
	s_cbranch_scc1 .LBB7_19
; %bb.18:                               ;   in Loop: Header=BB7_20 Depth=1
	s_sleep 1
	s_cbranch_execnz .LBB7_20
	s_branch .LBB7_22
.LBB7_19:
	s_branch .LBB7_22
.LBB7_20:                               ; =>This Inner Loop Header: Depth=1
	v_mov_b32_e32 v0, 1
	s_and_saveexec_b32 s3, s0
	s_cbranch_execz .LBB7_17
; %bb.21:                               ;   in Loop: Header=BB7_20 Depth=1
	global_load_b32 v0, v[8:9], off offset:20 scope:SCOPE_SYS
	s_wait_loadcnt 0x0
	global_inv scope:SCOPE_SYS
	v_and_b32_e32 v0, 1, v0
	s_branch .LBB7_17
.LBB7_22:
	global_load_b64 v[0:1], v[10:11], off
	s_and_saveexec_b32 s3, s0
	s_cbranch_execz .LBB7_26
; %bb.23:
	v_mov_b32_e32 v8, 0
	s_clause 0x2
	global_load_b64 v[4:5], v8, s[20:21] offset:40
	global_load_b64 v[9:10], v8, s[20:21] offset:24 scope:SCOPE_SYS
	global_load_b64 v[6:7], v8, s[20:21]
	s_wait_loadcnt 0x2
	v_add_co_u32 v11, vcc_lo, v4, 1
	s_wait_alu 0xfffd
	v_add_co_ci_u32_e32 v12, vcc_lo, 0, v5, vcc_lo
	s_delay_alu instid0(VALU_DEP_2) | instskip(SKIP_1) | instid1(VALU_DEP_2)
	v_add_co_u32 v2, vcc_lo, v11, s2
	s_wait_alu 0xfffd
	v_add_co_ci_u32_e32 v3, vcc_lo, s1, v12, vcc_lo
	s_delay_alu instid0(VALU_DEP_1) | instskip(SKIP_2) | instid1(VALU_DEP_1)
	v_cmp_eq_u64_e32 vcc_lo, 0, v[2:3]
	s_wait_alu 0xfffd
	v_dual_cndmask_b32 v3, v3, v12 :: v_dual_cndmask_b32 v2, v2, v11
	v_and_b32_e32 v5, v3, v5
	s_delay_alu instid0(VALU_DEP_2) | instskip(NEXT) | instid1(VALU_DEP_2)
	v_and_b32_e32 v4, v2, v4
	v_mul_lo_u32 v5, 24, v5
	s_delay_alu instid0(VALU_DEP_2) | instskip(SKIP_2) | instid1(VALU_DEP_3)
	v_mul_lo_u32 v11, 0, v4
	v_mul_hi_u32 v12, 24, v4
	v_mul_lo_u32 v4, 24, v4
	v_add_nc_u32_e32 v5, v5, v11
	s_wait_loadcnt 0x0
	s_delay_alu instid0(VALU_DEP_2) | instskip(SKIP_1) | instid1(VALU_DEP_3)
	v_add_co_u32 v6, vcc_lo, v6, v4
	v_mov_b32_e32 v4, v9
	v_add_nc_u32_e32 v5, v5, v12
	s_wait_alu 0xfffd
	s_delay_alu instid0(VALU_DEP_1)
	v_add_co_ci_u32_e32 v7, vcc_lo, v7, v5, vcc_lo
	v_mov_b32_e32 v5, v10
	global_store_b64 v[6:7], v[9:10], off
	global_wb scope:SCOPE_SYS
	s_wait_storecnt 0x0
	global_atomic_cmpswap_b64 v[4:5], v8, v[2:5], s[20:21] offset:24 th:TH_ATOMIC_RETURN scope:SCOPE_SYS
	s_wait_loadcnt 0x0
	v_cmp_ne_u64_e32 vcc_lo, v[4:5], v[9:10]
	s_and_b32 exec_lo, exec_lo, vcc_lo
	s_cbranch_execz .LBB7_26
; %bb.24:
	s_mov_b32 s0, 0
.LBB7_25:                               ; =>This Inner Loop Header: Depth=1
	s_sleep 1
	global_store_b64 v[6:7], v[4:5], off
	global_wb scope:SCOPE_SYS
	s_wait_storecnt 0x0
	global_atomic_cmpswap_b64 v[9:10], v8, v[2:5], s[20:21] offset:24 th:TH_ATOMIC_RETURN scope:SCOPE_SYS
	s_wait_loadcnt 0x0
	v_cmp_eq_u64_e32 vcc_lo, v[9:10], v[4:5]
	v_dual_mov_b32 v4, v9 :: v_dual_mov_b32 v5, v10
	s_wait_alu 0xfffe
	s_or_b32 s0, vcc_lo, s0
	s_wait_alu 0xfffe
	s_and_not1_b32 exec_lo, exec_lo, s0
	s_cbranch_execnz .LBB7_25
.LBB7_26:
	s_wait_alu 0xfffe
	s_or_b32 exec_lo, exec_lo, s3
	s_getpc_b64 s[2:3]
	s_wait_alu 0xfffe
	s_sext_i32_i16 s3, s3
	s_add_co_u32 s2, s2, .str.9@rel32@lo+12
	s_wait_alu 0xfffe
	s_add_co_ci_u32 s3, s3, .str.9@rel32@hi+24
	s_wait_alu 0xfffe
	s_cmp_lg_u64 s[2:3], 0
	s_cselect_b32 s22, -1, 0
	s_wait_alu 0xfffe
	s_and_b32 vcc_lo, exec_lo, s22
	s_wait_alu 0xfffe
	s_cbranch_vccz .LBB7_105
; %bb.27:
	s_wait_loadcnt 0x0
	v_dual_mov_b32 v3, v1 :: v_dual_and_b32 v32, 2, v0
	v_dual_mov_b32 v6, 0 :: v_dual_mov_b32 v7, 2
	v_and_b32_e32 v2, -3, v0
	v_mov_b32_e32 v8, 1
	s_mov_b64 s[4:5], 4
	s_branch .LBB7_29
.LBB7_28:                               ;   in Loop: Header=BB7_29 Depth=1
	s_wait_alu 0xfffe
	s_or_b32 exec_lo, exec_lo, s11
	s_sub_nc_u64 s[4:5], s[4:5], s[6:7]
	s_add_nc_u64 s[2:3], s[2:3], s[6:7]
	s_wait_alu 0xfffe
	s_cmp_lg_u64 s[4:5], 0
	s_cbranch_scc0 .LBB7_104
.LBB7_29:                               ; =>This Loop Header: Depth=1
                                        ;     Child Loop BB7_38 Depth 2
                                        ;     Child Loop BB7_34 Depth 2
	;; [unrolled: 1-line block ×11, first 2 shown]
	s_wait_alu 0xfffe
	v_cmp_lt_u64_e64 s0, s[4:5], 56
	v_cmp_gt_u64_e64 s1, s[4:5], 7
                                        ; implicit-def: $vgpr11_vgpr12
                                        ; implicit-def: $sgpr14
	s_delay_alu instid0(VALU_DEP_2) | instskip(SKIP_2) | instid1(VALU_DEP_1)
	s_and_b32 s0, s0, exec_lo
	s_cselect_b32 s7, s5, 0
	s_cselect_b32 s6, s4, 56
	s_and_b32 vcc_lo, exec_lo, s1
	s_mov_b32 s0, -1
	s_wait_alu 0xfffe
	s_cbranch_vccz .LBB7_36
; %bb.30:                               ;   in Loop: Header=BB7_29 Depth=1
	s_and_not1_b32 vcc_lo, exec_lo, s0
	s_mov_b64 s[0:1], s[2:3]
	s_wait_alu 0xfffe
	s_cbranch_vccz .LBB7_40
.LBB7_31:                               ;   in Loop: Header=BB7_29 Depth=1
	s_wait_alu 0xfffe
	s_cmp_gt_u32 s14, 7
	s_cbranch_scc1 .LBB7_41
.LBB7_32:                               ;   in Loop: Header=BB7_29 Depth=1
	v_mov_b32_e32 v13, 0
	v_mov_b32_e32 v14, 0
	s_cmp_eq_u32 s14, 0
	s_cbranch_scc1 .LBB7_35
; %bb.33:                               ;   in Loop: Header=BB7_29 Depth=1
	s_mov_b64 s[10:11], 0
	s_mov_b64 s[12:13], 0
.LBB7_34:                               ;   Parent Loop BB7_29 Depth=1
                                        ; =>  This Inner Loop Header: Depth=2
	s_wait_alu 0xfffe
	s_add_nc_u64 s[16:17], s[0:1], s[12:13]
	s_add_nc_u64 s[12:13], s[12:13], 1
	global_load_u8 v4, v6, s[16:17]
	s_wait_alu 0xfffe
	s_cmp_lg_u32 s14, s12
	s_wait_loadcnt 0x0
	v_and_b32_e32 v5, 0xffff, v4
	s_delay_alu instid0(VALU_DEP_1) | instskip(SKIP_1) | instid1(VALU_DEP_1)
	v_lshlrev_b64_e32 v[4:5], s10, v[5:6]
	s_add_nc_u64 s[10:11], s[10:11], 8
	v_or_b32_e32 v13, v4, v13
	s_delay_alu instid0(VALU_DEP_2)
	v_or_b32_e32 v14, v5, v14
	s_cbranch_scc1 .LBB7_34
.LBB7_35:                               ;   in Loop: Header=BB7_29 Depth=1
	s_mov_b32 s15, 0
	s_cbranch_execz .LBB7_42
	s_branch .LBB7_43
.LBB7_36:                               ;   in Loop: Header=BB7_29 Depth=1
	v_mov_b32_e32 v11, 0
	v_mov_b32_e32 v12, 0
	s_cmp_eq_u64 s[4:5], 0
	s_mov_b64 s[0:1], 0
	s_cbranch_scc1 .LBB7_39
; %bb.37:                               ;   in Loop: Header=BB7_29 Depth=1
	v_mov_b32_e32 v11, 0
	v_mov_b32_e32 v12, 0
	s_mov_b64 s[10:11], 0
.LBB7_38:                               ;   Parent Loop BB7_29 Depth=1
                                        ; =>  This Inner Loop Header: Depth=2
	s_wait_alu 0xfffe
	s_add_nc_u64 s[12:13], s[2:3], s[10:11]
	s_add_nc_u64 s[10:11], s[10:11], 1
	global_load_u8 v4, v6, s[12:13]
	s_wait_alu 0xfffe
	s_cmp_lg_u32 s6, s10
	s_wait_loadcnt 0x0
	v_and_b32_e32 v5, 0xffff, v4
	s_delay_alu instid0(VALU_DEP_1) | instskip(SKIP_1) | instid1(VALU_DEP_1)
	v_lshlrev_b64_e32 v[4:5], s0, v[5:6]
	s_add_nc_u64 s[0:1], s[0:1], 8
	v_or_b32_e32 v11, v4, v11
	s_delay_alu instid0(VALU_DEP_2)
	v_or_b32_e32 v12, v5, v12
	s_cbranch_scc1 .LBB7_38
.LBB7_39:                               ;   in Loop: Header=BB7_29 Depth=1
	s_mov_b32 s14, 0
	s_mov_b64 s[0:1], s[2:3]
	s_cbranch_execnz .LBB7_31
.LBB7_40:                               ;   in Loop: Header=BB7_29 Depth=1
	global_load_b64 v[11:12], v6, s[2:3]
	s_add_co_i32 s14, s6, -8
	s_add_nc_u64 s[0:1], s[2:3], 8
	s_wait_alu 0xfffe
	s_cmp_gt_u32 s14, 7
	s_cbranch_scc0 .LBB7_32
.LBB7_41:                               ;   in Loop: Header=BB7_29 Depth=1
                                        ; implicit-def: $vgpr13_vgpr14
                                        ; implicit-def: $sgpr15
.LBB7_42:                               ;   in Loop: Header=BB7_29 Depth=1
	global_load_b64 v[13:14], v6, s[0:1]
	s_add_co_i32 s15, s14, -8
	s_add_nc_u64 s[0:1], s[0:1], 8
.LBB7_43:                               ;   in Loop: Header=BB7_29 Depth=1
	s_wait_alu 0xfffe
	s_cmp_gt_u32 s15, 7
	s_cbranch_scc1 .LBB7_48
; %bb.44:                               ;   in Loop: Header=BB7_29 Depth=1
	v_mov_b32_e32 v15, 0
	v_mov_b32_e32 v16, 0
	s_cmp_eq_u32 s15, 0
	s_cbranch_scc1 .LBB7_47
; %bb.45:                               ;   in Loop: Header=BB7_29 Depth=1
	s_mov_b64 s[10:11], 0
	s_mov_b64 s[12:13], 0
.LBB7_46:                               ;   Parent Loop BB7_29 Depth=1
                                        ; =>  This Inner Loop Header: Depth=2
	s_wait_alu 0xfffe
	s_add_nc_u64 s[16:17], s[0:1], s[12:13]
	s_add_nc_u64 s[12:13], s[12:13], 1
	global_load_u8 v4, v6, s[16:17]
	s_wait_alu 0xfffe
	s_cmp_lg_u32 s15, s12
	s_wait_loadcnt 0x0
	v_and_b32_e32 v5, 0xffff, v4
	s_delay_alu instid0(VALU_DEP_1) | instskip(SKIP_1) | instid1(VALU_DEP_1)
	v_lshlrev_b64_e32 v[4:5], s10, v[5:6]
	s_add_nc_u64 s[10:11], s[10:11], 8
	v_or_b32_e32 v15, v4, v15
	s_delay_alu instid0(VALU_DEP_2)
	v_or_b32_e32 v16, v5, v16
	s_cbranch_scc1 .LBB7_46
.LBB7_47:                               ;   in Loop: Header=BB7_29 Depth=1
	s_mov_b32 s14, 0
	s_cbranch_execz .LBB7_49
	s_branch .LBB7_50
.LBB7_48:                               ;   in Loop: Header=BB7_29 Depth=1
                                        ; implicit-def: $sgpr14
.LBB7_49:                               ;   in Loop: Header=BB7_29 Depth=1
	global_load_b64 v[15:16], v6, s[0:1]
	s_add_co_i32 s14, s15, -8
	s_add_nc_u64 s[0:1], s[0:1], 8
.LBB7_50:                               ;   in Loop: Header=BB7_29 Depth=1
	s_wait_alu 0xfffe
	s_cmp_gt_u32 s14, 7
	s_cbranch_scc1 .LBB7_55
; %bb.51:                               ;   in Loop: Header=BB7_29 Depth=1
	v_mov_b32_e32 v17, 0
	v_mov_b32_e32 v18, 0
	s_cmp_eq_u32 s14, 0
	s_cbranch_scc1 .LBB7_54
; %bb.52:                               ;   in Loop: Header=BB7_29 Depth=1
	s_mov_b64 s[10:11], 0
	s_mov_b64 s[12:13], 0
.LBB7_53:                               ;   Parent Loop BB7_29 Depth=1
                                        ; =>  This Inner Loop Header: Depth=2
	s_wait_alu 0xfffe
	s_add_nc_u64 s[16:17], s[0:1], s[12:13]
	s_add_nc_u64 s[12:13], s[12:13], 1
	global_load_u8 v4, v6, s[16:17]
	s_wait_alu 0xfffe
	s_cmp_lg_u32 s14, s12
	s_wait_loadcnt 0x0
	v_and_b32_e32 v5, 0xffff, v4
	s_delay_alu instid0(VALU_DEP_1) | instskip(SKIP_1) | instid1(VALU_DEP_1)
	v_lshlrev_b64_e32 v[4:5], s10, v[5:6]
	s_add_nc_u64 s[10:11], s[10:11], 8
	v_or_b32_e32 v17, v4, v17
	s_delay_alu instid0(VALU_DEP_2)
	v_or_b32_e32 v18, v5, v18
	s_cbranch_scc1 .LBB7_53
.LBB7_54:                               ;   in Loop: Header=BB7_29 Depth=1
	s_mov_b32 s15, 0
	s_cbranch_execz .LBB7_56
	s_branch .LBB7_57
.LBB7_55:                               ;   in Loop: Header=BB7_29 Depth=1
                                        ; implicit-def: $vgpr17_vgpr18
                                        ; implicit-def: $sgpr15
.LBB7_56:                               ;   in Loop: Header=BB7_29 Depth=1
	global_load_b64 v[17:18], v6, s[0:1]
	s_add_co_i32 s15, s14, -8
	s_add_nc_u64 s[0:1], s[0:1], 8
.LBB7_57:                               ;   in Loop: Header=BB7_29 Depth=1
	s_wait_alu 0xfffe
	s_cmp_gt_u32 s15, 7
	s_cbranch_scc1 .LBB7_62
; %bb.58:                               ;   in Loop: Header=BB7_29 Depth=1
	v_mov_b32_e32 v19, 0
	v_mov_b32_e32 v20, 0
	s_cmp_eq_u32 s15, 0
	s_cbranch_scc1 .LBB7_61
; %bb.59:                               ;   in Loop: Header=BB7_29 Depth=1
	s_mov_b64 s[10:11], 0
	s_mov_b64 s[12:13], 0
.LBB7_60:                               ;   Parent Loop BB7_29 Depth=1
                                        ; =>  This Inner Loop Header: Depth=2
	s_wait_alu 0xfffe
	s_add_nc_u64 s[16:17], s[0:1], s[12:13]
	s_add_nc_u64 s[12:13], s[12:13], 1
	global_load_u8 v4, v6, s[16:17]
	s_wait_alu 0xfffe
	s_cmp_lg_u32 s15, s12
	s_wait_loadcnt 0x0
	v_and_b32_e32 v5, 0xffff, v4
	s_delay_alu instid0(VALU_DEP_1) | instskip(SKIP_1) | instid1(VALU_DEP_1)
	v_lshlrev_b64_e32 v[4:5], s10, v[5:6]
	s_add_nc_u64 s[10:11], s[10:11], 8
	v_or_b32_e32 v19, v4, v19
	s_delay_alu instid0(VALU_DEP_2)
	v_or_b32_e32 v20, v5, v20
	s_cbranch_scc1 .LBB7_60
.LBB7_61:                               ;   in Loop: Header=BB7_29 Depth=1
	s_mov_b32 s14, 0
	s_cbranch_execz .LBB7_63
	s_branch .LBB7_64
.LBB7_62:                               ;   in Loop: Header=BB7_29 Depth=1
                                        ; implicit-def: $sgpr14
.LBB7_63:                               ;   in Loop: Header=BB7_29 Depth=1
	global_load_b64 v[19:20], v6, s[0:1]
	s_add_co_i32 s14, s15, -8
	s_add_nc_u64 s[0:1], s[0:1], 8
.LBB7_64:                               ;   in Loop: Header=BB7_29 Depth=1
	s_wait_alu 0xfffe
	s_cmp_gt_u32 s14, 7
	s_cbranch_scc1 .LBB7_69
; %bb.65:                               ;   in Loop: Header=BB7_29 Depth=1
	v_mov_b32_e32 v21, 0
	v_mov_b32_e32 v22, 0
	s_cmp_eq_u32 s14, 0
	s_cbranch_scc1 .LBB7_68
; %bb.66:                               ;   in Loop: Header=BB7_29 Depth=1
	s_mov_b64 s[10:11], 0
	s_mov_b64 s[12:13], 0
.LBB7_67:                               ;   Parent Loop BB7_29 Depth=1
                                        ; =>  This Inner Loop Header: Depth=2
	s_wait_alu 0xfffe
	s_add_nc_u64 s[16:17], s[0:1], s[12:13]
	s_add_nc_u64 s[12:13], s[12:13], 1
	global_load_u8 v4, v6, s[16:17]
	s_wait_alu 0xfffe
	s_cmp_lg_u32 s14, s12
	s_wait_loadcnt 0x0
	v_and_b32_e32 v5, 0xffff, v4
	s_delay_alu instid0(VALU_DEP_1) | instskip(SKIP_1) | instid1(VALU_DEP_1)
	v_lshlrev_b64_e32 v[4:5], s10, v[5:6]
	s_add_nc_u64 s[10:11], s[10:11], 8
	v_or_b32_e32 v21, v4, v21
	s_delay_alu instid0(VALU_DEP_2)
	v_or_b32_e32 v22, v5, v22
	s_cbranch_scc1 .LBB7_67
.LBB7_68:                               ;   in Loop: Header=BB7_29 Depth=1
	s_mov_b32 s15, 0
	s_cbranch_execz .LBB7_70
	s_branch .LBB7_71
.LBB7_69:                               ;   in Loop: Header=BB7_29 Depth=1
                                        ; implicit-def: $vgpr21_vgpr22
                                        ; implicit-def: $sgpr15
.LBB7_70:                               ;   in Loop: Header=BB7_29 Depth=1
	global_load_b64 v[21:22], v6, s[0:1]
	s_add_co_i32 s15, s14, -8
	s_add_nc_u64 s[0:1], s[0:1], 8
.LBB7_71:                               ;   in Loop: Header=BB7_29 Depth=1
	s_wait_alu 0xfffe
	s_cmp_gt_u32 s15, 7
	s_cbranch_scc1 .LBB7_76
; %bb.72:                               ;   in Loop: Header=BB7_29 Depth=1
	v_mov_b32_e32 v23, 0
	v_mov_b32_e32 v24, 0
	s_cmp_eq_u32 s15, 0
	s_cbranch_scc1 .LBB7_75
; %bb.73:                               ;   in Loop: Header=BB7_29 Depth=1
	s_mov_b64 s[10:11], 0
	s_mov_b64 s[12:13], s[0:1]
.LBB7_74:                               ;   Parent Loop BB7_29 Depth=1
                                        ; =>  This Inner Loop Header: Depth=2
	global_load_u8 v4, v6, s[12:13]
	s_add_co_i32 s15, s15, -1
	s_wait_alu 0xfffe
	s_add_nc_u64 s[12:13], s[12:13], 1
	s_cmp_lg_u32 s15, 0
	s_wait_loadcnt 0x0
	v_and_b32_e32 v5, 0xffff, v4
	s_delay_alu instid0(VALU_DEP_1) | instskip(SKIP_1) | instid1(VALU_DEP_1)
	v_lshlrev_b64_e32 v[4:5], s10, v[5:6]
	s_add_nc_u64 s[10:11], s[10:11], 8
	v_or_b32_e32 v23, v4, v23
	s_delay_alu instid0(VALU_DEP_2)
	v_or_b32_e32 v24, v5, v24
	s_cbranch_scc1 .LBB7_74
.LBB7_75:                               ;   in Loop: Header=BB7_29 Depth=1
	s_cbranch_execz .LBB7_77
	s_branch .LBB7_78
.LBB7_76:                               ;   in Loop: Header=BB7_29 Depth=1
.LBB7_77:                               ;   in Loop: Header=BB7_29 Depth=1
	global_load_b64 v[23:24], v6, s[0:1]
.LBB7_78:                               ;   in Loop: Header=BB7_29 Depth=1
	v_readfirstlane_b32 s0, v48
	s_wait_loadcnt 0x0
	v_mov_b32_e32 v4, 0
	v_mov_b32_e32 v5, 0
	s_wait_alu 0xf1ff
	v_cmp_eq_u32_e64 s0, s0, v48
	s_delay_alu instid0(VALU_DEP_1)
	s_and_saveexec_b32 s1, s0
	s_cbranch_execz .LBB7_84
; %bb.79:                               ;   in Loop: Header=BB7_29 Depth=1
	global_load_b64 v[27:28], v6, s[20:21] offset:24 scope:SCOPE_SYS
	s_wait_loadcnt 0x0
	global_inv scope:SCOPE_SYS
	s_clause 0x1
	global_load_b64 v[4:5], v6, s[20:21] offset:40
	global_load_b64 v[9:10], v6, s[20:21]
	s_mov_b32 s10, exec_lo
	s_wait_loadcnt 0x1
	v_and_b32_e32 v5, v5, v28
	v_and_b32_e32 v4, v4, v27
	s_delay_alu instid0(VALU_DEP_2) | instskip(NEXT) | instid1(VALU_DEP_2)
	v_mul_lo_u32 v5, 24, v5
	v_mul_lo_u32 v25, 0, v4
	v_mul_hi_u32 v26, 24, v4
	v_mul_lo_u32 v4, 24, v4
	s_delay_alu instid0(VALU_DEP_3) | instskip(SKIP_1) | instid1(VALU_DEP_2)
	v_add_nc_u32_e32 v5, v5, v25
	s_wait_loadcnt 0x0
	v_add_co_u32 v4, vcc_lo, v9, v4
	s_delay_alu instid0(VALU_DEP_2) | instskip(SKIP_1) | instid1(VALU_DEP_1)
	v_add_nc_u32_e32 v5, v5, v26
	s_wait_alu 0xfffd
	v_add_co_ci_u32_e32 v5, vcc_lo, v10, v5, vcc_lo
	global_load_b64 v[25:26], v[4:5], off scope:SCOPE_SYS
	s_wait_loadcnt 0x0
	global_atomic_cmpswap_b64 v[4:5], v6, v[25:28], s[20:21] offset:24 th:TH_ATOMIC_RETURN scope:SCOPE_SYS
	s_wait_loadcnt 0x0
	global_inv scope:SCOPE_SYS
	v_cmpx_ne_u64_e64 v[4:5], v[27:28]
	s_cbranch_execz .LBB7_83
; %bb.80:                               ;   in Loop: Header=BB7_29 Depth=1
	s_mov_b32 s11, 0
.LBB7_81:                               ;   Parent Loop BB7_29 Depth=1
                                        ; =>  This Inner Loop Header: Depth=2
	s_sleep 1
	s_clause 0x1
	global_load_b64 v[9:10], v6, s[20:21] offset:40
	global_load_b64 v[25:26], v6, s[20:21]
	v_dual_mov_b32 v28, v5 :: v_dual_mov_b32 v27, v4
	s_wait_loadcnt 0x1
	s_delay_alu instid0(VALU_DEP_1) | instskip(NEXT) | instid1(VALU_DEP_2)
	v_and_b32_e32 v4, v9, v27
	v_and_b32_e32 v9, v10, v28
	s_wait_loadcnt 0x0
	s_delay_alu instid0(VALU_DEP_2) | instskip(NEXT) | instid1(VALU_DEP_1)
	v_mad_co_u64_u32 v[4:5], null, v4, 24, v[25:26]
	v_mad_co_u64_u32 v[9:10], null, v9, 24, v[5:6]
	s_delay_alu instid0(VALU_DEP_1)
	v_mov_b32_e32 v5, v9
	global_load_b64 v[25:26], v[4:5], off scope:SCOPE_SYS
	s_wait_loadcnt 0x0
	global_atomic_cmpswap_b64 v[4:5], v6, v[25:28], s[20:21] offset:24 th:TH_ATOMIC_RETURN scope:SCOPE_SYS
	s_wait_loadcnt 0x0
	global_inv scope:SCOPE_SYS
	v_cmp_eq_u64_e32 vcc_lo, v[4:5], v[27:28]
	s_wait_alu 0xfffe
	s_or_b32 s11, vcc_lo, s11
	s_wait_alu 0xfffe
	s_and_not1_b32 exec_lo, exec_lo, s11
	s_cbranch_execnz .LBB7_81
; %bb.82:                               ;   in Loop: Header=BB7_29 Depth=1
	s_or_b32 exec_lo, exec_lo, s11
.LBB7_83:                               ;   in Loop: Header=BB7_29 Depth=1
	s_wait_alu 0xfffe
	s_or_b32 exec_lo, exec_lo, s10
.LBB7_84:                               ;   in Loop: Header=BB7_29 Depth=1
	s_wait_alu 0xfffe
	s_or_b32 exec_lo, exec_lo, s1
	s_clause 0x1
	global_load_b64 v[9:10], v6, s[20:21] offset:40
	global_load_b128 v[25:28], v6, s[20:21]
	v_readfirstlane_b32 s1, v5
	v_readfirstlane_b32 s10, v4
	s_mov_b32 s11, exec_lo
	s_wait_loadcnt 0x1
	s_wait_alu 0xf1ff
	v_and_b32_e32 v10, s1, v10
	v_and_b32_e32 v9, s10, v9
	s_delay_alu instid0(VALU_DEP_2) | instskip(NEXT) | instid1(VALU_DEP_2)
	v_mul_lo_u32 v4, 24, v10
	v_mul_lo_u32 v5, 0, v9
	v_mul_hi_u32 v29, 24, v9
	v_mul_lo_u32 v30, 24, v9
	s_delay_alu instid0(VALU_DEP_3) | instskip(NEXT) | instid1(VALU_DEP_1)
	v_add_nc_u32_e32 v4, v4, v5
	v_add_nc_u32_e32 v4, v4, v29
	s_wait_loadcnt 0x0
	s_delay_alu instid0(VALU_DEP_3) | instskip(SKIP_1) | instid1(VALU_DEP_2)
	v_add_co_u32 v29, vcc_lo, v25, v30
	s_wait_alu 0xfffd
	v_add_co_ci_u32_e32 v30, vcc_lo, v26, v4, vcc_lo
	s_and_saveexec_b32 s12, s0
	s_cbranch_execz .LBB7_86
; %bb.85:                               ;   in Loop: Header=BB7_29 Depth=1
	s_wait_alu 0xfffe
	v_mov_b32_e32 v5, s11
	global_store_b128 v[29:30], v[5:8], off offset:8
.LBB7_86:                               ;   in Loop: Header=BB7_29 Depth=1
	s_wait_alu 0xfffe
	s_or_b32 exec_lo, exec_lo, s12
	v_cmp_gt_u64_e64 vcc_lo, s[4:5], 56
	v_lshlrev_b64_e32 v[4:5], 12, v[9:10]
	v_or_b32_e32 v33, 0, v3
	v_or_b32_e32 v34, v2, v32
	s_lshl_b32 s11, s6, 2
	s_wait_alu 0xfffe
	s_add_co_i32 s11, s11, 28
	s_wait_alu 0xfffd
	v_cndmask_b32_e32 v10, v33, v3, vcc_lo
	v_cndmask_b32_e32 v2, v34, v2, vcc_lo
	v_add_co_u32 v27, vcc_lo, v27, v4
	s_wait_alu 0xfffd
	v_add_co_ci_u32_e32 v28, vcc_lo, v28, v5, vcc_lo
	s_wait_alu 0xfffe
	s_and_b32 s11, s11, 0x1e0
	v_readfirstlane_b32 s12, v27
	s_wait_alu 0xfffe
	v_and_or_b32 v9, 0xffffff1f, v2, s11
	v_readfirstlane_b32 s13, v28
	s_clause 0x3
	global_store_b128 v39, v[9:12], s[12:13]
	global_store_b128 v39, v[13:16], s[12:13] offset:16
	global_store_b128 v39, v[17:20], s[12:13] offset:32
	;; [unrolled: 1-line block ×3, first 2 shown]
	s_and_saveexec_b32 s11, s0
	s_cbranch_execz .LBB7_94
; %bb.87:                               ;   in Loop: Header=BB7_29 Depth=1
	s_clause 0x1
	global_load_b64 v[13:14], v6, s[20:21] offset:32 scope:SCOPE_SYS
	global_load_b64 v[2:3], v6, s[20:21] offset:40
	s_mov_b32 s12, exec_lo
	v_dual_mov_b32 v11, s10 :: v_dual_mov_b32 v12, s1
	s_wait_loadcnt 0x0
	v_and_b32_e32 v3, s1, v3
	v_and_b32_e32 v2, s10, v2
	s_delay_alu instid0(VALU_DEP_2) | instskip(NEXT) | instid1(VALU_DEP_2)
	v_mul_lo_u32 v3, 24, v3
	v_mul_lo_u32 v4, 0, v2
	v_mul_hi_u32 v5, 24, v2
	v_mul_lo_u32 v2, 24, v2
	s_delay_alu instid0(VALU_DEP_3) | instskip(NEXT) | instid1(VALU_DEP_2)
	v_add_nc_u32_e32 v3, v3, v4
	v_add_co_u32 v9, vcc_lo, v25, v2
	s_delay_alu instid0(VALU_DEP_2) | instskip(SKIP_1) | instid1(VALU_DEP_1)
	v_add_nc_u32_e32 v3, v3, v5
	s_wait_alu 0xfffd
	v_add_co_ci_u32_e32 v10, vcc_lo, v26, v3, vcc_lo
	global_store_b64 v[9:10], v[13:14], off
	global_wb scope:SCOPE_SYS
	s_wait_storecnt 0x0
	global_atomic_cmpswap_b64 v[4:5], v6, v[11:14], s[20:21] offset:32 th:TH_ATOMIC_RETURN scope:SCOPE_SYS
	s_wait_loadcnt 0x0
	v_cmpx_ne_u64_e64 v[4:5], v[13:14]
	s_cbranch_execz .LBB7_90
; %bb.88:                               ;   in Loop: Header=BB7_29 Depth=1
	s_mov_b32 s13, 0
.LBB7_89:                               ;   Parent Loop BB7_29 Depth=1
                                        ; =>  This Inner Loop Header: Depth=2
	v_dual_mov_b32 v2, s10 :: v_dual_mov_b32 v3, s1
	s_sleep 1
	global_store_b64 v[9:10], v[4:5], off
	global_wb scope:SCOPE_SYS
	s_wait_storecnt 0x0
	global_atomic_cmpswap_b64 v[2:3], v6, v[2:5], s[20:21] offset:32 th:TH_ATOMIC_RETURN scope:SCOPE_SYS
	s_wait_loadcnt 0x0
	v_cmp_eq_u64_e32 vcc_lo, v[2:3], v[4:5]
	v_dual_mov_b32 v5, v3 :: v_dual_mov_b32 v4, v2
	s_wait_alu 0xfffe
	s_or_b32 s13, vcc_lo, s13
	s_wait_alu 0xfffe
	s_and_not1_b32 exec_lo, exec_lo, s13
	s_cbranch_execnz .LBB7_89
.LBB7_90:                               ;   in Loop: Header=BB7_29 Depth=1
	s_wait_alu 0xfffe
	s_or_b32 exec_lo, exec_lo, s12
	global_load_b64 v[2:3], v6, s[20:21] offset:16
	s_mov_b32 s13, exec_lo
	s_mov_b32 s12, exec_lo
	s_wait_alu 0xfffe
	v_mbcnt_lo_u32_b32 v4, s13, 0
	s_delay_alu instid0(VALU_DEP_1)
	v_cmpx_eq_u32_e32 0, v4
	s_cbranch_execz .LBB7_92
; %bb.91:                               ;   in Loop: Header=BB7_29 Depth=1
	s_bcnt1_i32_b32 s13, s13
	s_wait_alu 0xfffe
	v_mov_b32_e32 v5, s13
	global_wb scope:SCOPE_SYS
	s_wait_loadcnt 0x0
	global_atomic_add_u64 v[2:3], v[5:6], off offset:8 scope:SCOPE_SYS
.LBB7_92:                               ;   in Loop: Header=BB7_29 Depth=1
	s_or_b32 exec_lo, exec_lo, s12
	s_wait_loadcnt 0x0
	global_load_b64 v[9:10], v[2:3], off offset:16
	s_wait_loadcnt 0x0
	v_cmp_eq_u64_e32 vcc_lo, 0, v[9:10]
	s_cbranch_vccnz .LBB7_94
; %bb.93:                               ;   in Loop: Header=BB7_29 Depth=1
	global_load_b32 v5, v[2:3], off offset:24
	s_wait_loadcnt 0x0
	v_and_b32_e32 v2, 0xffffff, v5
	global_wb scope:SCOPE_SYS
	s_wait_storecnt 0x0
	global_store_b64 v[9:10], v[5:6], off scope:SCOPE_SYS
	v_readfirstlane_b32 m0, v2
	s_sendmsg sendmsg(MSG_INTERRUPT)
.LBB7_94:                               ;   in Loop: Header=BB7_29 Depth=1
	s_wait_alu 0xfffe
	s_or_b32 exec_lo, exec_lo, s11
	v_add_co_u32 v2, vcc_lo, v27, v39
	s_wait_alu 0xfffd
	v_add_co_ci_u32_e32 v3, vcc_lo, 0, v28, vcc_lo
	s_branch .LBB7_98
.LBB7_95:                               ;   in Loop: Header=BB7_98 Depth=2
	s_wait_alu 0xfffe
	s_or_b32 exec_lo, exec_lo, s11
	s_delay_alu instid0(VALU_DEP_1) | instskip(NEXT) | instid1(VALU_DEP_1)
	v_readfirstlane_b32 s11, v4
	s_cmp_eq_u32 s11, 0
	s_cbranch_scc1 .LBB7_97
; %bb.96:                               ;   in Loop: Header=BB7_98 Depth=2
	s_sleep 1
	s_cbranch_execnz .LBB7_98
	s_branch .LBB7_100
.LBB7_97:                               ;   in Loop: Header=BB7_29 Depth=1
	s_branch .LBB7_100
.LBB7_98:                               ;   Parent Loop BB7_29 Depth=1
                                        ; =>  This Inner Loop Header: Depth=2
	v_mov_b32_e32 v4, 1
	s_and_saveexec_b32 s11, s0
	s_cbranch_execz .LBB7_95
; %bb.99:                               ;   in Loop: Header=BB7_98 Depth=2
	global_load_b32 v4, v[29:30], off offset:20 scope:SCOPE_SYS
	s_wait_loadcnt 0x0
	global_inv scope:SCOPE_SYS
	v_and_b32_e32 v4, 1, v4
	s_branch .LBB7_95
.LBB7_100:                              ;   in Loop: Header=BB7_29 Depth=1
	global_load_b128 v[2:5], v[2:3], off
	s_and_saveexec_b32 s11, s0
	s_cbranch_execz .LBB7_28
; %bb.101:                              ;   in Loop: Header=BB7_29 Depth=1
	s_clause 0x2
	global_load_b64 v[4:5], v6, s[20:21] offset:40
	global_load_b64 v[13:14], v6, s[20:21] offset:24 scope:SCOPE_SYS
	global_load_b64 v[11:12], v6, s[20:21]
	s_wait_loadcnt 0x2
	v_add_co_u32 v15, vcc_lo, v4, 1
	s_wait_alu 0xfffd
	v_add_co_ci_u32_e32 v16, vcc_lo, 0, v5, vcc_lo
	s_delay_alu instid0(VALU_DEP_2) | instskip(SKIP_1) | instid1(VALU_DEP_2)
	v_add_co_u32 v9, vcc_lo, v15, s10
	s_wait_alu 0xfffd
	v_add_co_ci_u32_e32 v10, vcc_lo, s1, v16, vcc_lo
	s_delay_alu instid0(VALU_DEP_1) | instskip(SKIP_2) | instid1(VALU_DEP_1)
	v_cmp_eq_u64_e32 vcc_lo, 0, v[9:10]
	s_wait_alu 0xfffd
	v_dual_cndmask_b32 v10, v10, v16 :: v_dual_cndmask_b32 v9, v9, v15
	v_and_b32_e32 v5, v10, v5
	s_delay_alu instid0(VALU_DEP_2) | instskip(NEXT) | instid1(VALU_DEP_2)
	v_and_b32_e32 v4, v9, v4
	v_mul_lo_u32 v5, 24, v5
	s_delay_alu instid0(VALU_DEP_2) | instskip(SKIP_2) | instid1(VALU_DEP_3)
	v_mul_lo_u32 v15, 0, v4
	v_mul_hi_u32 v16, 24, v4
	v_mul_lo_u32 v4, 24, v4
	v_add_nc_u32_e32 v5, v5, v15
	s_wait_loadcnt 0x0
	s_delay_alu instid0(VALU_DEP_2) | instskip(SKIP_1) | instid1(VALU_DEP_3)
	v_add_co_u32 v4, vcc_lo, v11, v4
	v_mov_b32_e32 v11, v13
	v_add_nc_u32_e32 v5, v5, v16
	s_wait_alu 0xfffd
	s_delay_alu instid0(VALU_DEP_1)
	v_add_co_ci_u32_e32 v5, vcc_lo, v12, v5, vcc_lo
	v_mov_b32_e32 v12, v14
	global_store_b64 v[4:5], v[13:14], off
	global_wb scope:SCOPE_SYS
	s_wait_storecnt 0x0
	global_atomic_cmpswap_b64 v[11:12], v6, v[9:12], s[20:21] offset:24 th:TH_ATOMIC_RETURN scope:SCOPE_SYS
	s_wait_loadcnt 0x0
	v_cmp_ne_u64_e32 vcc_lo, v[11:12], v[13:14]
	s_and_b32 exec_lo, exec_lo, vcc_lo
	s_cbranch_execz .LBB7_28
; %bb.102:                              ;   in Loop: Header=BB7_29 Depth=1
	s_mov_b32 s0, 0
.LBB7_103:                              ;   Parent Loop BB7_29 Depth=1
                                        ; =>  This Inner Loop Header: Depth=2
	s_sleep 1
	global_store_b64 v[4:5], v[11:12], off
	global_wb scope:SCOPE_SYS
	s_wait_storecnt 0x0
	global_atomic_cmpswap_b64 v[13:14], v6, v[9:12], s[20:21] offset:24 th:TH_ATOMIC_RETURN scope:SCOPE_SYS
	s_wait_loadcnt 0x0
	v_cmp_eq_u64_e32 vcc_lo, v[13:14], v[11:12]
	v_dual_mov_b32 v11, v13 :: v_dual_mov_b32 v12, v14
	s_wait_alu 0xfffe
	s_or_b32 s0, vcc_lo, s0
	s_wait_alu 0xfffe
	s_and_not1_b32 exec_lo, exec_lo, s0
	s_cbranch_execnz .LBB7_103
	s_branch .LBB7_28
.LBB7_104:
	s_branch .LBB7_133
.LBB7_105:
                                        ; implicit-def: $vgpr2_vgpr3
	s_cbranch_execz .LBB7_133
; %bb.106:
	v_readfirstlane_b32 s0, v48
	v_mov_b32_e32 v8, 0
	v_mov_b32_e32 v9, 0
	s_wait_alu 0xf1ff
	s_delay_alu instid0(VALU_DEP_3) | instskip(NEXT) | instid1(VALU_DEP_1)
	v_cmp_eq_u32_e64 s0, s0, v48
	s_and_saveexec_b32 s1, s0
	s_cbranch_execz .LBB7_112
; %bb.107:
	s_wait_loadcnt 0x0
	v_mov_b32_e32 v2, 0
	s_mov_b32 s2, exec_lo
	global_load_b64 v[5:6], v2, s[20:21] offset:24 scope:SCOPE_SYS
	s_wait_loadcnt 0x0
	global_inv scope:SCOPE_SYS
	s_clause 0x1
	global_load_b64 v[3:4], v2, s[20:21] offset:40
	global_load_b64 v[7:8], v2, s[20:21]
	s_wait_loadcnt 0x1
	v_and_b32_e32 v3, v3, v5
	v_and_b32_e32 v4, v4, v6
	s_delay_alu instid0(VALU_DEP_2) | instskip(NEXT) | instid1(VALU_DEP_2)
	v_mul_lo_u32 v9, 0, v3
	v_mul_lo_u32 v4, 24, v4
	v_mul_hi_u32 v10, 24, v3
	v_mul_lo_u32 v3, 24, v3
	s_delay_alu instid0(VALU_DEP_3) | instskip(SKIP_1) | instid1(VALU_DEP_2)
	v_add_nc_u32_e32 v4, v4, v9
	s_wait_loadcnt 0x0
	v_add_co_u32 v3, vcc_lo, v7, v3
	s_delay_alu instid0(VALU_DEP_2) | instskip(SKIP_1) | instid1(VALU_DEP_1)
	v_add_nc_u32_e32 v4, v4, v10
	s_wait_alu 0xfffd
	v_add_co_ci_u32_e32 v4, vcc_lo, v8, v4, vcc_lo
	global_load_b64 v[3:4], v[3:4], off scope:SCOPE_SYS
	s_wait_loadcnt 0x0
	global_atomic_cmpswap_b64 v[8:9], v2, v[3:6], s[20:21] offset:24 th:TH_ATOMIC_RETURN scope:SCOPE_SYS
	s_wait_loadcnt 0x0
	global_inv scope:SCOPE_SYS
	v_cmpx_ne_u64_e64 v[8:9], v[5:6]
	s_cbranch_execz .LBB7_111
; %bb.108:
	s_mov_b32 s3, 0
.LBB7_109:                              ; =>This Inner Loop Header: Depth=1
	s_sleep 1
	s_clause 0x1
	global_load_b64 v[3:4], v2, s[20:21] offset:40
	global_load_b64 v[10:11], v2, s[20:21]
	v_dual_mov_b32 v5, v8 :: v_dual_mov_b32 v6, v9
	s_wait_loadcnt 0x1
	s_delay_alu instid0(VALU_DEP_1) | instskip(NEXT) | instid1(VALU_DEP_2)
	v_and_b32_e32 v3, v3, v5
	v_and_b32_e32 v4, v4, v6
	s_wait_loadcnt 0x0
	s_delay_alu instid0(VALU_DEP_2) | instskip(NEXT) | instid1(VALU_DEP_1)
	v_mad_co_u64_u32 v[7:8], null, v3, 24, v[10:11]
	v_mov_b32_e32 v3, v8
	s_delay_alu instid0(VALU_DEP_1) | instskip(NEXT) | instid1(VALU_DEP_1)
	v_mad_co_u64_u32 v[3:4], null, v4, 24, v[3:4]
	v_mov_b32_e32 v8, v3
	global_load_b64 v[3:4], v[7:8], off scope:SCOPE_SYS
	s_wait_loadcnt 0x0
	global_atomic_cmpswap_b64 v[8:9], v2, v[3:6], s[20:21] offset:24 th:TH_ATOMIC_RETURN scope:SCOPE_SYS
	s_wait_loadcnt 0x0
	global_inv scope:SCOPE_SYS
	v_cmp_eq_u64_e32 vcc_lo, v[8:9], v[5:6]
	s_wait_alu 0xfffe
	s_or_b32 s3, vcc_lo, s3
	s_wait_alu 0xfffe
	s_and_not1_b32 exec_lo, exec_lo, s3
	s_cbranch_execnz .LBB7_109
; %bb.110:
	s_or_b32 exec_lo, exec_lo, s3
.LBB7_111:
	s_wait_alu 0xfffe
	s_or_b32 exec_lo, exec_lo, s2
.LBB7_112:
	s_wait_alu 0xfffe
	s_or_b32 exec_lo, exec_lo, s1
	v_readfirstlane_b32 s1, v9
	s_wait_loadcnt 0x0
	v_mov_b32_e32 v2, 0
	v_readfirstlane_b32 s2, v8
	s_mov_b32 s3, exec_lo
	s_clause 0x1
	global_load_b64 v[10:11], v2, s[20:21] offset:40
	global_load_b128 v[4:7], v2, s[20:21]
	s_wait_loadcnt 0x1
	s_wait_alu 0xf1ff
	v_and_b32_e32 v11, s1, v11
	v_and_b32_e32 v10, s2, v10
	s_delay_alu instid0(VALU_DEP_2) | instskip(NEXT) | instid1(VALU_DEP_2)
	v_mul_lo_u32 v3, 24, v11
	v_mul_lo_u32 v8, 0, v10
	v_mul_hi_u32 v9, 24, v10
	v_mul_lo_u32 v12, 24, v10
	s_delay_alu instid0(VALU_DEP_3) | instskip(SKIP_1) | instid1(VALU_DEP_2)
	v_add_nc_u32_e32 v3, v3, v8
	s_wait_loadcnt 0x0
	v_add_co_u32 v8, vcc_lo, v4, v12
	s_delay_alu instid0(VALU_DEP_2) | instskip(SKIP_1) | instid1(VALU_DEP_1)
	v_add_nc_u32_e32 v3, v3, v9
	s_wait_alu 0xfffd
	v_add_co_ci_u32_e32 v9, vcc_lo, v5, v3, vcc_lo
	s_and_saveexec_b32 s4, s0
	s_cbranch_execz .LBB7_114
; %bb.113:
	s_wait_alu 0xfffe
	v_dual_mov_b32 v12, s3 :: v_dual_mov_b32 v13, v2
	v_dual_mov_b32 v14, 2 :: v_dual_mov_b32 v15, 1
	global_store_b128 v[8:9], v[12:15], off offset:8
.LBB7_114:
	s_wait_alu 0xfffe
	s_or_b32 exec_lo, exec_lo, s4
	v_lshlrev_b64_e32 v[10:11], 12, v[10:11]
	s_mov_b32 s4, 0
	v_and_or_b32 v0, 0xffffff1f, v0, 32
	s_wait_alu 0xfffe
	s_mov_b32 s7, s4
	s_mov_b32 s5, s4
	;; [unrolled: 1-line block ×3, first 2 shown]
	v_add_co_u32 v6, vcc_lo, v6, v10
	s_wait_alu 0xfffd
	v_add_co_ci_u32_e32 v7, vcc_lo, v7, v11, vcc_lo
	v_mov_b32_e32 v3, v2
	s_delay_alu instid0(VALU_DEP_3) | instskip(SKIP_1) | instid1(VALU_DEP_4)
	v_readfirstlane_b32 s10, v6
	v_add_co_u32 v6, vcc_lo, v6, v39
	v_readfirstlane_b32 s11, v7
	s_wait_alu 0xfffe
	v_dual_mov_b32 v13, s7 :: v_dual_mov_b32 v10, s4
	s_wait_alu 0xfffd
	v_add_co_ci_u32_e32 v7, vcc_lo, 0, v7, vcc_lo
	v_dual_mov_b32 v12, s6 :: v_dual_mov_b32 v11, s5
	s_clause 0x3
	global_store_b128 v39, v[0:3], s[10:11]
	global_store_b128 v39, v[10:13], s[10:11] offset:16
	global_store_b128 v39, v[10:13], s[10:11] offset:32
	;; [unrolled: 1-line block ×3, first 2 shown]
	s_and_saveexec_b32 s3, s0
	s_cbranch_execz .LBB7_122
; %bb.115:
	v_mov_b32_e32 v10, 0
	s_mov_b32 s4, exec_lo
	s_clause 0x1
	global_load_b64 v[13:14], v10, s[20:21] offset:32 scope:SCOPE_SYS
	global_load_b64 v[0:1], v10, s[20:21] offset:40
	v_dual_mov_b32 v11, s2 :: v_dual_mov_b32 v12, s1
	s_wait_loadcnt 0x0
	v_and_b32_e32 v1, s1, v1
	v_and_b32_e32 v0, s2, v0
	s_delay_alu instid0(VALU_DEP_2) | instskip(NEXT) | instid1(VALU_DEP_2)
	v_mul_lo_u32 v1, 24, v1
	v_mul_lo_u32 v2, 0, v0
	v_mul_hi_u32 v3, 24, v0
	v_mul_lo_u32 v0, 24, v0
	s_delay_alu instid0(VALU_DEP_3) | instskip(NEXT) | instid1(VALU_DEP_2)
	v_add_nc_u32_e32 v1, v1, v2
	v_add_co_u32 v4, vcc_lo, v4, v0
	s_delay_alu instid0(VALU_DEP_2) | instskip(SKIP_1) | instid1(VALU_DEP_1)
	v_add_nc_u32_e32 v1, v1, v3
	s_wait_alu 0xfffd
	v_add_co_ci_u32_e32 v5, vcc_lo, v5, v1, vcc_lo
	global_store_b64 v[4:5], v[13:14], off
	global_wb scope:SCOPE_SYS
	s_wait_storecnt 0x0
	global_atomic_cmpswap_b64 v[2:3], v10, v[11:14], s[20:21] offset:32 th:TH_ATOMIC_RETURN scope:SCOPE_SYS
	s_wait_loadcnt 0x0
	v_cmpx_ne_u64_e64 v[2:3], v[13:14]
	s_cbranch_execz .LBB7_118
; %bb.116:
	s_mov_b32 s5, 0
.LBB7_117:                              ; =>This Inner Loop Header: Depth=1
	v_dual_mov_b32 v0, s2 :: v_dual_mov_b32 v1, s1
	s_sleep 1
	global_store_b64 v[4:5], v[2:3], off
	global_wb scope:SCOPE_SYS
	s_wait_storecnt 0x0
	global_atomic_cmpswap_b64 v[0:1], v10, v[0:3], s[20:21] offset:32 th:TH_ATOMIC_RETURN scope:SCOPE_SYS
	s_wait_loadcnt 0x0
	v_cmp_eq_u64_e32 vcc_lo, v[0:1], v[2:3]
	v_dual_mov_b32 v3, v1 :: v_dual_mov_b32 v2, v0
	s_wait_alu 0xfffe
	s_or_b32 s5, vcc_lo, s5
	s_wait_alu 0xfffe
	s_and_not1_b32 exec_lo, exec_lo, s5
	s_cbranch_execnz .LBB7_117
.LBB7_118:
	s_wait_alu 0xfffe
	s_or_b32 exec_lo, exec_lo, s4
	v_mov_b32_e32 v3, 0
	s_mov_b32 s5, exec_lo
	s_mov_b32 s4, exec_lo
	s_wait_alu 0xfffe
	v_mbcnt_lo_u32_b32 v2, s5, 0
	global_load_b64 v[0:1], v3, s[20:21] offset:16
	v_cmpx_eq_u32_e32 0, v2
	s_cbranch_execz .LBB7_120
; %bb.119:
	s_bcnt1_i32_b32 s5, s5
	s_wait_alu 0xfffe
	v_mov_b32_e32 v2, s5
	global_wb scope:SCOPE_SYS
	s_wait_loadcnt 0x0
	global_atomic_add_u64 v[0:1], v[2:3], off offset:8 scope:SCOPE_SYS
.LBB7_120:
	s_or_b32 exec_lo, exec_lo, s4
	s_wait_loadcnt 0x0
	global_load_b64 v[2:3], v[0:1], off offset:16
	s_wait_loadcnt 0x0
	v_cmp_eq_u64_e32 vcc_lo, 0, v[2:3]
	s_cbranch_vccnz .LBB7_122
; %bb.121:
	global_load_b32 v0, v[0:1], off offset:24
	s_wait_loadcnt 0x0
	v_dual_mov_b32 v1, 0 :: v_dual_and_b32 v4, 0xffffff, v0
	global_wb scope:SCOPE_SYS
	s_wait_storecnt 0x0
	global_store_b64 v[2:3], v[0:1], off scope:SCOPE_SYS
	v_readfirstlane_b32 m0, v4
	s_sendmsg sendmsg(MSG_INTERRUPT)
.LBB7_122:
	s_wait_alu 0xfffe
	s_or_b32 exec_lo, exec_lo, s3
	s_branch .LBB7_126
.LBB7_123:                              ;   in Loop: Header=BB7_126 Depth=1
	s_wait_alu 0xfffe
	s_or_b32 exec_lo, exec_lo, s3
	s_delay_alu instid0(VALU_DEP_1) | instskip(NEXT) | instid1(VALU_DEP_1)
	v_readfirstlane_b32 s3, v0
	s_cmp_eq_u32 s3, 0
	s_cbranch_scc1 .LBB7_125
; %bb.124:                              ;   in Loop: Header=BB7_126 Depth=1
	s_sleep 1
	s_cbranch_execnz .LBB7_126
	s_branch .LBB7_128
.LBB7_125:
	s_branch .LBB7_128
.LBB7_126:                              ; =>This Inner Loop Header: Depth=1
	v_mov_b32_e32 v0, 1
	s_and_saveexec_b32 s3, s0
	s_cbranch_execz .LBB7_123
; %bb.127:                              ;   in Loop: Header=BB7_126 Depth=1
	global_load_b32 v0, v[8:9], off offset:20 scope:SCOPE_SYS
	s_wait_loadcnt 0x0
	global_inv scope:SCOPE_SYS
	v_and_b32_e32 v0, 1, v0
	s_branch .LBB7_123
.LBB7_128:
	global_load_b64 v[2:3], v[6:7], off
	s_and_saveexec_b32 s3, s0
	s_cbranch_execz .LBB7_132
; %bb.129:
	v_mov_b32_e32 v8, 0
	s_clause 0x2
	global_load_b64 v[0:1], v8, s[20:21] offset:40
	global_load_b64 v[9:10], v8, s[20:21] offset:24 scope:SCOPE_SYS
	global_load_b64 v[6:7], v8, s[20:21]
	s_wait_loadcnt 0x2
	v_add_co_u32 v11, vcc_lo, v0, 1
	s_wait_alu 0xfffd
	v_add_co_ci_u32_e32 v12, vcc_lo, 0, v1, vcc_lo
	s_delay_alu instid0(VALU_DEP_2) | instskip(SKIP_1) | instid1(VALU_DEP_2)
	v_add_co_u32 v4, vcc_lo, v11, s2
	s_wait_alu 0xfffd
	v_add_co_ci_u32_e32 v5, vcc_lo, s1, v12, vcc_lo
	s_delay_alu instid0(VALU_DEP_1) | instskip(SKIP_2) | instid1(VALU_DEP_1)
	v_cmp_eq_u64_e32 vcc_lo, 0, v[4:5]
	s_wait_alu 0xfffd
	v_dual_cndmask_b32 v5, v5, v12 :: v_dual_cndmask_b32 v4, v4, v11
	v_and_b32_e32 v1, v5, v1
	s_delay_alu instid0(VALU_DEP_2) | instskip(NEXT) | instid1(VALU_DEP_2)
	v_and_b32_e32 v0, v4, v0
	v_mul_lo_u32 v1, 24, v1
	s_delay_alu instid0(VALU_DEP_2) | instskip(SKIP_2) | instid1(VALU_DEP_3)
	v_mul_lo_u32 v11, 0, v0
	v_mul_hi_u32 v12, 24, v0
	v_mul_lo_u32 v0, 24, v0
	v_add_nc_u32_e32 v1, v1, v11
	s_wait_loadcnt 0x0
	s_delay_alu instid0(VALU_DEP_2) | instskip(SKIP_1) | instid1(VALU_DEP_3)
	v_add_co_u32 v0, vcc_lo, v6, v0
	v_mov_b32_e32 v6, v9
	v_add_nc_u32_e32 v1, v1, v12
	s_wait_alu 0xfffd
	s_delay_alu instid0(VALU_DEP_1)
	v_add_co_ci_u32_e32 v1, vcc_lo, v7, v1, vcc_lo
	v_mov_b32_e32 v7, v10
	global_store_b64 v[0:1], v[9:10], off
	global_wb scope:SCOPE_SYS
	s_wait_storecnt 0x0
	global_atomic_cmpswap_b64 v[6:7], v8, v[4:7], s[20:21] offset:24 th:TH_ATOMIC_RETURN scope:SCOPE_SYS
	s_wait_loadcnt 0x0
	v_cmp_ne_u64_e32 vcc_lo, v[6:7], v[9:10]
	s_and_b32 exec_lo, exec_lo, vcc_lo
	s_cbranch_execz .LBB7_132
; %bb.130:
	s_mov_b32 s0, 0
.LBB7_131:                              ; =>This Inner Loop Header: Depth=1
	s_sleep 1
	global_store_b64 v[0:1], v[6:7], off
	global_wb scope:SCOPE_SYS
	s_wait_storecnt 0x0
	global_atomic_cmpswap_b64 v[9:10], v8, v[4:7], s[20:21] offset:24 th:TH_ATOMIC_RETURN scope:SCOPE_SYS
	s_wait_loadcnt 0x0
	v_cmp_eq_u64_e32 vcc_lo, v[9:10], v[6:7]
	v_dual_mov_b32 v6, v9 :: v_dual_mov_b32 v7, v10
	s_wait_alu 0xfffe
	s_or_b32 s0, vcc_lo, s0
	s_wait_alu 0xfffe
	s_and_not1_b32 exec_lo, exec_lo, s0
	s_cbranch_execnz .LBB7_131
.LBB7_132:
	s_wait_alu 0xfffe
	s_or_b32 exec_lo, exec_lo, s3
.LBB7_133:
	v_readfirstlane_b32 s0, v48
	s_wait_loadcnt 0x0
	v_mov_b32_e32 v0, 0
	v_mov_b32_e32 v1, 0
	s_wait_alu 0xf1ff
	v_cmp_eq_u32_e64 s0, s0, v48
	s_delay_alu instid0(VALU_DEP_1)
	s_and_saveexec_b32 s1, s0
	s_cbranch_execz .LBB7_139
; %bb.134:
	v_mov_b32_e32 v4, 0
	s_mov_b32 s2, exec_lo
	global_load_b64 v[7:8], v4, s[20:21] offset:24 scope:SCOPE_SYS
	s_wait_loadcnt 0x0
	global_inv scope:SCOPE_SYS
	s_clause 0x1
	global_load_b64 v[0:1], v4, s[20:21] offset:40
	global_load_b64 v[5:6], v4, s[20:21]
	s_wait_loadcnt 0x1
	v_and_b32_e32 v1, v1, v8
	v_and_b32_e32 v0, v0, v7
	s_delay_alu instid0(VALU_DEP_2) | instskip(NEXT) | instid1(VALU_DEP_2)
	v_mul_lo_u32 v1, 24, v1
	v_mul_lo_u32 v9, 0, v0
	v_mul_hi_u32 v10, 24, v0
	v_mul_lo_u32 v0, 24, v0
	s_delay_alu instid0(VALU_DEP_3) | instskip(SKIP_1) | instid1(VALU_DEP_2)
	v_add_nc_u32_e32 v1, v1, v9
	s_wait_loadcnt 0x0
	v_add_co_u32 v0, vcc_lo, v5, v0
	s_delay_alu instid0(VALU_DEP_2) | instskip(SKIP_1) | instid1(VALU_DEP_1)
	v_add_nc_u32_e32 v1, v1, v10
	s_wait_alu 0xfffd
	v_add_co_ci_u32_e32 v1, vcc_lo, v6, v1, vcc_lo
	global_load_b64 v[5:6], v[0:1], off scope:SCOPE_SYS
	s_wait_loadcnt 0x0
	global_atomic_cmpswap_b64 v[0:1], v4, v[5:8], s[20:21] offset:24 th:TH_ATOMIC_RETURN scope:SCOPE_SYS
	s_wait_loadcnt 0x0
	global_inv scope:SCOPE_SYS
	v_cmpx_ne_u64_e64 v[0:1], v[7:8]
	s_cbranch_execz .LBB7_138
; %bb.135:
	s_mov_b32 s3, 0
.LBB7_136:                              ; =>This Inner Loop Header: Depth=1
	s_sleep 1
	s_clause 0x1
	global_load_b64 v[5:6], v4, s[20:21] offset:40
	global_load_b64 v[9:10], v4, s[20:21]
	v_dual_mov_b32 v8, v1 :: v_dual_mov_b32 v7, v0
	s_wait_loadcnt 0x1
	s_delay_alu instid0(VALU_DEP_1) | instskip(NEXT) | instid1(VALU_DEP_2)
	v_and_b32_e32 v0, v5, v7
	v_and_b32_e32 v5, v6, v8
	s_wait_loadcnt 0x0
	s_delay_alu instid0(VALU_DEP_2) | instskip(NEXT) | instid1(VALU_DEP_1)
	v_mad_co_u64_u32 v[0:1], null, v0, 24, v[9:10]
	v_mad_co_u64_u32 v[5:6], null, v5, 24, v[1:2]
	s_delay_alu instid0(VALU_DEP_1)
	v_mov_b32_e32 v1, v5
	global_load_b64 v[5:6], v[0:1], off scope:SCOPE_SYS
	s_wait_loadcnt 0x0
	global_atomic_cmpswap_b64 v[0:1], v4, v[5:8], s[20:21] offset:24 th:TH_ATOMIC_RETURN scope:SCOPE_SYS
	s_wait_loadcnt 0x0
	global_inv scope:SCOPE_SYS
	v_cmp_eq_u64_e32 vcc_lo, v[0:1], v[7:8]
	s_wait_alu 0xfffe
	s_or_b32 s3, vcc_lo, s3
	s_wait_alu 0xfffe
	s_and_not1_b32 exec_lo, exec_lo, s3
	s_cbranch_execnz .LBB7_136
; %bb.137:
	s_or_b32 exec_lo, exec_lo, s3
.LBB7_138:
	s_wait_alu 0xfffe
	s_or_b32 exec_lo, exec_lo, s2
.LBB7_139:
	s_wait_alu 0xfffe
	s_or_b32 exec_lo, exec_lo, s1
	v_readfirstlane_b32 s2, v0
	v_mov_b32_e32 v11, 0
	v_readfirstlane_b32 s1, v1
	s_mov_b32 s3, exec_lo
	s_clause 0x1
	global_load_b64 v[4:5], v11, s[20:21] offset:40
	global_load_b128 v[6:9], v11, s[20:21]
	s_wait_loadcnt 0x1
	s_wait_alu 0xf1ff
	v_and_b32_e32 v0, s2, v4
	v_and_b32_e32 v1, s1, v5
	s_delay_alu instid0(VALU_DEP_2) | instskip(NEXT) | instid1(VALU_DEP_2)
	v_mul_lo_u32 v5, 0, v0
	v_mul_lo_u32 v4, 24, v1
	v_mul_hi_u32 v10, 24, v0
	v_mul_lo_u32 v12, 24, v0
	s_delay_alu instid0(VALU_DEP_3) | instskip(SKIP_1) | instid1(VALU_DEP_2)
	v_add_nc_u32_e32 v4, v4, v5
	s_wait_loadcnt 0x0
	v_add_co_u32 v14, vcc_lo, v6, v12
	s_delay_alu instid0(VALU_DEP_2) | instskip(SKIP_1) | instid1(VALU_DEP_1)
	v_add_nc_u32_e32 v4, v4, v10
	s_wait_alu 0xfffd
	v_add_co_ci_u32_e32 v15, vcc_lo, v7, v4, vcc_lo
	s_and_saveexec_b32 s4, s0
	s_cbranch_execz .LBB7_141
; %bb.140:
	s_wait_alu 0xfffe
	v_dual_mov_b32 v10, s3 :: v_dual_mov_b32 v13, 1
	v_mov_b32_e32 v12, 2
	global_store_b128 v[14:15], v[10:13], off offset:8
.LBB7_141:
	s_wait_alu 0xfffe
	s_or_b32 exec_lo, exec_lo, s4
	v_lshlrev_b64_e32 v[0:1], 12, v[0:1]
	s_mov_b32 s4, 0
	v_and_or_b32 v2, 0xffffff1d, v2, 34
	s_wait_alu 0xfffe
	s_mov_b32 s7, s4
	s_mov_b32 s5, s4
	;; [unrolled: 1-line block ×3, first 2 shown]
	v_add_co_u32 v0, vcc_lo, v8, v0
	s_wait_alu 0xfffd
	v_add_co_ci_u32_e32 v1, vcc_lo, v9, v1, vcc_lo
	s_wait_dscnt 0x0
	v_ashrrev_i32_e32 v5, 31, v31
	s_wait_alu 0xfffe
	v_dual_mov_b32 v4, v31 :: v_dual_mov_b32 v11, s7
	v_readfirstlane_b32 s10, v0
	v_readfirstlane_b32 s11, v1
	v_dual_mov_b32 v10, s6 :: v_dual_mov_b32 v9, s5
	v_mov_b32_e32 v8, s4
	s_clause 0x3
	global_store_b128 v39, v[2:5], s[10:11]
	global_store_b128 v39, v[8:11], s[10:11] offset:16
	global_store_b128 v39, v[8:11], s[10:11] offset:32
	;; [unrolled: 1-line block ×3, first 2 shown]
	s_and_saveexec_b32 s3, s0
	s_cbranch_execz .LBB7_149
; %bb.142:
	v_mov_b32_e32 v8, 0
	s_mov_b32 s4, exec_lo
	s_clause 0x1
	global_load_b64 v[11:12], v8, s[20:21] offset:32 scope:SCOPE_SYS
	global_load_b64 v[0:1], v8, s[20:21] offset:40
	v_dual_mov_b32 v9, s2 :: v_dual_mov_b32 v10, s1
	s_wait_loadcnt 0x0
	v_and_b32_e32 v1, s1, v1
	v_and_b32_e32 v0, s2, v0
	s_delay_alu instid0(VALU_DEP_2) | instskip(NEXT) | instid1(VALU_DEP_2)
	v_mul_lo_u32 v1, 24, v1
	v_mul_lo_u32 v2, 0, v0
	v_mul_hi_u32 v3, 24, v0
	v_mul_lo_u32 v0, 24, v0
	s_delay_alu instid0(VALU_DEP_3) | instskip(NEXT) | instid1(VALU_DEP_2)
	v_add_nc_u32_e32 v1, v1, v2
	v_add_co_u32 v4, vcc_lo, v6, v0
	s_delay_alu instid0(VALU_DEP_2) | instskip(SKIP_1) | instid1(VALU_DEP_1)
	v_add_nc_u32_e32 v1, v1, v3
	s_wait_alu 0xfffd
	v_add_co_ci_u32_e32 v5, vcc_lo, v7, v1, vcc_lo
	global_store_b64 v[4:5], v[11:12], off
	global_wb scope:SCOPE_SYS
	s_wait_storecnt 0x0
	global_atomic_cmpswap_b64 v[2:3], v8, v[9:12], s[20:21] offset:32 th:TH_ATOMIC_RETURN scope:SCOPE_SYS
	s_wait_loadcnt 0x0
	v_cmpx_ne_u64_e64 v[2:3], v[11:12]
	s_cbranch_execz .LBB7_145
; %bb.143:
	s_mov_b32 s5, 0
.LBB7_144:                              ; =>This Inner Loop Header: Depth=1
	v_dual_mov_b32 v0, s2 :: v_dual_mov_b32 v1, s1
	s_sleep 1
	global_store_b64 v[4:5], v[2:3], off
	global_wb scope:SCOPE_SYS
	s_wait_storecnt 0x0
	global_atomic_cmpswap_b64 v[0:1], v8, v[0:3], s[20:21] offset:32 th:TH_ATOMIC_RETURN scope:SCOPE_SYS
	s_wait_loadcnt 0x0
	v_cmp_eq_u64_e32 vcc_lo, v[0:1], v[2:3]
	v_dual_mov_b32 v3, v1 :: v_dual_mov_b32 v2, v0
	s_wait_alu 0xfffe
	s_or_b32 s5, vcc_lo, s5
	s_wait_alu 0xfffe
	s_and_not1_b32 exec_lo, exec_lo, s5
	s_cbranch_execnz .LBB7_144
.LBB7_145:
	s_wait_alu 0xfffe
	s_or_b32 exec_lo, exec_lo, s4
	v_mov_b32_e32 v3, 0
	s_mov_b32 s5, exec_lo
	s_mov_b32 s4, exec_lo
	s_wait_alu 0xfffe
	v_mbcnt_lo_u32_b32 v2, s5, 0
	global_load_b64 v[0:1], v3, s[20:21] offset:16
	v_cmpx_eq_u32_e32 0, v2
	s_cbranch_execz .LBB7_147
; %bb.146:
	s_bcnt1_i32_b32 s5, s5
	s_wait_alu 0xfffe
	v_mov_b32_e32 v2, s5
	global_wb scope:SCOPE_SYS
	s_wait_loadcnt 0x0
	global_atomic_add_u64 v[0:1], v[2:3], off offset:8 scope:SCOPE_SYS
.LBB7_147:
	s_or_b32 exec_lo, exec_lo, s4
	s_wait_loadcnt 0x0
	global_load_b64 v[2:3], v[0:1], off offset:16
	s_wait_loadcnt 0x0
	v_cmp_eq_u64_e32 vcc_lo, 0, v[2:3]
	s_cbranch_vccnz .LBB7_149
; %bb.148:
	global_load_b32 v0, v[0:1], off offset:24
	s_wait_loadcnt 0x0
	v_dual_mov_b32 v1, 0 :: v_dual_and_b32 v4, 0xffffff, v0
	global_wb scope:SCOPE_SYS
	s_wait_storecnt 0x0
	global_store_b64 v[2:3], v[0:1], off scope:SCOPE_SYS
	v_readfirstlane_b32 m0, v4
	s_sendmsg sendmsg(MSG_INTERRUPT)
.LBB7_149:
	s_wait_alu 0xfffe
	s_or_b32 exec_lo, exec_lo, s3
	s_branch .LBB7_153
.LBB7_150:                              ;   in Loop: Header=BB7_153 Depth=1
	s_wait_alu 0xfffe
	s_or_b32 exec_lo, exec_lo, s3
	s_delay_alu instid0(VALU_DEP_1) | instskip(NEXT) | instid1(VALU_DEP_1)
	v_readfirstlane_b32 s3, v0
	s_cmp_eq_u32 s3, 0
	s_cbranch_scc1 .LBB7_152
; %bb.151:                              ;   in Loop: Header=BB7_153 Depth=1
	s_sleep 1
	s_cbranch_execnz .LBB7_153
	s_branch .LBB7_155
.LBB7_152:
	s_branch .LBB7_155
.LBB7_153:                              ; =>This Inner Loop Header: Depth=1
	v_mov_b32_e32 v0, 1
	s_and_saveexec_b32 s3, s0
	s_cbranch_execz .LBB7_150
; %bb.154:                              ;   in Loop: Header=BB7_153 Depth=1
	global_load_b32 v0, v[14:15], off offset:20 scope:SCOPE_SYS
	s_wait_loadcnt 0x0
	global_inv scope:SCOPE_SYS
	v_and_b32_e32 v0, 1, v0
	s_branch .LBB7_150
.LBB7_155:
	s_and_saveexec_b32 s3, s0
	s_cbranch_execz .LBB7_159
; %bb.156:
	v_mov_b32_e32 v6, 0
	s_clause 0x2
	global_load_b64 v[2:3], v6, s[20:21] offset:40
	global_load_b64 v[7:8], v6, s[20:21] offset:24 scope:SCOPE_SYS
	global_load_b64 v[4:5], v6, s[20:21]
	s_wait_loadcnt 0x2
	v_add_co_u32 v9, vcc_lo, v2, 1
	s_wait_alu 0xfffd
	v_add_co_ci_u32_e32 v10, vcc_lo, 0, v3, vcc_lo
	s_delay_alu instid0(VALU_DEP_2) | instskip(SKIP_1) | instid1(VALU_DEP_2)
	v_add_co_u32 v0, vcc_lo, v9, s2
	s_wait_alu 0xfffd
	v_add_co_ci_u32_e32 v1, vcc_lo, s1, v10, vcc_lo
	s_delay_alu instid0(VALU_DEP_1) | instskip(SKIP_2) | instid1(VALU_DEP_1)
	v_cmp_eq_u64_e32 vcc_lo, 0, v[0:1]
	s_wait_alu 0xfffd
	v_dual_cndmask_b32 v1, v1, v10 :: v_dual_cndmask_b32 v0, v0, v9
	v_and_b32_e32 v3, v1, v3
	s_delay_alu instid0(VALU_DEP_2) | instskip(NEXT) | instid1(VALU_DEP_2)
	v_and_b32_e32 v2, v0, v2
	v_mul_lo_u32 v3, 24, v3
	s_delay_alu instid0(VALU_DEP_2) | instskip(SKIP_2) | instid1(VALU_DEP_3)
	v_mul_lo_u32 v9, 0, v2
	v_mul_hi_u32 v10, 24, v2
	v_mul_lo_u32 v2, 24, v2
	v_add_nc_u32_e32 v3, v3, v9
	s_wait_loadcnt 0x0
	s_delay_alu instid0(VALU_DEP_2) | instskip(SKIP_1) | instid1(VALU_DEP_3)
	v_add_co_u32 v4, vcc_lo, v4, v2
	v_mov_b32_e32 v2, v7
	v_add_nc_u32_e32 v3, v3, v10
	s_wait_alu 0xfffd
	s_delay_alu instid0(VALU_DEP_1)
	v_add_co_ci_u32_e32 v5, vcc_lo, v5, v3, vcc_lo
	v_mov_b32_e32 v3, v8
	global_store_b64 v[4:5], v[7:8], off
	global_wb scope:SCOPE_SYS
	s_wait_storecnt 0x0
	global_atomic_cmpswap_b64 v[2:3], v6, v[0:3], s[20:21] offset:24 th:TH_ATOMIC_RETURN scope:SCOPE_SYS
	s_wait_loadcnt 0x0
	v_cmp_ne_u64_e32 vcc_lo, v[2:3], v[7:8]
	s_and_b32 exec_lo, exec_lo, vcc_lo
	s_cbranch_execz .LBB7_159
; %bb.157:
	s_mov_b32 s0, 0
.LBB7_158:                              ; =>This Inner Loop Header: Depth=1
	s_sleep 1
	global_store_b64 v[4:5], v[2:3], off
	global_wb scope:SCOPE_SYS
	s_wait_storecnt 0x0
	global_atomic_cmpswap_b64 v[7:8], v6, v[0:3], s[20:21] offset:24 th:TH_ATOMIC_RETURN scope:SCOPE_SYS
	s_wait_loadcnt 0x0
	v_cmp_eq_u64_e32 vcc_lo, v[7:8], v[2:3]
	v_dual_mov_b32 v2, v7 :: v_dual_mov_b32 v3, v8
	s_wait_alu 0xfffe
	s_or_b32 s0, vcc_lo, s0
	s_wait_alu 0xfffe
	s_and_not1_b32 exec_lo, exec_lo, s0
	s_cbranch_execnz .LBB7_158
.LBB7_159:
	s_wait_alu 0xfffe
	s_or_b32 exec_lo, exec_lo, s3
	s_getpc_b64 s[24:25]
	s_wait_alu 0xfffe
	s_sext_i32_i16 s25, s25
	s_add_co_u32 s24, s24, .str.10@rel32@lo+12
	s_wait_alu 0xfffe
	s_add_co_ci_u32 s25, s25, .str.10@rel32@hi+24
	s_wait_alu 0xfffe
	v_dual_mov_b32 v0, s24 :: v_dual_mov_b32 v1, s25
	s_mov_b64 s[8:9], s[18:19]
	s_getpc_b64 s[26:27]
	s_wait_alu 0xfffe
	s_sext_i32_i16 s27, s27
	s_add_co_u32 s26, s26, _ZNK8migraphx13basic_printerIZNS_4coutEvEUlT_E_ElsEPKc@rel32@lo+12
	s_wait_alu 0xfffe
	s_add_co_ci_u32 s27, s27, _ZNK8migraphx13basic_printerIZNS_4coutEvEUlT_E_ElsEPKc@rel32@hi+24
	s_wait_alu 0xfffc
	s_swappc_b64 s[30:31], s[26:27]
	s_getpc_b64 s[0:1]
	s_wait_alu 0xfffe
	s_sext_i32_i16 s1, s1
	s_add_co_u32 s0, s0, .str.23@rel32@lo+12
	s_wait_alu 0xfffe
	s_add_co_ci_u32 s1, s1, .str.23@rel32@hi+24
	s_wait_alu 0xfffe
	v_dual_mov_b32 v0, s0 :: v_dual_mov_b32 v1, s1
	s_mov_b64 s[8:9], s[18:19]
	s_wait_alu 0xfffe
	s_swappc_b64 s[30:31], s[26:27]
	v_dual_mov_b32 v0, s24 :: v_dual_mov_b32 v1, s25
	s_mov_b64 s[8:9], s[18:19]
	s_wait_alu 0xfffe
	s_swappc_b64 s[30:31], s[26:27]
	flat_load_b32 v31, v[37:38] offset:8
	v_readfirstlane_b32 s0, v48
	v_mov_b32_e32 v6, 0
	v_mov_b32_e32 v7, 0
	s_wait_alu 0xf1ff
	s_delay_alu instid0(VALU_DEP_3) | instskip(NEXT) | instid1(VALU_DEP_1)
	v_cmp_eq_u32_e64 s0, s0, v48
	s_and_saveexec_b32 s1, s0
	s_cbranch_execz .LBB7_165
; %bb.160:
	v_mov_b32_e32 v0, 0
	s_mov_b32 s2, exec_lo
	global_load_b64 v[3:4], v0, s[20:21] offset:24 scope:SCOPE_SYS
	s_wait_loadcnt 0x0
	global_inv scope:SCOPE_SYS
	s_clause 0x1
	global_load_b64 v[1:2], v0, s[20:21] offset:40
	global_load_b64 v[5:6], v0, s[20:21]
	s_wait_loadcnt 0x1
	v_and_b32_e32 v1, v1, v3
	v_and_b32_e32 v2, v2, v4
	s_delay_alu instid0(VALU_DEP_2) | instskip(NEXT) | instid1(VALU_DEP_2)
	v_mul_lo_u32 v7, 0, v1
	v_mul_lo_u32 v2, 24, v2
	v_mul_hi_u32 v8, 24, v1
	v_mul_lo_u32 v1, 24, v1
	s_delay_alu instid0(VALU_DEP_3) | instskip(SKIP_1) | instid1(VALU_DEP_2)
	v_add_nc_u32_e32 v2, v2, v7
	s_wait_loadcnt 0x0
	v_add_co_u32 v1, vcc_lo, v5, v1
	s_delay_alu instid0(VALU_DEP_2) | instskip(SKIP_1) | instid1(VALU_DEP_1)
	v_add_nc_u32_e32 v2, v2, v8
	s_wait_alu 0xfffd
	v_add_co_ci_u32_e32 v2, vcc_lo, v6, v2, vcc_lo
	global_load_b64 v[1:2], v[1:2], off scope:SCOPE_SYS
	s_wait_loadcnt 0x0
	global_atomic_cmpswap_b64 v[6:7], v0, v[1:4], s[20:21] offset:24 th:TH_ATOMIC_RETURN scope:SCOPE_SYS
	s_wait_loadcnt 0x0
	global_inv scope:SCOPE_SYS
	v_cmpx_ne_u64_e64 v[6:7], v[3:4]
	s_cbranch_execz .LBB7_164
; %bb.161:
	s_mov_b32 s3, 0
.LBB7_162:                              ; =>This Inner Loop Header: Depth=1
	s_sleep 1
	s_clause 0x1
	global_load_b64 v[1:2], v0, s[20:21] offset:40
	global_load_b64 v[8:9], v0, s[20:21]
	v_dual_mov_b32 v3, v6 :: v_dual_mov_b32 v4, v7
	s_wait_loadcnt 0x1
	s_delay_alu instid0(VALU_DEP_1) | instskip(NEXT) | instid1(VALU_DEP_2)
	v_and_b32_e32 v1, v1, v3
	v_and_b32_e32 v2, v2, v4
	s_wait_loadcnt 0x0
	s_delay_alu instid0(VALU_DEP_2) | instskip(NEXT) | instid1(VALU_DEP_1)
	v_mad_co_u64_u32 v[5:6], null, v1, 24, v[8:9]
	v_mov_b32_e32 v1, v6
	s_delay_alu instid0(VALU_DEP_1) | instskip(NEXT) | instid1(VALU_DEP_1)
	v_mad_co_u64_u32 v[1:2], null, v2, 24, v[1:2]
	v_mov_b32_e32 v6, v1
	global_load_b64 v[1:2], v[5:6], off scope:SCOPE_SYS
	s_wait_loadcnt 0x0
	global_atomic_cmpswap_b64 v[6:7], v0, v[1:4], s[20:21] offset:24 th:TH_ATOMIC_RETURN scope:SCOPE_SYS
	s_wait_loadcnt 0x0
	global_inv scope:SCOPE_SYS
	v_cmp_eq_u64_e32 vcc_lo, v[6:7], v[3:4]
	s_wait_alu 0xfffe
	s_or_b32 s3, vcc_lo, s3
	s_wait_alu 0xfffe
	s_and_not1_b32 exec_lo, exec_lo, s3
	s_cbranch_execnz .LBB7_162
; %bb.163:
	s_or_b32 exec_lo, exec_lo, s3
.LBB7_164:
	s_wait_alu 0xfffe
	s_or_b32 exec_lo, exec_lo, s2
.LBB7_165:
	s_wait_alu 0xfffe
	s_or_b32 exec_lo, exec_lo, s1
	v_readfirstlane_b32 s2, v6
	v_mov_b32_e32 v5, 0
	v_readfirstlane_b32 s1, v7
	s_mov_b32 s3, exec_lo
	s_clause 0x1
	global_load_b64 v[8:9], v5, s[20:21] offset:40
	global_load_b128 v[0:3], v5, s[20:21]
	s_wait_loadcnt 0x1
	s_wait_alu 0xf1ff
	v_and_b32_e32 v10, s2, v8
	v_and_b32_e32 v11, s1, v9
	s_delay_alu instid0(VALU_DEP_2) | instskip(NEXT) | instid1(VALU_DEP_2)
	v_mul_lo_u32 v6, 0, v10
	v_mul_lo_u32 v4, 24, v11
	v_mul_hi_u32 v7, 24, v10
	v_mul_lo_u32 v8, 24, v10
	s_delay_alu instid0(VALU_DEP_3) | instskip(SKIP_1) | instid1(VALU_DEP_2)
	v_add_nc_u32_e32 v4, v4, v6
	s_wait_loadcnt 0x0
	v_add_co_u32 v8, vcc_lo, v0, v8
	s_delay_alu instid0(VALU_DEP_2) | instskip(SKIP_1) | instid1(VALU_DEP_1)
	v_add_nc_u32_e32 v4, v4, v7
	s_wait_alu 0xfffd
	v_add_co_ci_u32_e32 v9, vcc_lo, v1, v4, vcc_lo
	s_and_saveexec_b32 s4, s0
	s_cbranch_execz .LBB7_167
; %bb.166:
	s_wait_alu 0xfffe
	v_dual_mov_b32 v4, s3 :: v_dual_mov_b32 v7, 1
	v_mov_b32_e32 v6, 2
	global_store_b128 v[8:9], v[4:7], off offset:8
.LBB7_167:
	s_wait_alu 0xfffe
	s_or_b32 exec_lo, exec_lo, s4
	v_lshlrev_b64_e32 v[10:11], 12, v[10:11]
	s_mov_b32 s4, 0
	v_dual_mov_b32 v4, 33 :: v_dual_mov_b32 v7, v5
	s_wait_alu 0xfffe
	s_mov_b32 s7, s4
	s_mov_b32 s5, s4
	v_add_co_u32 v2, vcc_lo, v2, v10
	s_wait_alu 0xfffd
	v_add_co_ci_u32_e32 v3, vcc_lo, v3, v11, vcc_lo
	s_mov_b32 s6, s4
	s_delay_alu instid0(VALU_DEP_2)
	v_add_co_u32 v10, vcc_lo, v2, v39
	s_wait_alu 0xfffe
	v_dual_mov_b32 v6, v5 :: v_dual_mov_b32 v15, s7
	v_readfirstlane_b32 s8, v2
	v_readfirstlane_b32 s9, v3
	s_wait_alu 0xfffd
	v_add_co_ci_u32_e32 v11, vcc_lo, 0, v3, vcc_lo
	v_dual_mov_b32 v14, s6 :: v_dual_mov_b32 v13, s5
	v_mov_b32_e32 v12, s4
	s_clause 0x3
	global_store_b128 v39, v[4:7], s[8:9]
	global_store_b128 v39, v[12:15], s[8:9] offset:16
	global_store_b128 v39, v[12:15], s[8:9] offset:32
	;; [unrolled: 1-line block ×3, first 2 shown]
	s_and_saveexec_b32 s3, s0
	s_cbranch_execz .LBB7_175
; %bb.168:
	v_mov_b32_e32 v6, 0
	s_mov_b32 s4, exec_lo
	s_clause 0x1
	global_load_b64 v[14:15], v6, s[20:21] offset:32 scope:SCOPE_SYS
	global_load_b64 v[2:3], v6, s[20:21] offset:40
	v_dual_mov_b32 v13, s1 :: v_dual_mov_b32 v12, s2
	s_wait_loadcnt 0x0
	v_and_b32_e32 v3, s1, v3
	v_and_b32_e32 v2, s2, v2
	s_delay_alu instid0(VALU_DEP_2) | instskip(NEXT) | instid1(VALU_DEP_2)
	v_mul_lo_u32 v3, 24, v3
	v_mul_lo_u32 v4, 0, v2
	v_mul_hi_u32 v5, 24, v2
	v_mul_lo_u32 v2, 24, v2
	s_delay_alu instid0(VALU_DEP_3) | instskip(NEXT) | instid1(VALU_DEP_2)
	v_add_nc_u32_e32 v3, v3, v4
	v_add_co_u32 v4, vcc_lo, v0, v2
	s_delay_alu instid0(VALU_DEP_2) | instskip(SKIP_1) | instid1(VALU_DEP_1)
	v_add_nc_u32_e32 v3, v3, v5
	s_wait_alu 0xfffd
	v_add_co_ci_u32_e32 v5, vcc_lo, v1, v3, vcc_lo
	global_store_b64 v[4:5], v[14:15], off
	global_wb scope:SCOPE_SYS
	s_wait_storecnt 0x0
	global_atomic_cmpswap_b64 v[2:3], v6, v[12:15], s[20:21] offset:32 th:TH_ATOMIC_RETURN scope:SCOPE_SYS
	s_wait_loadcnt 0x0
	v_cmpx_ne_u64_e64 v[2:3], v[14:15]
	s_cbranch_execz .LBB7_171
; %bb.169:
	s_mov_b32 s5, 0
.LBB7_170:                              ; =>This Inner Loop Header: Depth=1
	v_dual_mov_b32 v0, s2 :: v_dual_mov_b32 v1, s1
	s_sleep 1
	global_store_b64 v[4:5], v[2:3], off
	global_wb scope:SCOPE_SYS
	s_wait_storecnt 0x0
	global_atomic_cmpswap_b64 v[0:1], v6, v[0:3], s[20:21] offset:32 th:TH_ATOMIC_RETURN scope:SCOPE_SYS
	s_wait_loadcnt 0x0
	v_cmp_eq_u64_e32 vcc_lo, v[0:1], v[2:3]
	v_dual_mov_b32 v3, v1 :: v_dual_mov_b32 v2, v0
	s_wait_alu 0xfffe
	s_or_b32 s5, vcc_lo, s5
	s_wait_alu 0xfffe
	s_and_not1_b32 exec_lo, exec_lo, s5
	s_cbranch_execnz .LBB7_170
.LBB7_171:
	s_wait_alu 0xfffe
	s_or_b32 exec_lo, exec_lo, s4
	v_mov_b32_e32 v3, 0
	s_mov_b32 s5, exec_lo
	s_mov_b32 s4, exec_lo
	s_wait_alu 0xfffe
	v_mbcnt_lo_u32_b32 v2, s5, 0
	global_load_b64 v[0:1], v3, s[20:21] offset:16
	v_cmpx_eq_u32_e32 0, v2
	s_cbranch_execz .LBB7_173
; %bb.172:
	s_bcnt1_i32_b32 s5, s5
	s_wait_alu 0xfffe
	v_mov_b32_e32 v2, s5
	global_wb scope:SCOPE_SYS
	s_wait_loadcnt 0x0
	global_atomic_add_u64 v[0:1], v[2:3], off offset:8 scope:SCOPE_SYS
.LBB7_173:
	s_or_b32 exec_lo, exec_lo, s4
	s_wait_loadcnt 0x0
	global_load_b64 v[2:3], v[0:1], off offset:16
	s_wait_loadcnt 0x0
	v_cmp_eq_u64_e32 vcc_lo, 0, v[2:3]
	s_cbranch_vccnz .LBB7_175
; %bb.174:
	global_load_b32 v0, v[0:1], off offset:24
	s_wait_loadcnt 0x0
	v_dual_mov_b32 v1, 0 :: v_dual_and_b32 v4, 0xffffff, v0
	global_wb scope:SCOPE_SYS
	s_wait_storecnt 0x0
	global_store_b64 v[2:3], v[0:1], off scope:SCOPE_SYS
	v_readfirstlane_b32 m0, v4
	s_sendmsg sendmsg(MSG_INTERRUPT)
.LBB7_175:
	s_wait_alu 0xfffe
	s_or_b32 exec_lo, exec_lo, s3
	s_branch .LBB7_179
.LBB7_176:                              ;   in Loop: Header=BB7_179 Depth=1
	s_wait_alu 0xfffe
	s_or_b32 exec_lo, exec_lo, s3
	s_delay_alu instid0(VALU_DEP_1) | instskip(NEXT) | instid1(VALU_DEP_1)
	v_readfirstlane_b32 s3, v0
	s_cmp_eq_u32 s3, 0
	s_cbranch_scc1 .LBB7_178
; %bb.177:                              ;   in Loop: Header=BB7_179 Depth=1
	s_sleep 1
	s_cbranch_execnz .LBB7_179
	s_branch .LBB7_181
.LBB7_178:
	s_branch .LBB7_181
.LBB7_179:                              ; =>This Inner Loop Header: Depth=1
	v_mov_b32_e32 v0, 1
	s_and_saveexec_b32 s3, s0
	s_cbranch_execz .LBB7_176
; %bb.180:                              ;   in Loop: Header=BB7_179 Depth=1
	global_load_b32 v0, v[8:9], off offset:20 scope:SCOPE_SYS
	s_wait_loadcnt 0x0
	global_inv scope:SCOPE_SYS
	v_and_b32_e32 v0, 1, v0
	s_branch .LBB7_176
.LBB7_181:
	global_load_b64 v[0:1], v[10:11], off
	s_and_saveexec_b32 s3, s0
	s_cbranch_execz .LBB7_185
; %bb.182:
	v_mov_b32_e32 v8, 0
	s_clause 0x2
	global_load_b64 v[4:5], v8, s[20:21] offset:40
	global_load_b64 v[9:10], v8, s[20:21] offset:24 scope:SCOPE_SYS
	global_load_b64 v[6:7], v8, s[20:21]
	s_wait_loadcnt 0x2
	v_add_co_u32 v11, vcc_lo, v4, 1
	s_wait_alu 0xfffd
	v_add_co_ci_u32_e32 v12, vcc_lo, 0, v5, vcc_lo
	s_delay_alu instid0(VALU_DEP_2) | instskip(SKIP_1) | instid1(VALU_DEP_2)
	v_add_co_u32 v2, vcc_lo, v11, s2
	s_wait_alu 0xfffd
	v_add_co_ci_u32_e32 v3, vcc_lo, s1, v12, vcc_lo
	s_delay_alu instid0(VALU_DEP_1) | instskip(SKIP_2) | instid1(VALU_DEP_1)
	v_cmp_eq_u64_e32 vcc_lo, 0, v[2:3]
	s_wait_alu 0xfffd
	v_dual_cndmask_b32 v3, v3, v12 :: v_dual_cndmask_b32 v2, v2, v11
	v_and_b32_e32 v5, v3, v5
	s_delay_alu instid0(VALU_DEP_2) | instskip(NEXT) | instid1(VALU_DEP_2)
	v_and_b32_e32 v4, v2, v4
	v_mul_lo_u32 v5, 24, v5
	s_delay_alu instid0(VALU_DEP_2) | instskip(SKIP_2) | instid1(VALU_DEP_3)
	v_mul_lo_u32 v11, 0, v4
	v_mul_hi_u32 v12, 24, v4
	v_mul_lo_u32 v4, 24, v4
	v_add_nc_u32_e32 v5, v5, v11
	s_wait_loadcnt 0x0
	s_delay_alu instid0(VALU_DEP_2) | instskip(SKIP_1) | instid1(VALU_DEP_3)
	v_add_co_u32 v6, vcc_lo, v6, v4
	v_mov_b32_e32 v4, v9
	v_add_nc_u32_e32 v5, v5, v12
	s_wait_alu 0xfffd
	s_delay_alu instid0(VALU_DEP_1)
	v_add_co_ci_u32_e32 v7, vcc_lo, v7, v5, vcc_lo
	v_mov_b32_e32 v5, v10
	global_store_b64 v[6:7], v[9:10], off
	global_wb scope:SCOPE_SYS
	s_wait_storecnt 0x0
	global_atomic_cmpswap_b64 v[4:5], v8, v[2:5], s[20:21] offset:24 th:TH_ATOMIC_RETURN scope:SCOPE_SYS
	s_wait_loadcnt 0x0
	v_cmp_ne_u64_e32 vcc_lo, v[4:5], v[9:10]
	s_and_b32 exec_lo, exec_lo, vcc_lo
	s_cbranch_execz .LBB7_185
; %bb.183:
	s_mov_b32 s0, 0
.LBB7_184:                              ; =>This Inner Loop Header: Depth=1
	s_sleep 1
	global_store_b64 v[6:7], v[4:5], off
	global_wb scope:SCOPE_SYS
	s_wait_storecnt 0x0
	global_atomic_cmpswap_b64 v[9:10], v8, v[2:5], s[20:21] offset:24 th:TH_ATOMIC_RETURN scope:SCOPE_SYS
	s_wait_loadcnt 0x0
	v_cmp_eq_u64_e32 vcc_lo, v[9:10], v[4:5]
	v_dual_mov_b32 v4, v9 :: v_dual_mov_b32 v5, v10
	s_wait_alu 0xfffe
	s_or_b32 s0, vcc_lo, s0
	s_wait_alu 0xfffe
	s_and_not1_b32 exec_lo, exec_lo, s0
	s_cbranch_execnz .LBB7_184
.LBB7_185:
	s_wait_alu 0xfffe
	s_or_b32 exec_lo, exec_lo, s3
	s_delay_alu instid0(SALU_CYCLE_1)
	s_and_b32 vcc_lo, exec_lo, s22
	s_wait_alu 0xfffe
	s_cbranch_vccz .LBB7_264
; %bb.186:
	s_wait_loadcnt 0x0
	v_dual_mov_b32 v3, v1 :: v_dual_and_b32 v32, 2, v0
	v_dual_mov_b32 v6, 0 :: v_dual_mov_b32 v7, 2
	v_and_b32_e32 v2, -3, v0
	v_mov_b32_e32 v8, 1
	s_mov_b64 s[4:5], 4
	s_getpc_b64 s[2:3]
	s_wait_alu 0xfffe
	s_sext_i32_i16 s3, s3
	s_add_co_u32 s2, s2, .str.9@rel32@lo+12
	s_wait_alu 0xfffe
	s_add_co_ci_u32 s3, s3, .str.9@rel32@hi+24
	s_branch .LBB7_188
.LBB7_187:                              ;   in Loop: Header=BB7_188 Depth=1
	s_wait_alu 0xfffe
	s_or_b32 exec_lo, exec_lo, s9
	s_sub_nc_u64 s[4:5], s[4:5], s[6:7]
	s_add_nc_u64 s[2:3], s[2:3], s[6:7]
	s_wait_alu 0xfffe
	s_cmp_lg_u64 s[4:5], 0
	s_cbranch_scc0 .LBB7_263
.LBB7_188:                              ; =>This Loop Header: Depth=1
                                        ;     Child Loop BB7_197 Depth 2
                                        ;     Child Loop BB7_193 Depth 2
	;; [unrolled: 1-line block ×11, first 2 shown]
	v_cmp_lt_u64_e64 s0, s[4:5], 56
	v_cmp_gt_u64_e64 s1, s[4:5], 7
                                        ; implicit-def: $vgpr11_vgpr12
                                        ; implicit-def: $sgpr12
	s_delay_alu instid0(VALU_DEP_2) | instskip(SKIP_2) | instid1(VALU_DEP_1)
	s_and_b32 s0, s0, exec_lo
	s_cselect_b32 s7, s5, 0
	s_cselect_b32 s6, s4, 56
	s_and_b32 vcc_lo, exec_lo, s1
	s_mov_b32 s0, -1
	s_wait_alu 0xfffe
	s_cbranch_vccz .LBB7_195
; %bb.189:                              ;   in Loop: Header=BB7_188 Depth=1
	s_and_not1_b32 vcc_lo, exec_lo, s0
	s_mov_b64 s[0:1], s[2:3]
	s_wait_alu 0xfffe
	s_cbranch_vccz .LBB7_199
.LBB7_190:                              ;   in Loop: Header=BB7_188 Depth=1
	s_wait_alu 0xfffe
	s_cmp_gt_u32 s12, 7
	s_cbranch_scc1 .LBB7_200
.LBB7_191:                              ;   in Loop: Header=BB7_188 Depth=1
	v_mov_b32_e32 v13, 0
	v_mov_b32_e32 v14, 0
	s_cmp_eq_u32 s12, 0
	s_cbranch_scc1 .LBB7_194
; %bb.192:                              ;   in Loop: Header=BB7_188 Depth=1
	s_mov_b64 s[8:9], 0
	s_mov_b64 s[10:11], 0
.LBB7_193:                              ;   Parent Loop BB7_188 Depth=1
                                        ; =>  This Inner Loop Header: Depth=2
	s_wait_alu 0xfffe
	s_add_nc_u64 s[14:15], s[0:1], s[10:11]
	s_add_nc_u64 s[10:11], s[10:11], 1
	global_load_u8 v4, v6, s[14:15]
	s_wait_alu 0xfffe
	s_cmp_lg_u32 s12, s10
	s_wait_loadcnt 0x0
	v_and_b32_e32 v5, 0xffff, v4
	s_delay_alu instid0(VALU_DEP_1) | instskip(SKIP_1) | instid1(VALU_DEP_1)
	v_lshlrev_b64_e32 v[4:5], s8, v[5:6]
	s_add_nc_u64 s[8:9], s[8:9], 8
	v_or_b32_e32 v13, v4, v13
	s_delay_alu instid0(VALU_DEP_2)
	v_or_b32_e32 v14, v5, v14
	s_cbranch_scc1 .LBB7_193
.LBB7_194:                              ;   in Loop: Header=BB7_188 Depth=1
	s_mov_b32 s13, 0
	s_cbranch_execz .LBB7_201
	s_branch .LBB7_202
.LBB7_195:                              ;   in Loop: Header=BB7_188 Depth=1
	v_mov_b32_e32 v11, 0
	v_mov_b32_e32 v12, 0
	s_cmp_eq_u64 s[4:5], 0
	s_mov_b64 s[0:1], 0
	s_cbranch_scc1 .LBB7_198
; %bb.196:                              ;   in Loop: Header=BB7_188 Depth=1
	v_mov_b32_e32 v11, 0
	v_mov_b32_e32 v12, 0
	s_mov_b64 s[8:9], 0
.LBB7_197:                              ;   Parent Loop BB7_188 Depth=1
                                        ; =>  This Inner Loop Header: Depth=2
	s_wait_alu 0xfffe
	s_add_nc_u64 s[10:11], s[2:3], s[8:9]
	s_add_nc_u64 s[8:9], s[8:9], 1
	global_load_u8 v4, v6, s[10:11]
	s_wait_alu 0xfffe
	s_cmp_lg_u32 s6, s8
	s_wait_loadcnt 0x0
	v_and_b32_e32 v5, 0xffff, v4
	s_delay_alu instid0(VALU_DEP_1) | instskip(SKIP_1) | instid1(VALU_DEP_1)
	v_lshlrev_b64_e32 v[4:5], s0, v[5:6]
	s_add_nc_u64 s[0:1], s[0:1], 8
	v_or_b32_e32 v11, v4, v11
	s_delay_alu instid0(VALU_DEP_2)
	v_or_b32_e32 v12, v5, v12
	s_cbranch_scc1 .LBB7_197
.LBB7_198:                              ;   in Loop: Header=BB7_188 Depth=1
	s_mov_b32 s12, 0
	s_mov_b64 s[0:1], s[2:3]
	s_cbranch_execnz .LBB7_190
.LBB7_199:                              ;   in Loop: Header=BB7_188 Depth=1
	global_load_b64 v[11:12], v6, s[2:3]
	s_add_co_i32 s12, s6, -8
	s_add_nc_u64 s[0:1], s[2:3], 8
	s_wait_alu 0xfffe
	s_cmp_gt_u32 s12, 7
	s_cbranch_scc0 .LBB7_191
.LBB7_200:                              ;   in Loop: Header=BB7_188 Depth=1
                                        ; implicit-def: $vgpr13_vgpr14
                                        ; implicit-def: $sgpr13
.LBB7_201:                              ;   in Loop: Header=BB7_188 Depth=1
	global_load_b64 v[13:14], v6, s[0:1]
	s_add_co_i32 s13, s12, -8
	s_add_nc_u64 s[0:1], s[0:1], 8
.LBB7_202:                              ;   in Loop: Header=BB7_188 Depth=1
	s_wait_alu 0xfffe
	s_cmp_gt_u32 s13, 7
	s_cbranch_scc1 .LBB7_207
; %bb.203:                              ;   in Loop: Header=BB7_188 Depth=1
	v_mov_b32_e32 v15, 0
	v_mov_b32_e32 v16, 0
	s_cmp_eq_u32 s13, 0
	s_cbranch_scc1 .LBB7_206
; %bb.204:                              ;   in Loop: Header=BB7_188 Depth=1
	s_mov_b64 s[8:9], 0
	s_mov_b64 s[10:11], 0
.LBB7_205:                              ;   Parent Loop BB7_188 Depth=1
                                        ; =>  This Inner Loop Header: Depth=2
	s_wait_alu 0xfffe
	s_add_nc_u64 s[14:15], s[0:1], s[10:11]
	s_add_nc_u64 s[10:11], s[10:11], 1
	global_load_u8 v4, v6, s[14:15]
	s_wait_alu 0xfffe
	s_cmp_lg_u32 s13, s10
	s_wait_loadcnt 0x0
	v_and_b32_e32 v5, 0xffff, v4
	s_delay_alu instid0(VALU_DEP_1) | instskip(SKIP_1) | instid1(VALU_DEP_1)
	v_lshlrev_b64_e32 v[4:5], s8, v[5:6]
	s_add_nc_u64 s[8:9], s[8:9], 8
	v_or_b32_e32 v15, v4, v15
	s_delay_alu instid0(VALU_DEP_2)
	v_or_b32_e32 v16, v5, v16
	s_cbranch_scc1 .LBB7_205
.LBB7_206:                              ;   in Loop: Header=BB7_188 Depth=1
	s_mov_b32 s12, 0
	s_cbranch_execz .LBB7_208
	s_branch .LBB7_209
.LBB7_207:                              ;   in Loop: Header=BB7_188 Depth=1
                                        ; implicit-def: $sgpr12
.LBB7_208:                              ;   in Loop: Header=BB7_188 Depth=1
	global_load_b64 v[15:16], v6, s[0:1]
	s_add_co_i32 s12, s13, -8
	s_add_nc_u64 s[0:1], s[0:1], 8
.LBB7_209:                              ;   in Loop: Header=BB7_188 Depth=1
	s_wait_alu 0xfffe
	s_cmp_gt_u32 s12, 7
	s_cbranch_scc1 .LBB7_214
; %bb.210:                              ;   in Loop: Header=BB7_188 Depth=1
	v_mov_b32_e32 v17, 0
	v_mov_b32_e32 v18, 0
	s_cmp_eq_u32 s12, 0
	s_cbranch_scc1 .LBB7_213
; %bb.211:                              ;   in Loop: Header=BB7_188 Depth=1
	s_mov_b64 s[8:9], 0
	s_mov_b64 s[10:11], 0
.LBB7_212:                              ;   Parent Loop BB7_188 Depth=1
                                        ; =>  This Inner Loop Header: Depth=2
	s_wait_alu 0xfffe
	s_add_nc_u64 s[14:15], s[0:1], s[10:11]
	s_add_nc_u64 s[10:11], s[10:11], 1
	global_load_u8 v4, v6, s[14:15]
	s_wait_alu 0xfffe
	s_cmp_lg_u32 s12, s10
	s_wait_loadcnt 0x0
	v_and_b32_e32 v5, 0xffff, v4
	s_delay_alu instid0(VALU_DEP_1) | instskip(SKIP_1) | instid1(VALU_DEP_1)
	v_lshlrev_b64_e32 v[4:5], s8, v[5:6]
	s_add_nc_u64 s[8:9], s[8:9], 8
	v_or_b32_e32 v17, v4, v17
	s_delay_alu instid0(VALU_DEP_2)
	v_or_b32_e32 v18, v5, v18
	s_cbranch_scc1 .LBB7_212
.LBB7_213:                              ;   in Loop: Header=BB7_188 Depth=1
	s_mov_b32 s13, 0
	s_cbranch_execz .LBB7_215
	s_branch .LBB7_216
.LBB7_214:                              ;   in Loop: Header=BB7_188 Depth=1
                                        ; implicit-def: $vgpr17_vgpr18
                                        ; implicit-def: $sgpr13
.LBB7_215:                              ;   in Loop: Header=BB7_188 Depth=1
	global_load_b64 v[17:18], v6, s[0:1]
	s_add_co_i32 s13, s12, -8
	s_add_nc_u64 s[0:1], s[0:1], 8
.LBB7_216:                              ;   in Loop: Header=BB7_188 Depth=1
	s_wait_alu 0xfffe
	s_cmp_gt_u32 s13, 7
	s_cbranch_scc1 .LBB7_221
; %bb.217:                              ;   in Loop: Header=BB7_188 Depth=1
	v_mov_b32_e32 v19, 0
	v_mov_b32_e32 v20, 0
	s_cmp_eq_u32 s13, 0
	s_cbranch_scc1 .LBB7_220
; %bb.218:                              ;   in Loop: Header=BB7_188 Depth=1
	s_mov_b64 s[8:9], 0
	s_mov_b64 s[10:11], 0
.LBB7_219:                              ;   Parent Loop BB7_188 Depth=1
                                        ; =>  This Inner Loop Header: Depth=2
	s_wait_alu 0xfffe
	s_add_nc_u64 s[14:15], s[0:1], s[10:11]
	s_add_nc_u64 s[10:11], s[10:11], 1
	global_load_u8 v4, v6, s[14:15]
	s_wait_alu 0xfffe
	s_cmp_lg_u32 s13, s10
	s_wait_loadcnt 0x0
	v_and_b32_e32 v5, 0xffff, v4
	s_delay_alu instid0(VALU_DEP_1) | instskip(SKIP_1) | instid1(VALU_DEP_1)
	v_lshlrev_b64_e32 v[4:5], s8, v[5:6]
	s_add_nc_u64 s[8:9], s[8:9], 8
	v_or_b32_e32 v19, v4, v19
	s_delay_alu instid0(VALU_DEP_2)
	v_or_b32_e32 v20, v5, v20
	s_cbranch_scc1 .LBB7_219
.LBB7_220:                              ;   in Loop: Header=BB7_188 Depth=1
	s_mov_b32 s12, 0
	s_cbranch_execz .LBB7_222
	s_branch .LBB7_223
.LBB7_221:                              ;   in Loop: Header=BB7_188 Depth=1
                                        ; implicit-def: $sgpr12
.LBB7_222:                              ;   in Loop: Header=BB7_188 Depth=1
	global_load_b64 v[19:20], v6, s[0:1]
	s_add_co_i32 s12, s13, -8
	s_add_nc_u64 s[0:1], s[0:1], 8
.LBB7_223:                              ;   in Loop: Header=BB7_188 Depth=1
	s_wait_alu 0xfffe
	s_cmp_gt_u32 s12, 7
	s_cbranch_scc1 .LBB7_228
; %bb.224:                              ;   in Loop: Header=BB7_188 Depth=1
	v_mov_b32_e32 v21, 0
	v_mov_b32_e32 v22, 0
	s_cmp_eq_u32 s12, 0
	s_cbranch_scc1 .LBB7_227
; %bb.225:                              ;   in Loop: Header=BB7_188 Depth=1
	s_mov_b64 s[8:9], 0
	s_mov_b64 s[10:11], 0
.LBB7_226:                              ;   Parent Loop BB7_188 Depth=1
                                        ; =>  This Inner Loop Header: Depth=2
	s_wait_alu 0xfffe
	s_add_nc_u64 s[14:15], s[0:1], s[10:11]
	s_add_nc_u64 s[10:11], s[10:11], 1
	global_load_u8 v4, v6, s[14:15]
	s_wait_alu 0xfffe
	s_cmp_lg_u32 s12, s10
	s_wait_loadcnt 0x0
	v_and_b32_e32 v5, 0xffff, v4
	s_delay_alu instid0(VALU_DEP_1) | instskip(SKIP_1) | instid1(VALU_DEP_1)
	v_lshlrev_b64_e32 v[4:5], s8, v[5:6]
	s_add_nc_u64 s[8:9], s[8:9], 8
	v_or_b32_e32 v21, v4, v21
	s_delay_alu instid0(VALU_DEP_2)
	v_or_b32_e32 v22, v5, v22
	s_cbranch_scc1 .LBB7_226
.LBB7_227:                              ;   in Loop: Header=BB7_188 Depth=1
	s_mov_b32 s13, 0
	s_cbranch_execz .LBB7_229
	s_branch .LBB7_230
.LBB7_228:                              ;   in Loop: Header=BB7_188 Depth=1
                                        ; implicit-def: $vgpr21_vgpr22
                                        ; implicit-def: $sgpr13
.LBB7_229:                              ;   in Loop: Header=BB7_188 Depth=1
	global_load_b64 v[21:22], v6, s[0:1]
	s_add_co_i32 s13, s12, -8
	s_add_nc_u64 s[0:1], s[0:1], 8
.LBB7_230:                              ;   in Loop: Header=BB7_188 Depth=1
	s_wait_alu 0xfffe
	s_cmp_gt_u32 s13, 7
	s_cbranch_scc1 .LBB7_235
; %bb.231:                              ;   in Loop: Header=BB7_188 Depth=1
	v_mov_b32_e32 v23, 0
	v_mov_b32_e32 v24, 0
	s_cmp_eq_u32 s13, 0
	s_cbranch_scc1 .LBB7_234
; %bb.232:                              ;   in Loop: Header=BB7_188 Depth=1
	s_mov_b64 s[8:9], 0
	s_mov_b64 s[10:11], s[0:1]
.LBB7_233:                              ;   Parent Loop BB7_188 Depth=1
                                        ; =>  This Inner Loop Header: Depth=2
	global_load_u8 v4, v6, s[10:11]
	s_add_co_i32 s13, s13, -1
	s_wait_alu 0xfffe
	s_add_nc_u64 s[10:11], s[10:11], 1
	s_cmp_lg_u32 s13, 0
	s_wait_loadcnt 0x0
	v_and_b32_e32 v5, 0xffff, v4
	s_delay_alu instid0(VALU_DEP_1) | instskip(SKIP_1) | instid1(VALU_DEP_1)
	v_lshlrev_b64_e32 v[4:5], s8, v[5:6]
	s_add_nc_u64 s[8:9], s[8:9], 8
	v_or_b32_e32 v23, v4, v23
	s_delay_alu instid0(VALU_DEP_2)
	v_or_b32_e32 v24, v5, v24
	s_cbranch_scc1 .LBB7_233
.LBB7_234:                              ;   in Loop: Header=BB7_188 Depth=1
	s_cbranch_execz .LBB7_236
	s_branch .LBB7_237
.LBB7_235:                              ;   in Loop: Header=BB7_188 Depth=1
.LBB7_236:                              ;   in Loop: Header=BB7_188 Depth=1
	global_load_b64 v[23:24], v6, s[0:1]
.LBB7_237:                              ;   in Loop: Header=BB7_188 Depth=1
	v_readfirstlane_b32 s0, v48
	s_wait_loadcnt 0x0
	v_mov_b32_e32 v4, 0
	v_mov_b32_e32 v5, 0
	s_wait_alu 0xf1ff
	v_cmp_eq_u32_e64 s0, s0, v48
	s_delay_alu instid0(VALU_DEP_1)
	s_and_saveexec_b32 s1, s0
	s_cbranch_execz .LBB7_243
; %bb.238:                              ;   in Loop: Header=BB7_188 Depth=1
	global_load_b64 v[27:28], v6, s[20:21] offset:24 scope:SCOPE_SYS
	s_wait_loadcnt 0x0
	global_inv scope:SCOPE_SYS
	s_clause 0x1
	global_load_b64 v[4:5], v6, s[20:21] offset:40
	global_load_b64 v[9:10], v6, s[20:21]
	s_mov_b32 s8, exec_lo
	s_wait_loadcnt 0x1
	v_and_b32_e32 v5, v5, v28
	v_and_b32_e32 v4, v4, v27
	s_delay_alu instid0(VALU_DEP_2) | instskip(NEXT) | instid1(VALU_DEP_2)
	v_mul_lo_u32 v5, 24, v5
	v_mul_lo_u32 v25, 0, v4
	v_mul_hi_u32 v26, 24, v4
	v_mul_lo_u32 v4, 24, v4
	s_delay_alu instid0(VALU_DEP_3) | instskip(SKIP_1) | instid1(VALU_DEP_2)
	v_add_nc_u32_e32 v5, v5, v25
	s_wait_loadcnt 0x0
	v_add_co_u32 v4, vcc_lo, v9, v4
	s_delay_alu instid0(VALU_DEP_2) | instskip(SKIP_1) | instid1(VALU_DEP_1)
	v_add_nc_u32_e32 v5, v5, v26
	s_wait_alu 0xfffd
	v_add_co_ci_u32_e32 v5, vcc_lo, v10, v5, vcc_lo
	global_load_b64 v[25:26], v[4:5], off scope:SCOPE_SYS
	s_wait_loadcnt 0x0
	global_atomic_cmpswap_b64 v[4:5], v6, v[25:28], s[20:21] offset:24 th:TH_ATOMIC_RETURN scope:SCOPE_SYS
	s_wait_loadcnt 0x0
	global_inv scope:SCOPE_SYS
	v_cmpx_ne_u64_e64 v[4:5], v[27:28]
	s_cbranch_execz .LBB7_242
; %bb.239:                              ;   in Loop: Header=BB7_188 Depth=1
	s_mov_b32 s9, 0
.LBB7_240:                              ;   Parent Loop BB7_188 Depth=1
                                        ; =>  This Inner Loop Header: Depth=2
	s_sleep 1
	s_clause 0x1
	global_load_b64 v[9:10], v6, s[20:21] offset:40
	global_load_b64 v[25:26], v6, s[20:21]
	v_dual_mov_b32 v28, v5 :: v_dual_mov_b32 v27, v4
	s_wait_loadcnt 0x1
	s_delay_alu instid0(VALU_DEP_1) | instskip(NEXT) | instid1(VALU_DEP_2)
	v_and_b32_e32 v4, v9, v27
	v_and_b32_e32 v9, v10, v28
	s_wait_loadcnt 0x0
	s_delay_alu instid0(VALU_DEP_2) | instskip(NEXT) | instid1(VALU_DEP_1)
	v_mad_co_u64_u32 v[4:5], null, v4, 24, v[25:26]
	v_mad_co_u64_u32 v[9:10], null, v9, 24, v[5:6]
	s_delay_alu instid0(VALU_DEP_1)
	v_mov_b32_e32 v5, v9
	global_load_b64 v[25:26], v[4:5], off scope:SCOPE_SYS
	s_wait_loadcnt 0x0
	global_atomic_cmpswap_b64 v[4:5], v6, v[25:28], s[20:21] offset:24 th:TH_ATOMIC_RETURN scope:SCOPE_SYS
	s_wait_loadcnt 0x0
	global_inv scope:SCOPE_SYS
	v_cmp_eq_u64_e32 vcc_lo, v[4:5], v[27:28]
	s_wait_alu 0xfffe
	s_or_b32 s9, vcc_lo, s9
	s_wait_alu 0xfffe
	s_and_not1_b32 exec_lo, exec_lo, s9
	s_cbranch_execnz .LBB7_240
; %bb.241:                              ;   in Loop: Header=BB7_188 Depth=1
	s_or_b32 exec_lo, exec_lo, s9
.LBB7_242:                              ;   in Loop: Header=BB7_188 Depth=1
	s_wait_alu 0xfffe
	s_or_b32 exec_lo, exec_lo, s8
.LBB7_243:                              ;   in Loop: Header=BB7_188 Depth=1
	s_wait_alu 0xfffe
	s_or_b32 exec_lo, exec_lo, s1
	s_clause 0x1
	global_load_b64 v[9:10], v6, s[20:21] offset:40
	global_load_b128 v[25:28], v6, s[20:21]
	v_readfirstlane_b32 s1, v5
	v_readfirstlane_b32 s8, v4
	s_mov_b32 s9, exec_lo
	s_wait_loadcnt 0x1
	s_wait_alu 0xf1ff
	v_and_b32_e32 v10, s1, v10
	v_and_b32_e32 v9, s8, v9
	s_delay_alu instid0(VALU_DEP_2) | instskip(NEXT) | instid1(VALU_DEP_2)
	v_mul_lo_u32 v4, 24, v10
	v_mul_lo_u32 v5, 0, v9
	v_mul_hi_u32 v29, 24, v9
	v_mul_lo_u32 v30, 24, v9
	s_delay_alu instid0(VALU_DEP_3) | instskip(NEXT) | instid1(VALU_DEP_1)
	v_add_nc_u32_e32 v4, v4, v5
	v_add_nc_u32_e32 v4, v4, v29
	s_wait_loadcnt 0x0
	s_delay_alu instid0(VALU_DEP_3) | instskip(SKIP_1) | instid1(VALU_DEP_2)
	v_add_co_u32 v29, vcc_lo, v25, v30
	s_wait_alu 0xfffd
	v_add_co_ci_u32_e32 v30, vcc_lo, v26, v4, vcc_lo
	s_and_saveexec_b32 s10, s0
	s_cbranch_execz .LBB7_245
; %bb.244:                              ;   in Loop: Header=BB7_188 Depth=1
	s_wait_alu 0xfffe
	v_mov_b32_e32 v5, s9
	global_store_b128 v[29:30], v[5:8], off offset:8
.LBB7_245:                              ;   in Loop: Header=BB7_188 Depth=1
	s_wait_alu 0xfffe
	s_or_b32 exec_lo, exec_lo, s10
	v_cmp_gt_u64_e64 vcc_lo, s[4:5], 56
	v_lshlrev_b64_e32 v[4:5], 12, v[9:10]
	v_or_b32_e32 v33, 0, v3
	v_or_b32_e32 v34, v2, v32
	s_lshl_b32 s9, s6, 2
	s_wait_alu 0xfffe
	s_add_co_i32 s9, s9, 28
	s_wait_alu 0xfffd
	v_cndmask_b32_e32 v10, v33, v3, vcc_lo
	v_cndmask_b32_e32 v2, v34, v2, vcc_lo
	v_add_co_u32 v27, vcc_lo, v27, v4
	s_wait_alu 0xfffd
	v_add_co_ci_u32_e32 v28, vcc_lo, v28, v5, vcc_lo
	s_wait_alu 0xfffe
	s_and_b32 s9, s9, 0x1e0
	v_readfirstlane_b32 s10, v27
	s_wait_alu 0xfffe
	v_and_or_b32 v9, 0xffffff1f, v2, s9
	v_readfirstlane_b32 s11, v28
	s_clause 0x3
	global_store_b128 v39, v[9:12], s[10:11]
	global_store_b128 v39, v[13:16], s[10:11] offset:16
	global_store_b128 v39, v[17:20], s[10:11] offset:32
	;; [unrolled: 1-line block ×3, first 2 shown]
	s_and_saveexec_b32 s9, s0
	s_cbranch_execz .LBB7_253
; %bb.246:                              ;   in Loop: Header=BB7_188 Depth=1
	s_clause 0x1
	global_load_b64 v[13:14], v6, s[20:21] offset:32 scope:SCOPE_SYS
	global_load_b64 v[2:3], v6, s[20:21] offset:40
	s_mov_b32 s10, exec_lo
	v_dual_mov_b32 v11, s8 :: v_dual_mov_b32 v12, s1
	s_wait_loadcnt 0x0
	v_and_b32_e32 v3, s1, v3
	v_and_b32_e32 v2, s8, v2
	s_delay_alu instid0(VALU_DEP_2) | instskip(NEXT) | instid1(VALU_DEP_2)
	v_mul_lo_u32 v3, 24, v3
	v_mul_lo_u32 v4, 0, v2
	v_mul_hi_u32 v5, 24, v2
	v_mul_lo_u32 v2, 24, v2
	s_delay_alu instid0(VALU_DEP_3) | instskip(NEXT) | instid1(VALU_DEP_2)
	v_add_nc_u32_e32 v3, v3, v4
	v_add_co_u32 v9, vcc_lo, v25, v2
	s_delay_alu instid0(VALU_DEP_2) | instskip(SKIP_1) | instid1(VALU_DEP_1)
	v_add_nc_u32_e32 v3, v3, v5
	s_wait_alu 0xfffd
	v_add_co_ci_u32_e32 v10, vcc_lo, v26, v3, vcc_lo
	global_store_b64 v[9:10], v[13:14], off
	global_wb scope:SCOPE_SYS
	s_wait_storecnt 0x0
	global_atomic_cmpswap_b64 v[4:5], v6, v[11:14], s[20:21] offset:32 th:TH_ATOMIC_RETURN scope:SCOPE_SYS
	s_wait_loadcnt 0x0
	v_cmpx_ne_u64_e64 v[4:5], v[13:14]
	s_cbranch_execz .LBB7_249
; %bb.247:                              ;   in Loop: Header=BB7_188 Depth=1
	s_mov_b32 s11, 0
.LBB7_248:                              ;   Parent Loop BB7_188 Depth=1
                                        ; =>  This Inner Loop Header: Depth=2
	v_dual_mov_b32 v2, s8 :: v_dual_mov_b32 v3, s1
	s_sleep 1
	global_store_b64 v[9:10], v[4:5], off
	global_wb scope:SCOPE_SYS
	s_wait_storecnt 0x0
	global_atomic_cmpswap_b64 v[2:3], v6, v[2:5], s[20:21] offset:32 th:TH_ATOMIC_RETURN scope:SCOPE_SYS
	s_wait_loadcnt 0x0
	v_cmp_eq_u64_e32 vcc_lo, v[2:3], v[4:5]
	v_dual_mov_b32 v5, v3 :: v_dual_mov_b32 v4, v2
	s_wait_alu 0xfffe
	s_or_b32 s11, vcc_lo, s11
	s_wait_alu 0xfffe
	s_and_not1_b32 exec_lo, exec_lo, s11
	s_cbranch_execnz .LBB7_248
.LBB7_249:                              ;   in Loop: Header=BB7_188 Depth=1
	s_wait_alu 0xfffe
	s_or_b32 exec_lo, exec_lo, s10
	global_load_b64 v[2:3], v6, s[20:21] offset:16
	s_mov_b32 s11, exec_lo
	s_mov_b32 s10, exec_lo
	s_wait_alu 0xfffe
	v_mbcnt_lo_u32_b32 v4, s11, 0
	s_delay_alu instid0(VALU_DEP_1)
	v_cmpx_eq_u32_e32 0, v4
	s_cbranch_execz .LBB7_251
; %bb.250:                              ;   in Loop: Header=BB7_188 Depth=1
	s_bcnt1_i32_b32 s11, s11
	s_wait_alu 0xfffe
	v_mov_b32_e32 v5, s11
	global_wb scope:SCOPE_SYS
	s_wait_loadcnt 0x0
	global_atomic_add_u64 v[2:3], v[5:6], off offset:8 scope:SCOPE_SYS
.LBB7_251:                              ;   in Loop: Header=BB7_188 Depth=1
	s_or_b32 exec_lo, exec_lo, s10
	s_wait_loadcnt 0x0
	global_load_b64 v[9:10], v[2:3], off offset:16
	s_wait_loadcnt 0x0
	v_cmp_eq_u64_e32 vcc_lo, 0, v[9:10]
	s_cbranch_vccnz .LBB7_253
; %bb.252:                              ;   in Loop: Header=BB7_188 Depth=1
	global_load_b32 v5, v[2:3], off offset:24
	s_wait_loadcnt 0x0
	v_and_b32_e32 v2, 0xffffff, v5
	global_wb scope:SCOPE_SYS
	s_wait_storecnt 0x0
	global_store_b64 v[9:10], v[5:6], off scope:SCOPE_SYS
	v_readfirstlane_b32 m0, v2
	s_sendmsg sendmsg(MSG_INTERRUPT)
.LBB7_253:                              ;   in Loop: Header=BB7_188 Depth=1
	s_wait_alu 0xfffe
	s_or_b32 exec_lo, exec_lo, s9
	v_add_co_u32 v2, vcc_lo, v27, v39
	s_wait_alu 0xfffd
	v_add_co_ci_u32_e32 v3, vcc_lo, 0, v28, vcc_lo
	s_branch .LBB7_257
.LBB7_254:                              ;   in Loop: Header=BB7_257 Depth=2
	s_wait_alu 0xfffe
	s_or_b32 exec_lo, exec_lo, s9
	s_delay_alu instid0(VALU_DEP_1) | instskip(NEXT) | instid1(VALU_DEP_1)
	v_readfirstlane_b32 s9, v4
	s_cmp_eq_u32 s9, 0
	s_cbranch_scc1 .LBB7_256
; %bb.255:                              ;   in Loop: Header=BB7_257 Depth=2
	s_sleep 1
	s_cbranch_execnz .LBB7_257
	s_branch .LBB7_259
.LBB7_256:                              ;   in Loop: Header=BB7_188 Depth=1
	s_branch .LBB7_259
.LBB7_257:                              ;   Parent Loop BB7_188 Depth=1
                                        ; =>  This Inner Loop Header: Depth=2
	v_mov_b32_e32 v4, 1
	s_and_saveexec_b32 s9, s0
	s_cbranch_execz .LBB7_254
; %bb.258:                              ;   in Loop: Header=BB7_257 Depth=2
	global_load_b32 v4, v[29:30], off offset:20 scope:SCOPE_SYS
	s_wait_loadcnt 0x0
	global_inv scope:SCOPE_SYS
	v_and_b32_e32 v4, 1, v4
	s_branch .LBB7_254
.LBB7_259:                              ;   in Loop: Header=BB7_188 Depth=1
	global_load_b128 v[2:5], v[2:3], off
	s_and_saveexec_b32 s9, s0
	s_cbranch_execz .LBB7_187
; %bb.260:                              ;   in Loop: Header=BB7_188 Depth=1
	s_clause 0x2
	global_load_b64 v[4:5], v6, s[20:21] offset:40
	global_load_b64 v[13:14], v6, s[20:21] offset:24 scope:SCOPE_SYS
	global_load_b64 v[11:12], v6, s[20:21]
	s_wait_loadcnt 0x2
	v_add_co_u32 v15, vcc_lo, v4, 1
	s_wait_alu 0xfffd
	v_add_co_ci_u32_e32 v16, vcc_lo, 0, v5, vcc_lo
	s_delay_alu instid0(VALU_DEP_2) | instskip(SKIP_1) | instid1(VALU_DEP_2)
	v_add_co_u32 v9, vcc_lo, v15, s8
	s_wait_alu 0xfffd
	v_add_co_ci_u32_e32 v10, vcc_lo, s1, v16, vcc_lo
	s_delay_alu instid0(VALU_DEP_1) | instskip(SKIP_2) | instid1(VALU_DEP_1)
	v_cmp_eq_u64_e32 vcc_lo, 0, v[9:10]
	s_wait_alu 0xfffd
	v_dual_cndmask_b32 v10, v10, v16 :: v_dual_cndmask_b32 v9, v9, v15
	v_and_b32_e32 v5, v10, v5
	s_delay_alu instid0(VALU_DEP_2) | instskip(NEXT) | instid1(VALU_DEP_2)
	v_and_b32_e32 v4, v9, v4
	v_mul_lo_u32 v5, 24, v5
	s_delay_alu instid0(VALU_DEP_2) | instskip(SKIP_2) | instid1(VALU_DEP_3)
	v_mul_lo_u32 v15, 0, v4
	v_mul_hi_u32 v16, 24, v4
	v_mul_lo_u32 v4, 24, v4
	v_add_nc_u32_e32 v5, v5, v15
	s_wait_loadcnt 0x0
	s_delay_alu instid0(VALU_DEP_2) | instskip(SKIP_1) | instid1(VALU_DEP_3)
	v_add_co_u32 v4, vcc_lo, v11, v4
	v_mov_b32_e32 v11, v13
	v_add_nc_u32_e32 v5, v5, v16
	s_wait_alu 0xfffd
	s_delay_alu instid0(VALU_DEP_1)
	v_add_co_ci_u32_e32 v5, vcc_lo, v12, v5, vcc_lo
	v_mov_b32_e32 v12, v14
	global_store_b64 v[4:5], v[13:14], off
	global_wb scope:SCOPE_SYS
	s_wait_storecnt 0x0
	global_atomic_cmpswap_b64 v[11:12], v6, v[9:12], s[20:21] offset:24 th:TH_ATOMIC_RETURN scope:SCOPE_SYS
	s_wait_loadcnt 0x0
	v_cmp_ne_u64_e32 vcc_lo, v[11:12], v[13:14]
	s_and_b32 exec_lo, exec_lo, vcc_lo
	s_cbranch_execz .LBB7_187
; %bb.261:                              ;   in Loop: Header=BB7_188 Depth=1
	s_mov_b32 s0, 0
.LBB7_262:                              ;   Parent Loop BB7_188 Depth=1
                                        ; =>  This Inner Loop Header: Depth=2
	s_sleep 1
	global_store_b64 v[4:5], v[11:12], off
	global_wb scope:SCOPE_SYS
	s_wait_storecnt 0x0
	global_atomic_cmpswap_b64 v[13:14], v6, v[9:12], s[20:21] offset:24 th:TH_ATOMIC_RETURN scope:SCOPE_SYS
	s_wait_loadcnt 0x0
	v_cmp_eq_u64_e32 vcc_lo, v[13:14], v[11:12]
	v_dual_mov_b32 v11, v13 :: v_dual_mov_b32 v12, v14
	s_wait_alu 0xfffe
	s_or_b32 s0, vcc_lo, s0
	s_wait_alu 0xfffe
	s_and_not1_b32 exec_lo, exec_lo, s0
	s_cbranch_execnz .LBB7_262
	s_branch .LBB7_187
.LBB7_263:
	s_branch .LBB7_292
.LBB7_264:
                                        ; implicit-def: $vgpr2_vgpr3
	s_cbranch_execz .LBB7_292
; %bb.265:
	v_readfirstlane_b32 s0, v48
	v_mov_b32_e32 v8, 0
	v_mov_b32_e32 v9, 0
	s_wait_alu 0xf1ff
	s_delay_alu instid0(VALU_DEP_3) | instskip(NEXT) | instid1(VALU_DEP_1)
	v_cmp_eq_u32_e64 s0, s0, v48
	s_and_saveexec_b32 s1, s0
	s_cbranch_execz .LBB7_271
; %bb.266:
	s_wait_loadcnt 0x0
	v_mov_b32_e32 v2, 0
	s_mov_b32 s2, exec_lo
	global_load_b64 v[5:6], v2, s[20:21] offset:24 scope:SCOPE_SYS
	s_wait_loadcnt 0x0
	global_inv scope:SCOPE_SYS
	s_clause 0x1
	global_load_b64 v[3:4], v2, s[20:21] offset:40
	global_load_b64 v[7:8], v2, s[20:21]
	s_wait_loadcnt 0x1
	v_and_b32_e32 v3, v3, v5
	v_and_b32_e32 v4, v4, v6
	s_delay_alu instid0(VALU_DEP_2) | instskip(NEXT) | instid1(VALU_DEP_2)
	v_mul_lo_u32 v9, 0, v3
	v_mul_lo_u32 v4, 24, v4
	v_mul_hi_u32 v10, 24, v3
	v_mul_lo_u32 v3, 24, v3
	s_delay_alu instid0(VALU_DEP_3) | instskip(SKIP_1) | instid1(VALU_DEP_2)
	v_add_nc_u32_e32 v4, v4, v9
	s_wait_loadcnt 0x0
	v_add_co_u32 v3, vcc_lo, v7, v3
	s_delay_alu instid0(VALU_DEP_2) | instskip(SKIP_1) | instid1(VALU_DEP_1)
	v_add_nc_u32_e32 v4, v4, v10
	s_wait_alu 0xfffd
	v_add_co_ci_u32_e32 v4, vcc_lo, v8, v4, vcc_lo
	global_load_b64 v[3:4], v[3:4], off scope:SCOPE_SYS
	s_wait_loadcnt 0x0
	global_atomic_cmpswap_b64 v[8:9], v2, v[3:6], s[20:21] offset:24 th:TH_ATOMIC_RETURN scope:SCOPE_SYS
	s_wait_loadcnt 0x0
	global_inv scope:SCOPE_SYS
	v_cmpx_ne_u64_e64 v[8:9], v[5:6]
	s_cbranch_execz .LBB7_270
; %bb.267:
	s_mov_b32 s3, 0
.LBB7_268:                              ; =>This Inner Loop Header: Depth=1
	s_sleep 1
	s_clause 0x1
	global_load_b64 v[3:4], v2, s[20:21] offset:40
	global_load_b64 v[10:11], v2, s[20:21]
	v_dual_mov_b32 v5, v8 :: v_dual_mov_b32 v6, v9
	s_wait_loadcnt 0x1
	s_delay_alu instid0(VALU_DEP_1) | instskip(NEXT) | instid1(VALU_DEP_2)
	v_and_b32_e32 v3, v3, v5
	v_and_b32_e32 v4, v4, v6
	s_wait_loadcnt 0x0
	s_delay_alu instid0(VALU_DEP_2) | instskip(NEXT) | instid1(VALU_DEP_1)
	v_mad_co_u64_u32 v[7:8], null, v3, 24, v[10:11]
	v_mov_b32_e32 v3, v8
	s_delay_alu instid0(VALU_DEP_1) | instskip(NEXT) | instid1(VALU_DEP_1)
	v_mad_co_u64_u32 v[3:4], null, v4, 24, v[3:4]
	v_mov_b32_e32 v8, v3
	global_load_b64 v[3:4], v[7:8], off scope:SCOPE_SYS
	s_wait_loadcnt 0x0
	global_atomic_cmpswap_b64 v[8:9], v2, v[3:6], s[20:21] offset:24 th:TH_ATOMIC_RETURN scope:SCOPE_SYS
	s_wait_loadcnt 0x0
	global_inv scope:SCOPE_SYS
	v_cmp_eq_u64_e32 vcc_lo, v[8:9], v[5:6]
	s_wait_alu 0xfffe
	s_or_b32 s3, vcc_lo, s3
	s_wait_alu 0xfffe
	s_and_not1_b32 exec_lo, exec_lo, s3
	s_cbranch_execnz .LBB7_268
; %bb.269:
	s_or_b32 exec_lo, exec_lo, s3
.LBB7_270:
	s_wait_alu 0xfffe
	s_or_b32 exec_lo, exec_lo, s2
.LBB7_271:
	s_wait_alu 0xfffe
	s_or_b32 exec_lo, exec_lo, s1
	v_readfirstlane_b32 s1, v9
	s_wait_loadcnt 0x0
	v_mov_b32_e32 v2, 0
	v_readfirstlane_b32 s2, v8
	s_mov_b32 s3, exec_lo
	s_clause 0x1
	global_load_b64 v[10:11], v2, s[20:21] offset:40
	global_load_b128 v[4:7], v2, s[20:21]
	s_wait_loadcnt 0x1
	s_wait_alu 0xf1ff
	v_and_b32_e32 v11, s1, v11
	v_and_b32_e32 v10, s2, v10
	s_delay_alu instid0(VALU_DEP_2) | instskip(NEXT) | instid1(VALU_DEP_2)
	v_mul_lo_u32 v3, 24, v11
	v_mul_lo_u32 v8, 0, v10
	v_mul_hi_u32 v9, 24, v10
	v_mul_lo_u32 v12, 24, v10
	s_delay_alu instid0(VALU_DEP_3) | instskip(SKIP_1) | instid1(VALU_DEP_2)
	v_add_nc_u32_e32 v3, v3, v8
	s_wait_loadcnt 0x0
	v_add_co_u32 v8, vcc_lo, v4, v12
	s_delay_alu instid0(VALU_DEP_2) | instskip(SKIP_1) | instid1(VALU_DEP_1)
	v_add_nc_u32_e32 v3, v3, v9
	s_wait_alu 0xfffd
	v_add_co_ci_u32_e32 v9, vcc_lo, v5, v3, vcc_lo
	s_and_saveexec_b32 s4, s0
	s_cbranch_execz .LBB7_273
; %bb.272:
	s_wait_alu 0xfffe
	v_dual_mov_b32 v12, s3 :: v_dual_mov_b32 v13, v2
	v_dual_mov_b32 v14, 2 :: v_dual_mov_b32 v15, 1
	global_store_b128 v[8:9], v[12:15], off offset:8
.LBB7_273:
	s_wait_alu 0xfffe
	s_or_b32 exec_lo, exec_lo, s4
	v_lshlrev_b64_e32 v[10:11], 12, v[10:11]
	s_mov_b32 s4, 0
	v_and_or_b32 v0, 0xffffff1f, v0, 32
	s_wait_alu 0xfffe
	s_mov_b32 s7, s4
	s_mov_b32 s5, s4
	;; [unrolled: 1-line block ×3, first 2 shown]
	v_add_co_u32 v6, vcc_lo, v6, v10
	s_wait_alu 0xfffd
	v_add_co_ci_u32_e32 v7, vcc_lo, v7, v11, vcc_lo
	v_mov_b32_e32 v3, v2
	s_delay_alu instid0(VALU_DEP_3) | instskip(SKIP_1) | instid1(VALU_DEP_4)
	v_readfirstlane_b32 s8, v6
	v_add_co_u32 v6, vcc_lo, v6, v39
	v_readfirstlane_b32 s9, v7
	s_wait_alu 0xfffe
	v_dual_mov_b32 v13, s7 :: v_dual_mov_b32 v10, s4
	s_wait_alu 0xfffd
	v_add_co_ci_u32_e32 v7, vcc_lo, 0, v7, vcc_lo
	v_dual_mov_b32 v12, s6 :: v_dual_mov_b32 v11, s5
	s_clause 0x3
	global_store_b128 v39, v[0:3], s[8:9]
	global_store_b128 v39, v[10:13], s[8:9] offset:16
	global_store_b128 v39, v[10:13], s[8:9] offset:32
	;; [unrolled: 1-line block ×3, first 2 shown]
	s_and_saveexec_b32 s3, s0
	s_cbranch_execz .LBB7_281
; %bb.274:
	v_mov_b32_e32 v10, 0
	s_mov_b32 s4, exec_lo
	s_clause 0x1
	global_load_b64 v[13:14], v10, s[20:21] offset:32 scope:SCOPE_SYS
	global_load_b64 v[0:1], v10, s[20:21] offset:40
	v_dual_mov_b32 v11, s2 :: v_dual_mov_b32 v12, s1
	s_wait_loadcnt 0x0
	v_and_b32_e32 v1, s1, v1
	v_and_b32_e32 v0, s2, v0
	s_delay_alu instid0(VALU_DEP_2) | instskip(NEXT) | instid1(VALU_DEP_2)
	v_mul_lo_u32 v1, 24, v1
	v_mul_lo_u32 v2, 0, v0
	v_mul_hi_u32 v3, 24, v0
	v_mul_lo_u32 v0, 24, v0
	s_delay_alu instid0(VALU_DEP_3) | instskip(NEXT) | instid1(VALU_DEP_2)
	v_add_nc_u32_e32 v1, v1, v2
	v_add_co_u32 v4, vcc_lo, v4, v0
	s_delay_alu instid0(VALU_DEP_2) | instskip(SKIP_1) | instid1(VALU_DEP_1)
	v_add_nc_u32_e32 v1, v1, v3
	s_wait_alu 0xfffd
	v_add_co_ci_u32_e32 v5, vcc_lo, v5, v1, vcc_lo
	global_store_b64 v[4:5], v[13:14], off
	global_wb scope:SCOPE_SYS
	s_wait_storecnt 0x0
	global_atomic_cmpswap_b64 v[2:3], v10, v[11:14], s[20:21] offset:32 th:TH_ATOMIC_RETURN scope:SCOPE_SYS
	s_wait_loadcnt 0x0
	v_cmpx_ne_u64_e64 v[2:3], v[13:14]
	s_cbranch_execz .LBB7_277
; %bb.275:
	s_mov_b32 s5, 0
.LBB7_276:                              ; =>This Inner Loop Header: Depth=1
	v_dual_mov_b32 v0, s2 :: v_dual_mov_b32 v1, s1
	s_sleep 1
	global_store_b64 v[4:5], v[2:3], off
	global_wb scope:SCOPE_SYS
	s_wait_storecnt 0x0
	global_atomic_cmpswap_b64 v[0:1], v10, v[0:3], s[20:21] offset:32 th:TH_ATOMIC_RETURN scope:SCOPE_SYS
	s_wait_loadcnt 0x0
	v_cmp_eq_u64_e32 vcc_lo, v[0:1], v[2:3]
	v_dual_mov_b32 v3, v1 :: v_dual_mov_b32 v2, v0
	s_wait_alu 0xfffe
	s_or_b32 s5, vcc_lo, s5
	s_wait_alu 0xfffe
	s_and_not1_b32 exec_lo, exec_lo, s5
	s_cbranch_execnz .LBB7_276
.LBB7_277:
	s_wait_alu 0xfffe
	s_or_b32 exec_lo, exec_lo, s4
	v_mov_b32_e32 v3, 0
	s_mov_b32 s5, exec_lo
	s_mov_b32 s4, exec_lo
	s_wait_alu 0xfffe
	v_mbcnt_lo_u32_b32 v2, s5, 0
	global_load_b64 v[0:1], v3, s[20:21] offset:16
	v_cmpx_eq_u32_e32 0, v2
	s_cbranch_execz .LBB7_279
; %bb.278:
	s_bcnt1_i32_b32 s5, s5
	s_wait_alu 0xfffe
	v_mov_b32_e32 v2, s5
	global_wb scope:SCOPE_SYS
	s_wait_loadcnt 0x0
	global_atomic_add_u64 v[0:1], v[2:3], off offset:8 scope:SCOPE_SYS
.LBB7_279:
	s_or_b32 exec_lo, exec_lo, s4
	s_wait_loadcnt 0x0
	global_load_b64 v[2:3], v[0:1], off offset:16
	s_wait_loadcnt 0x0
	v_cmp_eq_u64_e32 vcc_lo, 0, v[2:3]
	s_cbranch_vccnz .LBB7_281
; %bb.280:
	global_load_b32 v0, v[0:1], off offset:24
	s_wait_loadcnt 0x0
	v_dual_mov_b32 v1, 0 :: v_dual_and_b32 v4, 0xffffff, v0
	global_wb scope:SCOPE_SYS
	s_wait_storecnt 0x0
	global_store_b64 v[2:3], v[0:1], off scope:SCOPE_SYS
	v_readfirstlane_b32 m0, v4
	s_sendmsg sendmsg(MSG_INTERRUPT)
.LBB7_281:
	s_wait_alu 0xfffe
	s_or_b32 exec_lo, exec_lo, s3
	s_branch .LBB7_285
.LBB7_282:                              ;   in Loop: Header=BB7_285 Depth=1
	s_wait_alu 0xfffe
	s_or_b32 exec_lo, exec_lo, s3
	s_delay_alu instid0(VALU_DEP_1) | instskip(NEXT) | instid1(VALU_DEP_1)
	v_readfirstlane_b32 s3, v0
	s_cmp_eq_u32 s3, 0
	s_cbranch_scc1 .LBB7_284
; %bb.283:                              ;   in Loop: Header=BB7_285 Depth=1
	s_sleep 1
	s_cbranch_execnz .LBB7_285
	s_branch .LBB7_287
.LBB7_284:
	s_branch .LBB7_287
.LBB7_285:                              ; =>This Inner Loop Header: Depth=1
	v_mov_b32_e32 v0, 1
	s_and_saveexec_b32 s3, s0
	s_cbranch_execz .LBB7_282
; %bb.286:                              ;   in Loop: Header=BB7_285 Depth=1
	global_load_b32 v0, v[8:9], off offset:20 scope:SCOPE_SYS
	s_wait_loadcnt 0x0
	global_inv scope:SCOPE_SYS
	v_and_b32_e32 v0, 1, v0
	s_branch .LBB7_282
.LBB7_287:
	global_load_b64 v[2:3], v[6:7], off
	s_and_saveexec_b32 s3, s0
	s_cbranch_execz .LBB7_291
; %bb.288:
	v_mov_b32_e32 v8, 0
	s_clause 0x2
	global_load_b64 v[0:1], v8, s[20:21] offset:40
	global_load_b64 v[9:10], v8, s[20:21] offset:24 scope:SCOPE_SYS
	global_load_b64 v[6:7], v8, s[20:21]
	s_wait_loadcnt 0x2
	v_add_co_u32 v11, vcc_lo, v0, 1
	s_wait_alu 0xfffd
	v_add_co_ci_u32_e32 v12, vcc_lo, 0, v1, vcc_lo
	s_delay_alu instid0(VALU_DEP_2) | instskip(SKIP_1) | instid1(VALU_DEP_2)
	v_add_co_u32 v4, vcc_lo, v11, s2
	s_wait_alu 0xfffd
	v_add_co_ci_u32_e32 v5, vcc_lo, s1, v12, vcc_lo
	s_delay_alu instid0(VALU_DEP_1) | instskip(SKIP_2) | instid1(VALU_DEP_1)
	v_cmp_eq_u64_e32 vcc_lo, 0, v[4:5]
	s_wait_alu 0xfffd
	v_dual_cndmask_b32 v5, v5, v12 :: v_dual_cndmask_b32 v4, v4, v11
	v_and_b32_e32 v1, v5, v1
	s_delay_alu instid0(VALU_DEP_2) | instskip(NEXT) | instid1(VALU_DEP_2)
	v_and_b32_e32 v0, v4, v0
	v_mul_lo_u32 v1, 24, v1
	s_delay_alu instid0(VALU_DEP_2) | instskip(SKIP_2) | instid1(VALU_DEP_3)
	v_mul_lo_u32 v11, 0, v0
	v_mul_hi_u32 v12, 24, v0
	v_mul_lo_u32 v0, 24, v0
	v_add_nc_u32_e32 v1, v1, v11
	s_wait_loadcnt 0x0
	s_delay_alu instid0(VALU_DEP_2) | instskip(SKIP_1) | instid1(VALU_DEP_3)
	v_add_co_u32 v0, vcc_lo, v6, v0
	v_mov_b32_e32 v6, v9
	v_add_nc_u32_e32 v1, v1, v12
	s_wait_alu 0xfffd
	s_delay_alu instid0(VALU_DEP_1)
	v_add_co_ci_u32_e32 v1, vcc_lo, v7, v1, vcc_lo
	v_mov_b32_e32 v7, v10
	global_store_b64 v[0:1], v[9:10], off
	global_wb scope:SCOPE_SYS
	s_wait_storecnt 0x0
	global_atomic_cmpswap_b64 v[6:7], v8, v[4:7], s[20:21] offset:24 th:TH_ATOMIC_RETURN scope:SCOPE_SYS
	s_wait_loadcnt 0x0
	v_cmp_ne_u64_e32 vcc_lo, v[6:7], v[9:10]
	s_and_b32 exec_lo, exec_lo, vcc_lo
	s_cbranch_execz .LBB7_291
; %bb.289:
	s_mov_b32 s0, 0
.LBB7_290:                              ; =>This Inner Loop Header: Depth=1
	s_sleep 1
	global_store_b64 v[0:1], v[6:7], off
	global_wb scope:SCOPE_SYS
	s_wait_storecnt 0x0
	global_atomic_cmpswap_b64 v[9:10], v8, v[4:7], s[20:21] offset:24 th:TH_ATOMIC_RETURN scope:SCOPE_SYS
	s_wait_loadcnt 0x0
	v_cmp_eq_u64_e32 vcc_lo, v[9:10], v[6:7]
	v_dual_mov_b32 v6, v9 :: v_dual_mov_b32 v7, v10
	s_wait_alu 0xfffe
	s_or_b32 s0, vcc_lo, s0
	s_wait_alu 0xfffe
	s_and_not1_b32 exec_lo, exec_lo, s0
	s_cbranch_execnz .LBB7_290
.LBB7_291:
	s_wait_alu 0xfffe
	s_or_b32 exec_lo, exec_lo, s3
.LBB7_292:
	v_readfirstlane_b32 s0, v48
	s_wait_loadcnt 0x0
	v_mov_b32_e32 v0, 0
	v_mov_b32_e32 v1, 0
	s_wait_alu 0xf1ff
	v_cmp_eq_u32_e64 s0, s0, v48
	s_delay_alu instid0(VALU_DEP_1)
	s_and_saveexec_b32 s1, s0
	s_cbranch_execz .LBB7_298
; %bb.293:
	v_mov_b32_e32 v4, 0
	s_mov_b32 s2, exec_lo
	global_load_b64 v[7:8], v4, s[20:21] offset:24 scope:SCOPE_SYS
	s_wait_loadcnt 0x0
	global_inv scope:SCOPE_SYS
	s_clause 0x1
	global_load_b64 v[0:1], v4, s[20:21] offset:40
	global_load_b64 v[5:6], v4, s[20:21]
	s_wait_loadcnt 0x1
	v_and_b32_e32 v1, v1, v8
	v_and_b32_e32 v0, v0, v7
	s_delay_alu instid0(VALU_DEP_2) | instskip(NEXT) | instid1(VALU_DEP_2)
	v_mul_lo_u32 v1, 24, v1
	v_mul_lo_u32 v9, 0, v0
	v_mul_hi_u32 v10, 24, v0
	v_mul_lo_u32 v0, 24, v0
	s_delay_alu instid0(VALU_DEP_3) | instskip(SKIP_1) | instid1(VALU_DEP_2)
	v_add_nc_u32_e32 v1, v1, v9
	s_wait_loadcnt 0x0
	v_add_co_u32 v0, vcc_lo, v5, v0
	s_delay_alu instid0(VALU_DEP_2) | instskip(SKIP_1) | instid1(VALU_DEP_1)
	v_add_nc_u32_e32 v1, v1, v10
	s_wait_alu 0xfffd
	v_add_co_ci_u32_e32 v1, vcc_lo, v6, v1, vcc_lo
	global_load_b64 v[5:6], v[0:1], off scope:SCOPE_SYS
	s_wait_loadcnt 0x0
	global_atomic_cmpswap_b64 v[0:1], v4, v[5:8], s[20:21] offset:24 th:TH_ATOMIC_RETURN scope:SCOPE_SYS
	s_wait_loadcnt 0x0
	global_inv scope:SCOPE_SYS
	v_cmpx_ne_u64_e64 v[0:1], v[7:8]
	s_cbranch_execz .LBB7_297
; %bb.294:
	s_mov_b32 s3, 0
.LBB7_295:                              ; =>This Inner Loop Header: Depth=1
	s_sleep 1
	s_clause 0x1
	global_load_b64 v[5:6], v4, s[20:21] offset:40
	global_load_b64 v[9:10], v4, s[20:21]
	v_dual_mov_b32 v8, v1 :: v_dual_mov_b32 v7, v0
	s_wait_loadcnt 0x1
	s_delay_alu instid0(VALU_DEP_1) | instskip(NEXT) | instid1(VALU_DEP_2)
	v_and_b32_e32 v0, v5, v7
	v_and_b32_e32 v5, v6, v8
	s_wait_loadcnt 0x0
	s_delay_alu instid0(VALU_DEP_2) | instskip(NEXT) | instid1(VALU_DEP_1)
	v_mad_co_u64_u32 v[0:1], null, v0, 24, v[9:10]
	v_mad_co_u64_u32 v[5:6], null, v5, 24, v[1:2]
	s_delay_alu instid0(VALU_DEP_1)
	v_mov_b32_e32 v1, v5
	global_load_b64 v[5:6], v[0:1], off scope:SCOPE_SYS
	s_wait_loadcnt 0x0
	global_atomic_cmpswap_b64 v[0:1], v4, v[5:8], s[20:21] offset:24 th:TH_ATOMIC_RETURN scope:SCOPE_SYS
	s_wait_loadcnt 0x0
	global_inv scope:SCOPE_SYS
	v_cmp_eq_u64_e32 vcc_lo, v[0:1], v[7:8]
	s_wait_alu 0xfffe
	s_or_b32 s3, vcc_lo, s3
	s_wait_alu 0xfffe
	s_and_not1_b32 exec_lo, exec_lo, s3
	s_cbranch_execnz .LBB7_295
; %bb.296:
	s_or_b32 exec_lo, exec_lo, s3
.LBB7_297:
	s_wait_alu 0xfffe
	s_or_b32 exec_lo, exec_lo, s2
.LBB7_298:
	s_wait_alu 0xfffe
	s_or_b32 exec_lo, exec_lo, s1
	v_readfirstlane_b32 s2, v0
	v_mov_b32_e32 v11, 0
	v_readfirstlane_b32 s1, v1
	s_mov_b32 s3, exec_lo
	s_clause 0x1
	global_load_b64 v[4:5], v11, s[20:21] offset:40
	global_load_b128 v[6:9], v11, s[20:21]
	s_wait_loadcnt 0x1
	s_wait_alu 0xf1ff
	v_and_b32_e32 v0, s2, v4
	v_and_b32_e32 v1, s1, v5
	s_delay_alu instid0(VALU_DEP_2) | instskip(NEXT) | instid1(VALU_DEP_2)
	v_mul_lo_u32 v5, 0, v0
	v_mul_lo_u32 v4, 24, v1
	v_mul_hi_u32 v10, 24, v0
	v_mul_lo_u32 v12, 24, v0
	s_delay_alu instid0(VALU_DEP_3) | instskip(SKIP_1) | instid1(VALU_DEP_2)
	v_add_nc_u32_e32 v4, v4, v5
	s_wait_loadcnt 0x0
	v_add_co_u32 v14, vcc_lo, v6, v12
	s_delay_alu instid0(VALU_DEP_2) | instskip(SKIP_1) | instid1(VALU_DEP_1)
	v_add_nc_u32_e32 v4, v4, v10
	s_wait_alu 0xfffd
	v_add_co_ci_u32_e32 v15, vcc_lo, v7, v4, vcc_lo
	s_and_saveexec_b32 s4, s0
	s_cbranch_execz .LBB7_300
; %bb.299:
	s_wait_alu 0xfffe
	v_dual_mov_b32 v10, s3 :: v_dual_mov_b32 v13, 1
	v_mov_b32_e32 v12, 2
	global_store_b128 v[14:15], v[10:13], off offset:8
.LBB7_300:
	s_wait_alu 0xfffe
	s_or_b32 exec_lo, exec_lo, s4
	v_lshlrev_b64_e32 v[0:1], 12, v[0:1]
	s_mov_b32 s4, 0
	v_and_or_b32 v2, 0xffffff1d, v2, 34
	s_wait_alu 0xfffe
	s_mov_b32 s7, s4
	s_mov_b32 s5, s4
	;; [unrolled: 1-line block ×3, first 2 shown]
	v_add_co_u32 v0, vcc_lo, v8, v0
	s_wait_alu 0xfffd
	v_add_co_ci_u32_e32 v1, vcc_lo, v9, v1, vcc_lo
	s_wait_dscnt 0x0
	v_ashrrev_i32_e32 v5, 31, v31
	s_wait_alu 0xfffe
	v_dual_mov_b32 v4, v31 :: v_dual_mov_b32 v11, s7
	v_readfirstlane_b32 s8, v0
	v_readfirstlane_b32 s9, v1
	v_dual_mov_b32 v10, s6 :: v_dual_mov_b32 v9, s5
	v_mov_b32_e32 v8, s4
	s_clause 0x3
	global_store_b128 v39, v[2:5], s[8:9]
	global_store_b128 v39, v[8:11], s[8:9] offset:16
	global_store_b128 v39, v[8:11], s[8:9] offset:32
	;; [unrolled: 1-line block ×3, first 2 shown]
	s_and_saveexec_b32 s3, s0
	s_cbranch_execz .LBB7_308
; %bb.301:
	v_mov_b32_e32 v8, 0
	s_mov_b32 s4, exec_lo
	s_clause 0x1
	global_load_b64 v[11:12], v8, s[20:21] offset:32 scope:SCOPE_SYS
	global_load_b64 v[0:1], v8, s[20:21] offset:40
	v_dual_mov_b32 v9, s2 :: v_dual_mov_b32 v10, s1
	s_wait_loadcnt 0x0
	v_and_b32_e32 v1, s1, v1
	v_and_b32_e32 v0, s2, v0
	s_delay_alu instid0(VALU_DEP_2) | instskip(NEXT) | instid1(VALU_DEP_2)
	v_mul_lo_u32 v1, 24, v1
	v_mul_lo_u32 v2, 0, v0
	v_mul_hi_u32 v3, 24, v0
	v_mul_lo_u32 v0, 24, v0
	s_delay_alu instid0(VALU_DEP_3) | instskip(NEXT) | instid1(VALU_DEP_2)
	v_add_nc_u32_e32 v1, v1, v2
	v_add_co_u32 v4, vcc_lo, v6, v0
	s_delay_alu instid0(VALU_DEP_2) | instskip(SKIP_1) | instid1(VALU_DEP_1)
	v_add_nc_u32_e32 v1, v1, v3
	s_wait_alu 0xfffd
	v_add_co_ci_u32_e32 v5, vcc_lo, v7, v1, vcc_lo
	global_store_b64 v[4:5], v[11:12], off
	global_wb scope:SCOPE_SYS
	s_wait_storecnt 0x0
	global_atomic_cmpswap_b64 v[2:3], v8, v[9:12], s[20:21] offset:32 th:TH_ATOMIC_RETURN scope:SCOPE_SYS
	s_wait_loadcnt 0x0
	v_cmpx_ne_u64_e64 v[2:3], v[11:12]
	s_cbranch_execz .LBB7_304
; %bb.302:
	s_mov_b32 s5, 0
.LBB7_303:                              ; =>This Inner Loop Header: Depth=1
	v_dual_mov_b32 v0, s2 :: v_dual_mov_b32 v1, s1
	s_sleep 1
	global_store_b64 v[4:5], v[2:3], off
	global_wb scope:SCOPE_SYS
	s_wait_storecnt 0x0
	global_atomic_cmpswap_b64 v[0:1], v8, v[0:3], s[20:21] offset:32 th:TH_ATOMIC_RETURN scope:SCOPE_SYS
	s_wait_loadcnt 0x0
	v_cmp_eq_u64_e32 vcc_lo, v[0:1], v[2:3]
	v_dual_mov_b32 v3, v1 :: v_dual_mov_b32 v2, v0
	s_wait_alu 0xfffe
	s_or_b32 s5, vcc_lo, s5
	s_wait_alu 0xfffe
	s_and_not1_b32 exec_lo, exec_lo, s5
	s_cbranch_execnz .LBB7_303
.LBB7_304:
	s_wait_alu 0xfffe
	s_or_b32 exec_lo, exec_lo, s4
	v_mov_b32_e32 v3, 0
	s_mov_b32 s5, exec_lo
	s_mov_b32 s4, exec_lo
	s_wait_alu 0xfffe
	v_mbcnt_lo_u32_b32 v2, s5, 0
	global_load_b64 v[0:1], v3, s[20:21] offset:16
	v_cmpx_eq_u32_e32 0, v2
	s_cbranch_execz .LBB7_306
; %bb.305:
	s_bcnt1_i32_b32 s5, s5
	s_wait_alu 0xfffe
	v_mov_b32_e32 v2, s5
	global_wb scope:SCOPE_SYS
	s_wait_loadcnt 0x0
	global_atomic_add_u64 v[0:1], v[2:3], off offset:8 scope:SCOPE_SYS
.LBB7_306:
	s_or_b32 exec_lo, exec_lo, s4
	s_wait_loadcnt 0x0
	global_load_b64 v[2:3], v[0:1], off offset:16
	s_wait_loadcnt 0x0
	v_cmp_eq_u64_e32 vcc_lo, 0, v[2:3]
	s_cbranch_vccnz .LBB7_308
; %bb.307:
	global_load_b32 v0, v[0:1], off offset:24
	s_wait_loadcnt 0x0
	v_dual_mov_b32 v1, 0 :: v_dual_and_b32 v4, 0xffffff, v0
	global_wb scope:SCOPE_SYS
	s_wait_storecnt 0x0
	global_store_b64 v[2:3], v[0:1], off scope:SCOPE_SYS
	v_readfirstlane_b32 m0, v4
	s_sendmsg sendmsg(MSG_INTERRUPT)
.LBB7_308:
	s_wait_alu 0xfffe
	s_or_b32 exec_lo, exec_lo, s3
	s_branch .LBB7_312
.LBB7_309:                              ;   in Loop: Header=BB7_312 Depth=1
	s_wait_alu 0xfffe
	s_or_b32 exec_lo, exec_lo, s3
	s_delay_alu instid0(VALU_DEP_1) | instskip(NEXT) | instid1(VALU_DEP_1)
	v_readfirstlane_b32 s3, v0
	s_cmp_eq_u32 s3, 0
	s_cbranch_scc1 .LBB7_311
; %bb.310:                              ;   in Loop: Header=BB7_312 Depth=1
	s_sleep 1
	s_cbranch_execnz .LBB7_312
	s_branch .LBB7_314
.LBB7_311:
	s_branch .LBB7_314
.LBB7_312:                              ; =>This Inner Loop Header: Depth=1
	v_mov_b32_e32 v0, 1
	s_and_saveexec_b32 s3, s0
	s_cbranch_execz .LBB7_309
; %bb.313:                              ;   in Loop: Header=BB7_312 Depth=1
	global_load_b32 v0, v[14:15], off offset:20 scope:SCOPE_SYS
	s_wait_loadcnt 0x0
	global_inv scope:SCOPE_SYS
	v_and_b32_e32 v0, 1, v0
	s_branch .LBB7_309
.LBB7_314:
	s_and_saveexec_b32 s3, s0
	s_cbranch_execz .LBB7_318
; %bb.315:
	v_mov_b32_e32 v6, 0
	s_clause 0x2
	global_load_b64 v[2:3], v6, s[20:21] offset:40
	global_load_b64 v[7:8], v6, s[20:21] offset:24 scope:SCOPE_SYS
	global_load_b64 v[4:5], v6, s[20:21]
	s_wait_loadcnt 0x2
	v_add_co_u32 v9, vcc_lo, v2, 1
	s_wait_alu 0xfffd
	v_add_co_ci_u32_e32 v10, vcc_lo, 0, v3, vcc_lo
	s_delay_alu instid0(VALU_DEP_2) | instskip(SKIP_1) | instid1(VALU_DEP_2)
	v_add_co_u32 v0, vcc_lo, v9, s2
	s_wait_alu 0xfffd
	v_add_co_ci_u32_e32 v1, vcc_lo, s1, v10, vcc_lo
	s_delay_alu instid0(VALU_DEP_1) | instskip(SKIP_2) | instid1(VALU_DEP_1)
	v_cmp_eq_u64_e32 vcc_lo, 0, v[0:1]
	s_wait_alu 0xfffd
	v_dual_cndmask_b32 v1, v1, v10 :: v_dual_cndmask_b32 v0, v0, v9
	v_and_b32_e32 v3, v1, v3
	s_delay_alu instid0(VALU_DEP_2) | instskip(NEXT) | instid1(VALU_DEP_2)
	v_and_b32_e32 v2, v0, v2
	v_mul_lo_u32 v3, 24, v3
	s_delay_alu instid0(VALU_DEP_2) | instskip(SKIP_2) | instid1(VALU_DEP_3)
	v_mul_lo_u32 v9, 0, v2
	v_mul_hi_u32 v10, 24, v2
	v_mul_lo_u32 v2, 24, v2
	v_add_nc_u32_e32 v3, v3, v9
	s_wait_loadcnt 0x0
	s_delay_alu instid0(VALU_DEP_2) | instskip(SKIP_1) | instid1(VALU_DEP_3)
	v_add_co_u32 v4, vcc_lo, v4, v2
	v_mov_b32_e32 v2, v7
	v_add_nc_u32_e32 v3, v3, v10
	s_wait_alu 0xfffd
	s_delay_alu instid0(VALU_DEP_1)
	v_add_co_ci_u32_e32 v5, vcc_lo, v5, v3, vcc_lo
	v_mov_b32_e32 v3, v8
	global_store_b64 v[4:5], v[7:8], off
	global_wb scope:SCOPE_SYS
	s_wait_storecnt 0x0
	global_atomic_cmpswap_b64 v[2:3], v6, v[0:3], s[20:21] offset:24 th:TH_ATOMIC_RETURN scope:SCOPE_SYS
	s_wait_loadcnt 0x0
	v_cmp_ne_u64_e32 vcc_lo, v[2:3], v[7:8]
	s_and_b32 exec_lo, exec_lo, vcc_lo
	s_cbranch_execz .LBB7_318
; %bb.316:
	s_mov_b32 s0, 0
.LBB7_317:                              ; =>This Inner Loop Header: Depth=1
	s_sleep 1
	global_store_b64 v[4:5], v[2:3], off
	global_wb scope:SCOPE_SYS
	s_wait_storecnt 0x0
	global_atomic_cmpswap_b64 v[7:8], v6, v[0:3], s[20:21] offset:24 th:TH_ATOMIC_RETURN scope:SCOPE_SYS
	s_wait_loadcnt 0x0
	v_cmp_eq_u64_e32 vcc_lo, v[7:8], v[2:3]
	v_dual_mov_b32 v2, v7 :: v_dual_mov_b32 v3, v8
	s_wait_alu 0xfffe
	s_or_b32 s0, vcc_lo, s0
	s_wait_alu 0xfffe
	s_and_not1_b32 exec_lo, exec_lo, s0
	s_cbranch_execnz .LBB7_317
.LBB7_318:
	s_wait_alu 0xfffe
	s_or_b32 exec_lo, exec_lo, s3
	v_readlane_b32 s30, v40, 0
	v_readlane_b32 s31, v40, 1
	s_or_saveexec_b32 s0, -1
	scratch_load_b32 v40, off, s33          ; 4-byte Folded Reload
	s_wait_alu 0xfffe
	s_mov_b32 exec_lo, s0
	s_add_co_i32 s32, s32, -16
	s_mov_b32 s33, s23
	s_wait_loadcnt 0x0
	s_wait_kmcnt 0x0
	s_wait_alu 0xfffc
	s_setpc_b64 s[30:31]
.Lfunc_end7:
	.size	_ZN8migraphx4testlsIKNS_13basic_printerIZNS_4coutEvEUlT_E_EEEERS3_S7_RKNS0_10expressionINS0_14lhs_expressionIRiNS0_3nopEEEiNS0_5equalEEE, .Lfunc_end7-_ZN8migraphx4testlsIKNS_13basic_printerIZNS_4coutEvEUlT_E_EEEERS3_S7_RKNS0_10expressionINS0_14lhs_expressionIRiNS0_3nopEEEiNS0_5equalEEE
                                        ; -- End function
	.section	.AMDGPU.csdata,"",@progbits
; Function info:
; codeLenInByte = 16132
; NumSgprs: 36
; NumVgprs: 49
; ScratchSize: 16
; MemoryBound: 0
	.text
	.p2align	2                               ; -- Begin function _ZN8migraphx4test12test_manager6failedINS0_10expressionINS0_14lhs_expressionIRiNS0_3nopEEEiNS0_5equalEEEPFvvEEEvRKT_PKcSG_SG_iT0_
	.type	_ZN8migraphx4test12test_manager6failedINS0_10expressionINS0_14lhs_expressionIRiNS0_3nopEEEiNS0_5equalEEEPFvvEEEvRKT_PKcSG_SG_iT0_,@function
_ZN8migraphx4test12test_manager6failedINS0_10expressionINS0_14lhs_expressionIRiNS0_3nopEEEiNS0_5equalEEEPFvvEEEvRKT_PKcSG_SG_iT0_: ; @_ZN8migraphx4test12test_manager6failedINS0_10expressionINS0_14lhs_expressionIRiNS0_3nopEEEiNS0_5equalEEEPFvvEEEvRKT_PKcSG_SG_iT0_
; %bb.0:
	s_wait_loadcnt_dscnt 0x0
	s_wait_expcnt 0x0
	s_wait_samplecnt 0x0
	s_wait_bvhcnt 0x0
	s_wait_kmcnt 0x0
	s_mov_b32 s0, s33
	s_mov_b32 s33, s32
	s_or_saveexec_b32 s1, -1
	scratch_store_b32 off, v41, s33         ; 4-byte Folded Spill
	s_wait_alu 0xfffe
	s_mov_b32 exec_lo, s1
	v_writelane_b32 v41, s0, 2
	v_writelane_b32 v41, s30, 0
	s_add_co_i32 s32, s32, 16
	v_writelane_b32 v41, s31, 1
	v_dual_mov_b32 v38, v3 :: v_dual_mov_b32 v37, v2
	v_dual_mov_b32 v50, v1 :: v_dual_mov_b32 v49, v0
	s_mov_b32 s36, exec_lo
	flat_load_b96 v[0:2], v[37:38]
	s_wait_loadcnt_dscnt 0x0
	flat_load_b32 v0, v[0:1]
	s_wait_loadcnt_dscnt 0x0
	v_cmpx_ne_u32_e64 v0, v2
	s_cbranch_execz .LBB8_1690
; %bb.1:
	v_and_b32_e32 v0, 0x3ff, v31
	s_mov_b32 s37, exec_lo
	s_delay_alu instid0(VALU_DEP_1)
	v_cmpx_eq_u32_e32 0, v0
	s_cbranch_execz .LBB8_1689
; %bb.2:
	s_load_b64 s[34:35], s[8:9], 0x50
	v_mbcnt_lo_u32_b32 v52, -1, 0
	v_mov_b32_e32 v11, 0
	v_mov_b32_e32 v12, 0
	s_delay_alu instid0(VALU_DEP_3) | instskip(SKIP_1) | instid1(VALU_DEP_1)
	v_readfirstlane_b32 s0, v52
	s_wait_alu 0xf1ff
	v_cmp_eq_u32_e64 s0, s0, v52
	s_delay_alu instid0(VALU_DEP_1)
	s_and_saveexec_b32 s1, s0
	s_cbranch_execz .LBB8_8
; %bb.3:
	v_mov_b32_e32 v0, 0
	s_mov_b32 s2, exec_lo
	s_wait_kmcnt 0x0
	global_load_b64 v[13:14], v0, s[34:35] offset:24 scope:SCOPE_SYS
	s_wait_loadcnt 0x0
	global_inv scope:SCOPE_SYS
	s_clause 0x1
	global_load_b64 v[1:2], v0, s[34:35] offset:40
	global_load_b64 v[9:10], v0, s[34:35]
	s_wait_loadcnt 0x1
	v_and_b32_e32 v1, v1, v13
	v_and_b32_e32 v2, v2, v14
	s_delay_alu instid0(VALU_DEP_2) | instskip(NEXT) | instid1(VALU_DEP_2)
	v_mul_lo_u32 v3, 0, v1
	v_mul_lo_u32 v2, 24, v2
	v_mul_hi_u32 v11, 24, v1
	v_mul_lo_u32 v1, 24, v1
	s_delay_alu instid0(VALU_DEP_3) | instskip(SKIP_1) | instid1(VALU_DEP_2)
	v_add_nc_u32_e32 v2, v2, v3
	s_wait_loadcnt 0x0
	v_add_co_u32 v1, vcc_lo, v9, v1
	s_delay_alu instid0(VALU_DEP_2) | instskip(SKIP_1) | instid1(VALU_DEP_1)
	v_add_nc_u32_e32 v2, v2, v11
	s_wait_alu 0xfffd
	v_add_co_ci_u32_e32 v2, vcc_lo, v10, v2, vcc_lo
	global_load_b64 v[11:12], v[1:2], off scope:SCOPE_SYS
	s_wait_loadcnt 0x0
	global_atomic_cmpswap_b64 v[11:12], v0, v[11:14], s[34:35] offset:24 th:TH_ATOMIC_RETURN scope:SCOPE_SYS
	s_wait_loadcnt 0x0
	global_inv scope:SCOPE_SYS
	v_cmpx_ne_u64_e64 v[11:12], v[13:14]
	s_cbranch_execz .LBB8_7
; %bb.4:
	s_mov_b32 s3, 0
.LBB8_5:                                ; =>This Inner Loop Header: Depth=1
	s_sleep 1
	s_clause 0x1
	global_load_b64 v[1:2], v0, s[34:35] offset:40
	global_load_b64 v[9:10], v0, s[34:35]
	v_dual_mov_b32 v14, v12 :: v_dual_mov_b32 v13, v11
	s_wait_loadcnt 0x1
	s_delay_alu instid0(VALU_DEP_1) | instskip(NEXT) | instid1(VALU_DEP_2)
	v_and_b32_e32 v1, v1, v13
	v_and_b32_e32 v2, v2, v14
	s_wait_loadcnt 0x0
	s_delay_alu instid0(VALU_DEP_2) | instskip(NEXT) | instid1(VALU_DEP_1)
	v_mad_co_u64_u32 v[9:10], null, v1, 24, v[9:10]
	v_mov_b32_e32 v1, v10
	s_delay_alu instid0(VALU_DEP_1) | instskip(NEXT) | instid1(VALU_DEP_1)
	v_mad_co_u64_u32 v[1:2], null, v2, 24, v[1:2]
	v_mov_b32_e32 v10, v1
	global_load_b64 v[11:12], v[9:10], off scope:SCOPE_SYS
	s_wait_loadcnt 0x0
	global_atomic_cmpswap_b64 v[11:12], v0, v[11:14], s[34:35] offset:24 th:TH_ATOMIC_RETURN scope:SCOPE_SYS
	s_wait_loadcnt 0x0
	global_inv scope:SCOPE_SYS
	v_cmp_eq_u64_e32 vcc_lo, v[11:12], v[13:14]
	s_wait_alu 0xfffe
	s_or_b32 s3, vcc_lo, s3
	s_wait_alu 0xfffe
	s_and_not1_b32 exec_lo, exec_lo, s3
	s_cbranch_execnz .LBB8_5
; %bb.6:
	s_or_b32 exec_lo, exec_lo, s3
.LBB8_7:
	s_wait_alu 0xfffe
	s_or_b32 exec_lo, exec_lo, s2
.LBB8_8:
	s_wait_alu 0xfffe
	s_or_b32 exec_lo, exec_lo, s1
	v_readfirstlane_b32 s2, v11
	v_mov_b32_e32 v10, 0
	v_readfirstlane_b32 s1, v12
	s_mov_b32 s3, exec_lo
	s_wait_kmcnt 0x0
	s_clause 0x1
	global_load_b64 v[13:14], v10, s[34:35] offset:40
	global_load_b128 v[0:3], v10, s[34:35]
	s_wait_loadcnt 0x1
	s_wait_alu 0xf1ff
	v_and_b32_e32 v15, s2, v13
	v_and_b32_e32 v16, s1, v14
	s_delay_alu instid0(VALU_DEP_2) | instskip(NEXT) | instid1(VALU_DEP_2)
	v_mul_lo_u32 v11, 0, v15
	v_mul_lo_u32 v9, 24, v16
	v_mul_hi_u32 v12, 24, v15
	v_mul_lo_u32 v13, 24, v15
	s_delay_alu instid0(VALU_DEP_3) | instskip(SKIP_1) | instid1(VALU_DEP_2)
	v_add_nc_u32_e32 v9, v9, v11
	s_wait_loadcnt 0x0
	v_add_co_u32 v13, vcc_lo, v0, v13
	s_delay_alu instid0(VALU_DEP_2) | instskip(SKIP_1) | instid1(VALU_DEP_1)
	v_add_nc_u32_e32 v9, v9, v12
	s_wait_alu 0xfffd
	v_add_co_ci_u32_e32 v14, vcc_lo, v1, v9, vcc_lo
	s_and_saveexec_b32 s4, s0
	s_cbranch_execz .LBB8_10
; %bb.9:
	s_wait_alu 0xfffe
	v_dual_mov_b32 v9, s3 :: v_dual_mov_b32 v12, 1
	v_mov_b32_e32 v11, 2
	global_store_b128 v[13:14], v[9:12], off offset:8
.LBB8_10:
	s_wait_alu 0xfffe
	s_or_b32 exec_lo, exec_lo, s4
	v_lshlrev_b64_e32 v[15:16], 12, v[15:16]
	v_dual_mov_b32 v12, v10 :: v_dual_lshlrev_b32 v51, 6, v52
	s_mov_b32 s4, 0
	s_wait_alu 0xfffe
	s_mov_b32 s7, s4
	s_delay_alu instid0(VALU_DEP_2) | instskip(SKIP_3) | instid1(VALU_DEP_2)
	v_add_co_u32 v2, vcc_lo, v2, v15
	s_wait_alu 0xfffd
	v_add_co_ci_u32_e32 v3, vcc_lo, v3, v16, vcc_lo
	s_mov_b32 s5, s4
	v_add_co_u32 v15, vcc_lo, v2, v51
	s_mov_b32 s6, s4
	s_wait_alu 0xfffe
	v_dual_mov_b32 v9, 33 :: v_dual_mov_b32 v20, s7
	v_dual_mov_b32 v11, v10 :: v_dual_mov_b32 v18, s5
	v_readfirstlane_b32 s10, v2
	v_readfirstlane_b32 s11, v3
	s_wait_alu 0xfffd
	v_add_co_ci_u32_e32 v16, vcc_lo, 0, v3, vcc_lo
	v_mov_b32_e32 v19, s6
	v_mov_b32_e32 v17, s4
	s_clause 0x3
	global_store_b128 v51, v[9:12], s[10:11]
	global_store_b128 v51, v[17:20], s[10:11] offset:16
	global_store_b128 v51, v[17:20], s[10:11] offset:32
	;; [unrolled: 1-line block ×3, first 2 shown]
	s_and_saveexec_b32 s3, s0
	s_cbranch_execz .LBB8_18
; %bb.11:
	v_mov_b32_e32 v11, 0
	v_mov_b32_e32 v17, s2
	s_mov_b32 s4, exec_lo
	s_clause 0x1
	global_load_b64 v[19:20], v11, s[34:35] offset:32 scope:SCOPE_SYS
	global_load_b64 v[2:3], v11, s[34:35] offset:40
	v_mov_b32_e32 v18, s1
	s_wait_loadcnt 0x0
	v_and_b32_e32 v2, s2, v2
	v_and_b32_e32 v3, s1, v3
	s_delay_alu instid0(VALU_DEP_2) | instskip(NEXT) | instid1(VALU_DEP_2)
	v_mul_lo_u32 v9, 0, v2
	v_mul_lo_u32 v3, 24, v3
	v_mul_hi_u32 v10, 24, v2
	v_mul_lo_u32 v2, 24, v2
	s_delay_alu instid0(VALU_DEP_3) | instskip(NEXT) | instid1(VALU_DEP_2)
	v_add_nc_u32_e32 v3, v3, v9
	v_add_co_u32 v9, vcc_lo, v0, v2
	s_delay_alu instid0(VALU_DEP_2) | instskip(SKIP_1) | instid1(VALU_DEP_1)
	v_add_nc_u32_e32 v3, v3, v10
	s_wait_alu 0xfffd
	v_add_co_ci_u32_e32 v10, vcc_lo, v1, v3, vcc_lo
	global_store_b64 v[9:10], v[19:20], off
	global_wb scope:SCOPE_SYS
	s_wait_storecnt 0x0
	global_atomic_cmpswap_b64 v[2:3], v11, v[17:20], s[34:35] offset:32 th:TH_ATOMIC_RETURN scope:SCOPE_SYS
	s_wait_loadcnt 0x0
	v_cmpx_ne_u64_e64 v[2:3], v[19:20]
	s_cbranch_execz .LBB8_14
; %bb.12:
	s_mov_b32 s5, 0
.LBB8_13:                               ; =>This Inner Loop Header: Depth=1
	v_dual_mov_b32 v0, s2 :: v_dual_mov_b32 v1, s1
	s_sleep 1
	global_store_b64 v[9:10], v[2:3], off
	global_wb scope:SCOPE_SYS
	s_wait_storecnt 0x0
	global_atomic_cmpswap_b64 v[0:1], v11, v[0:3], s[34:35] offset:32 th:TH_ATOMIC_RETURN scope:SCOPE_SYS
	s_wait_loadcnt 0x0
	v_cmp_eq_u64_e32 vcc_lo, v[0:1], v[2:3]
	v_dual_mov_b32 v3, v1 :: v_dual_mov_b32 v2, v0
	s_wait_alu 0xfffe
	s_or_b32 s5, vcc_lo, s5
	s_wait_alu 0xfffe
	s_and_not1_b32 exec_lo, exec_lo, s5
	s_cbranch_execnz .LBB8_13
.LBB8_14:
	s_wait_alu 0xfffe
	s_or_b32 exec_lo, exec_lo, s4
	v_mov_b32_e32 v3, 0
	s_mov_b32 s5, exec_lo
	s_mov_b32 s4, exec_lo
	s_wait_alu 0xfffe
	v_mbcnt_lo_u32_b32 v2, s5, 0
	global_load_b64 v[0:1], v3, s[34:35] offset:16
	v_cmpx_eq_u32_e32 0, v2
	s_cbranch_execz .LBB8_16
; %bb.15:
	s_bcnt1_i32_b32 s5, s5
	s_wait_alu 0xfffe
	v_mov_b32_e32 v2, s5
	global_wb scope:SCOPE_SYS
	s_wait_loadcnt 0x0
	global_atomic_add_u64 v[0:1], v[2:3], off offset:8 scope:SCOPE_SYS
.LBB8_16:
	s_or_b32 exec_lo, exec_lo, s4
	s_wait_loadcnt 0x0
	global_load_b64 v[2:3], v[0:1], off offset:16
	s_wait_loadcnt 0x0
	v_cmp_eq_u64_e32 vcc_lo, 0, v[2:3]
	s_cbranch_vccnz .LBB8_18
; %bb.17:
	global_load_b32 v0, v[0:1], off offset:24
	v_mov_b32_e32 v1, 0
	s_wait_loadcnt 0x0
	v_and_b32_e32 v9, 0xffffff, v0
	global_wb scope:SCOPE_SYS
	s_wait_storecnt 0x0
	global_store_b64 v[2:3], v[0:1], off scope:SCOPE_SYS
	v_readfirstlane_b32 m0, v9
	s_sendmsg sendmsg(MSG_INTERRUPT)
.LBB8_18:
	s_wait_alu 0xfffe
	s_or_b32 exec_lo, exec_lo, s3
	s_branch .LBB8_22
.LBB8_19:                               ;   in Loop: Header=BB8_22 Depth=1
	s_wait_alu 0xfffe
	s_or_b32 exec_lo, exec_lo, s3
	s_delay_alu instid0(VALU_DEP_1) | instskip(NEXT) | instid1(VALU_DEP_1)
	v_readfirstlane_b32 s3, v0
	s_cmp_eq_u32 s3, 0
	s_cbranch_scc1 .LBB8_21
; %bb.20:                               ;   in Loop: Header=BB8_22 Depth=1
	s_sleep 1
	s_cbranch_execnz .LBB8_22
	s_branch .LBB8_24
.LBB8_21:
	s_branch .LBB8_24
.LBB8_22:                               ; =>This Inner Loop Header: Depth=1
	v_mov_b32_e32 v0, 1
	s_and_saveexec_b32 s3, s0
	s_cbranch_execz .LBB8_19
; %bb.23:                               ;   in Loop: Header=BB8_22 Depth=1
	global_load_b32 v0, v[13:14], off offset:20 scope:SCOPE_SYS
	s_wait_loadcnt 0x0
	global_inv scope:SCOPE_SYS
	v_and_b32_e32 v0, 1, v0
	s_branch .LBB8_19
.LBB8_24:
	global_load_b64 v[9:10], v[15:16], off
	s_and_saveexec_b32 s3, s0
	s_cbranch_execz .LBB8_28
; %bb.25:
	v_mov_b32_e32 v13, 0
	s_clause 0x2
	global_load_b64 v[2:3], v13, s[34:35] offset:40
	global_load_b64 v[14:15], v13, s[34:35] offset:24 scope:SCOPE_SYS
	global_load_b64 v[11:12], v13, s[34:35]
	s_wait_loadcnt 0x2
	v_add_co_u32 v16, vcc_lo, v2, 1
	s_wait_alu 0xfffd
	v_add_co_ci_u32_e32 v17, vcc_lo, 0, v3, vcc_lo
	s_delay_alu instid0(VALU_DEP_2) | instskip(SKIP_1) | instid1(VALU_DEP_2)
	v_add_co_u32 v0, vcc_lo, v16, s2
	s_wait_alu 0xfffd
	v_add_co_ci_u32_e32 v1, vcc_lo, s1, v17, vcc_lo
	s_delay_alu instid0(VALU_DEP_1) | instskip(SKIP_2) | instid1(VALU_DEP_1)
	v_cmp_eq_u64_e32 vcc_lo, 0, v[0:1]
	s_wait_alu 0xfffd
	v_dual_cndmask_b32 v0, v0, v16 :: v_dual_cndmask_b32 v1, v1, v17
	v_and_b32_e32 v2, v0, v2
	s_delay_alu instid0(VALU_DEP_2) | instskip(NEXT) | instid1(VALU_DEP_2)
	v_and_b32_e32 v3, v1, v3
	v_mul_lo_u32 v16, 0, v2
	v_mul_hi_u32 v17, 24, v2
	v_mul_lo_u32 v2, 24, v2
	s_wait_loadcnt 0x0
	s_delay_alu instid0(VALU_DEP_1) | instskip(SKIP_2) | instid1(VALU_DEP_1)
	v_add_co_u32 v11, vcc_lo, v11, v2
	v_mov_b32_e32 v2, v14
	v_mul_lo_u32 v3, 24, v3
	v_add_nc_u32_e32 v3, v3, v16
	s_delay_alu instid0(VALU_DEP_1) | instskip(SKIP_1) | instid1(VALU_DEP_1)
	v_add_nc_u32_e32 v3, v3, v17
	s_wait_alu 0xfffd
	v_add_co_ci_u32_e32 v12, vcc_lo, v12, v3, vcc_lo
	v_mov_b32_e32 v3, v15
	global_store_b64 v[11:12], v[14:15], off
	global_wb scope:SCOPE_SYS
	s_wait_storecnt 0x0
	global_atomic_cmpswap_b64 v[2:3], v13, v[0:3], s[34:35] offset:24 th:TH_ATOMIC_RETURN scope:SCOPE_SYS
	s_wait_loadcnt 0x0
	v_cmp_ne_u64_e32 vcc_lo, v[2:3], v[14:15]
	s_and_b32 exec_lo, exec_lo, vcc_lo
	s_cbranch_execz .LBB8_28
; %bb.26:
	s_mov_b32 s0, 0
.LBB8_27:                               ; =>This Inner Loop Header: Depth=1
	s_sleep 1
	global_store_b64 v[11:12], v[2:3], off
	global_wb scope:SCOPE_SYS
	s_wait_storecnt 0x0
	global_atomic_cmpswap_b64 v[14:15], v13, v[0:3], s[34:35] offset:24 th:TH_ATOMIC_RETURN scope:SCOPE_SYS
	s_wait_loadcnt 0x0
	v_cmp_eq_u64_e32 vcc_lo, v[14:15], v[2:3]
	v_dual_mov_b32 v2, v14 :: v_dual_mov_b32 v3, v15
	s_wait_alu 0xfffe
	s_or_b32 s0, vcc_lo, s0
	s_wait_alu 0xfffe
	s_and_not1_b32 exec_lo, exec_lo, s0
	s_cbranch_execnz .LBB8_27
.LBB8_28:
	s_wait_alu 0xfffe
	s_or_b32 exec_lo, exec_lo, s3
	s_getpc_b64 s[2:3]
	s_wait_alu 0xfffe
	s_sext_i32_i16 s3, s3
	s_add_co_u32 s2, s2, .str.7@rel32@lo+12
	s_wait_alu 0xfffe
	s_add_co_ci_u32 s3, s3, .str.7@rel32@hi+24
	s_wait_alu 0xfffe
	s_cmp_lg_u64 s[2:3], 0
	s_cselect_b32 s15, -1, 0
	s_wait_alu 0xfffe
	s_and_b32 vcc_lo, exec_lo, s15
	s_wait_alu 0xfffe
	s_cbranch_vccz .LBB8_107
; %bb.29:
	s_wait_loadcnt 0x0
	v_dual_mov_b32 v12, 0 :: v_dual_and_b32 v35, 2, v9
	v_dual_mov_b32 v1, v10 :: v_dual_and_b32 v0, -3, v9
	v_dual_mov_b32 v13, 2 :: v_dual_mov_b32 v14, 1
	s_mov_b64 s[4:5], 3
	s_branch .LBB8_31
.LBB8_30:                               ;   in Loop: Header=BB8_31 Depth=1
	s_wait_alu 0xfffe
	s_or_b32 exec_lo, exec_lo, s11
	s_sub_nc_u64 s[4:5], s[4:5], s[6:7]
	s_add_nc_u64 s[2:3], s[2:3], s[6:7]
	s_wait_alu 0xfffe
	s_cmp_lg_u64 s[4:5], 0
	s_cbranch_scc0 .LBB8_106
.LBB8_31:                               ; =>This Loop Header: Depth=1
                                        ;     Child Loop BB8_40 Depth 2
                                        ;     Child Loop BB8_36 Depth 2
	;; [unrolled: 1-line block ×11, first 2 shown]
	s_wait_alu 0xfffe
	v_cmp_lt_u64_e64 s0, s[4:5], 56
	v_cmp_gt_u64_e64 s1, s[4:5], 7
                                        ; implicit-def: $vgpr2_vgpr3
                                        ; implicit-def: $sgpr18
	s_delay_alu instid0(VALU_DEP_2) | instskip(SKIP_2) | instid1(VALU_DEP_1)
	s_and_b32 s0, s0, exec_lo
	s_cselect_b32 s7, s5, 0
	s_cselect_b32 s6, s4, 56
	s_and_b32 vcc_lo, exec_lo, s1
	s_mov_b32 s0, -1
	s_wait_alu 0xfffe
	s_cbranch_vccz .LBB8_38
; %bb.32:                               ;   in Loop: Header=BB8_31 Depth=1
	s_and_not1_b32 vcc_lo, exec_lo, s0
	s_mov_b64 s[0:1], s[2:3]
	s_wait_alu 0xfffe
	s_cbranch_vccz .LBB8_42
.LBB8_33:                               ;   in Loop: Header=BB8_31 Depth=1
	s_wait_alu 0xfffe
	s_cmp_gt_u32 s18, 7
	s_cbranch_scc1 .LBB8_43
.LBB8_34:                               ;   in Loop: Header=BB8_31 Depth=1
	v_mov_b32_e32 v15, 0
	v_mov_b32_e32 v16, 0
	s_cmp_eq_u32 s18, 0
	s_cbranch_scc1 .LBB8_37
; %bb.35:                               ;   in Loop: Header=BB8_31 Depth=1
	s_mov_b64 s[10:11], 0
	s_mov_b64 s[16:17], 0
.LBB8_36:                               ;   Parent Loop BB8_31 Depth=1
                                        ; =>  This Inner Loop Header: Depth=2
	s_wait_alu 0xfffe
	s_add_nc_u64 s[20:21], s[0:1], s[16:17]
	s_add_nc_u64 s[16:17], s[16:17], 1
	global_load_u8 v11, v12, s[20:21]
	s_wait_alu 0xfffe
	s_cmp_lg_u32 s18, s16
	s_wait_loadcnt 0x0
	v_and_b32_e32 v11, 0xffff, v11
	s_delay_alu instid0(VALU_DEP_1) | instskip(SKIP_1) | instid1(VALU_DEP_1)
	v_lshlrev_b64_e32 v[17:18], s10, v[11:12]
	s_add_nc_u64 s[10:11], s[10:11], 8
	v_or_b32_e32 v15, v17, v15
	s_delay_alu instid0(VALU_DEP_2)
	v_or_b32_e32 v16, v18, v16
	s_cbranch_scc1 .LBB8_36
.LBB8_37:                               ;   in Loop: Header=BB8_31 Depth=1
	s_mov_b32 s19, 0
	s_cbranch_execz .LBB8_44
	s_branch .LBB8_45
.LBB8_38:                               ;   in Loop: Header=BB8_31 Depth=1
	s_wait_loadcnt 0x0
	v_mov_b32_e32 v2, 0
	v_mov_b32_e32 v3, 0
	s_cmp_eq_u64 s[4:5], 0
	s_mov_b64 s[0:1], 0
	s_cbranch_scc1 .LBB8_41
; %bb.39:                               ;   in Loop: Header=BB8_31 Depth=1
	v_mov_b32_e32 v2, 0
	v_mov_b32_e32 v3, 0
	s_mov_b64 s[10:11], 0
.LBB8_40:                               ;   Parent Loop BB8_31 Depth=1
                                        ; =>  This Inner Loop Header: Depth=2
	s_wait_alu 0xfffe
	s_add_nc_u64 s[16:17], s[2:3], s[10:11]
	s_add_nc_u64 s[10:11], s[10:11], 1
	global_load_u8 v11, v12, s[16:17]
	s_wait_alu 0xfffe
	s_cmp_lg_u32 s6, s10
	s_wait_loadcnt 0x0
	v_and_b32_e32 v11, 0xffff, v11
	s_delay_alu instid0(VALU_DEP_1) | instskip(SKIP_1) | instid1(VALU_DEP_1)
	v_lshlrev_b64_e32 v[15:16], s0, v[11:12]
	s_add_nc_u64 s[0:1], s[0:1], 8
	v_or_b32_e32 v2, v15, v2
	s_delay_alu instid0(VALU_DEP_2)
	v_or_b32_e32 v3, v16, v3
	s_cbranch_scc1 .LBB8_40
.LBB8_41:                               ;   in Loop: Header=BB8_31 Depth=1
	s_mov_b32 s18, 0
	s_mov_b64 s[0:1], s[2:3]
	s_cbranch_execnz .LBB8_33
.LBB8_42:                               ;   in Loop: Header=BB8_31 Depth=1
	global_load_b64 v[2:3], v12, s[2:3]
	s_add_co_i32 s18, s6, -8
	s_add_nc_u64 s[0:1], s[2:3], 8
	s_wait_alu 0xfffe
	s_cmp_gt_u32 s18, 7
	s_cbranch_scc0 .LBB8_34
.LBB8_43:                               ;   in Loop: Header=BB8_31 Depth=1
                                        ; implicit-def: $vgpr15_vgpr16
                                        ; implicit-def: $sgpr19
.LBB8_44:                               ;   in Loop: Header=BB8_31 Depth=1
	global_load_b64 v[15:16], v12, s[0:1]
	s_add_co_i32 s19, s18, -8
	s_add_nc_u64 s[0:1], s[0:1], 8
.LBB8_45:                               ;   in Loop: Header=BB8_31 Depth=1
	s_wait_alu 0xfffe
	s_cmp_gt_u32 s19, 7
	s_cbranch_scc1 .LBB8_50
; %bb.46:                               ;   in Loop: Header=BB8_31 Depth=1
	v_mov_b32_e32 v17, 0
	v_mov_b32_e32 v18, 0
	s_cmp_eq_u32 s19, 0
	s_cbranch_scc1 .LBB8_49
; %bb.47:                               ;   in Loop: Header=BB8_31 Depth=1
	s_mov_b64 s[10:11], 0
	s_mov_b64 s[16:17], 0
.LBB8_48:                               ;   Parent Loop BB8_31 Depth=1
                                        ; =>  This Inner Loop Header: Depth=2
	s_wait_alu 0xfffe
	s_add_nc_u64 s[20:21], s[0:1], s[16:17]
	s_add_nc_u64 s[16:17], s[16:17], 1
	global_load_u8 v11, v12, s[20:21]
	s_wait_alu 0xfffe
	s_cmp_lg_u32 s19, s16
	s_wait_loadcnt 0x0
	v_and_b32_e32 v11, 0xffff, v11
	s_delay_alu instid0(VALU_DEP_1) | instskip(SKIP_1) | instid1(VALU_DEP_1)
	v_lshlrev_b64_e32 v[19:20], s10, v[11:12]
	s_add_nc_u64 s[10:11], s[10:11], 8
	v_or_b32_e32 v17, v19, v17
	s_delay_alu instid0(VALU_DEP_2)
	v_or_b32_e32 v18, v20, v18
	s_cbranch_scc1 .LBB8_48
.LBB8_49:                               ;   in Loop: Header=BB8_31 Depth=1
	s_mov_b32 s18, 0
	s_cbranch_execz .LBB8_51
	s_branch .LBB8_52
.LBB8_50:                               ;   in Loop: Header=BB8_31 Depth=1
                                        ; implicit-def: $sgpr18
.LBB8_51:                               ;   in Loop: Header=BB8_31 Depth=1
	global_load_b64 v[17:18], v12, s[0:1]
	s_add_co_i32 s18, s19, -8
	s_add_nc_u64 s[0:1], s[0:1], 8
.LBB8_52:                               ;   in Loop: Header=BB8_31 Depth=1
	s_wait_alu 0xfffe
	s_cmp_gt_u32 s18, 7
	s_cbranch_scc1 .LBB8_57
; %bb.53:                               ;   in Loop: Header=BB8_31 Depth=1
	v_mov_b32_e32 v19, 0
	v_mov_b32_e32 v20, 0
	s_cmp_eq_u32 s18, 0
	s_cbranch_scc1 .LBB8_56
; %bb.54:                               ;   in Loop: Header=BB8_31 Depth=1
	s_mov_b64 s[10:11], 0
	s_mov_b64 s[16:17], 0
.LBB8_55:                               ;   Parent Loop BB8_31 Depth=1
                                        ; =>  This Inner Loop Header: Depth=2
	s_wait_alu 0xfffe
	s_add_nc_u64 s[20:21], s[0:1], s[16:17]
	s_add_nc_u64 s[16:17], s[16:17], 1
	global_load_u8 v11, v12, s[20:21]
	s_wait_alu 0xfffe
	s_cmp_lg_u32 s18, s16
	s_wait_loadcnt 0x0
	v_and_b32_e32 v11, 0xffff, v11
	s_delay_alu instid0(VALU_DEP_1) | instskip(SKIP_1) | instid1(VALU_DEP_1)
	v_lshlrev_b64_e32 v[21:22], s10, v[11:12]
	s_add_nc_u64 s[10:11], s[10:11], 8
	v_or_b32_e32 v19, v21, v19
	s_delay_alu instid0(VALU_DEP_2)
	v_or_b32_e32 v20, v22, v20
	s_cbranch_scc1 .LBB8_55
.LBB8_56:                               ;   in Loop: Header=BB8_31 Depth=1
	s_mov_b32 s19, 0
	s_cbranch_execz .LBB8_58
	s_branch .LBB8_59
.LBB8_57:                               ;   in Loop: Header=BB8_31 Depth=1
                                        ; implicit-def: $vgpr19_vgpr20
                                        ; implicit-def: $sgpr19
.LBB8_58:                               ;   in Loop: Header=BB8_31 Depth=1
	global_load_b64 v[19:20], v12, s[0:1]
	s_add_co_i32 s19, s18, -8
	s_add_nc_u64 s[0:1], s[0:1], 8
.LBB8_59:                               ;   in Loop: Header=BB8_31 Depth=1
	s_wait_alu 0xfffe
	s_cmp_gt_u32 s19, 7
	s_cbranch_scc1 .LBB8_64
; %bb.60:                               ;   in Loop: Header=BB8_31 Depth=1
	v_mov_b32_e32 v21, 0
	v_mov_b32_e32 v22, 0
	s_cmp_eq_u32 s19, 0
	s_cbranch_scc1 .LBB8_63
; %bb.61:                               ;   in Loop: Header=BB8_31 Depth=1
	s_mov_b64 s[10:11], 0
	s_mov_b64 s[16:17], 0
.LBB8_62:                               ;   Parent Loop BB8_31 Depth=1
                                        ; =>  This Inner Loop Header: Depth=2
	s_wait_alu 0xfffe
	s_add_nc_u64 s[20:21], s[0:1], s[16:17]
	s_add_nc_u64 s[16:17], s[16:17], 1
	global_load_u8 v11, v12, s[20:21]
	s_wait_alu 0xfffe
	s_cmp_lg_u32 s19, s16
	s_wait_loadcnt 0x0
	v_and_b32_e32 v11, 0xffff, v11
	s_delay_alu instid0(VALU_DEP_1) | instskip(SKIP_1) | instid1(VALU_DEP_1)
	v_lshlrev_b64_e32 v[23:24], s10, v[11:12]
	s_add_nc_u64 s[10:11], s[10:11], 8
	v_or_b32_e32 v21, v23, v21
	s_delay_alu instid0(VALU_DEP_2)
	v_or_b32_e32 v22, v24, v22
	s_cbranch_scc1 .LBB8_62
.LBB8_63:                               ;   in Loop: Header=BB8_31 Depth=1
	s_mov_b32 s18, 0
	s_cbranch_execz .LBB8_65
	s_branch .LBB8_66
.LBB8_64:                               ;   in Loop: Header=BB8_31 Depth=1
                                        ; implicit-def: $sgpr18
.LBB8_65:                               ;   in Loop: Header=BB8_31 Depth=1
	global_load_b64 v[21:22], v12, s[0:1]
	s_add_co_i32 s18, s19, -8
	s_add_nc_u64 s[0:1], s[0:1], 8
.LBB8_66:                               ;   in Loop: Header=BB8_31 Depth=1
	s_wait_alu 0xfffe
	s_cmp_gt_u32 s18, 7
	s_cbranch_scc1 .LBB8_71
; %bb.67:                               ;   in Loop: Header=BB8_31 Depth=1
	v_mov_b32_e32 v23, 0
	v_mov_b32_e32 v24, 0
	s_cmp_eq_u32 s18, 0
	s_cbranch_scc1 .LBB8_70
; %bb.68:                               ;   in Loop: Header=BB8_31 Depth=1
	s_mov_b64 s[10:11], 0
	s_mov_b64 s[16:17], 0
.LBB8_69:                               ;   Parent Loop BB8_31 Depth=1
                                        ; =>  This Inner Loop Header: Depth=2
	s_wait_alu 0xfffe
	s_add_nc_u64 s[20:21], s[0:1], s[16:17]
	s_add_nc_u64 s[16:17], s[16:17], 1
	global_load_u8 v11, v12, s[20:21]
	s_wait_alu 0xfffe
	s_cmp_lg_u32 s18, s16
	s_wait_loadcnt 0x0
	v_and_b32_e32 v11, 0xffff, v11
	s_delay_alu instid0(VALU_DEP_1) | instskip(SKIP_1) | instid1(VALU_DEP_1)
	v_lshlrev_b64_e32 v[25:26], s10, v[11:12]
	s_add_nc_u64 s[10:11], s[10:11], 8
	v_or_b32_e32 v23, v25, v23
	s_delay_alu instid0(VALU_DEP_2)
	v_or_b32_e32 v24, v26, v24
	s_cbranch_scc1 .LBB8_69
.LBB8_70:                               ;   in Loop: Header=BB8_31 Depth=1
	s_mov_b32 s19, 0
	s_cbranch_execz .LBB8_72
	s_branch .LBB8_73
.LBB8_71:                               ;   in Loop: Header=BB8_31 Depth=1
                                        ; implicit-def: $vgpr23_vgpr24
                                        ; implicit-def: $sgpr19
.LBB8_72:                               ;   in Loop: Header=BB8_31 Depth=1
	global_load_b64 v[23:24], v12, s[0:1]
	s_add_co_i32 s19, s18, -8
	s_add_nc_u64 s[0:1], s[0:1], 8
.LBB8_73:                               ;   in Loop: Header=BB8_31 Depth=1
	s_wait_alu 0xfffe
	s_cmp_gt_u32 s19, 7
	s_cbranch_scc1 .LBB8_78
; %bb.74:                               ;   in Loop: Header=BB8_31 Depth=1
	v_mov_b32_e32 v25, 0
	v_mov_b32_e32 v26, 0
	s_cmp_eq_u32 s19, 0
	s_cbranch_scc1 .LBB8_77
; %bb.75:                               ;   in Loop: Header=BB8_31 Depth=1
	s_mov_b64 s[10:11], 0
	s_mov_b64 s[16:17], s[0:1]
.LBB8_76:                               ;   Parent Loop BB8_31 Depth=1
                                        ; =>  This Inner Loop Header: Depth=2
	global_load_u8 v11, v12, s[16:17]
	s_add_co_i32 s19, s19, -1
	s_wait_alu 0xfffe
	s_add_nc_u64 s[16:17], s[16:17], 1
	s_cmp_lg_u32 s19, 0
	s_wait_loadcnt 0x0
	v_and_b32_e32 v11, 0xffff, v11
	s_delay_alu instid0(VALU_DEP_1) | instskip(SKIP_1) | instid1(VALU_DEP_1)
	v_lshlrev_b64_e32 v[27:28], s10, v[11:12]
	s_add_nc_u64 s[10:11], s[10:11], 8
	v_or_b32_e32 v25, v27, v25
	s_delay_alu instid0(VALU_DEP_2)
	v_or_b32_e32 v26, v28, v26
	s_cbranch_scc1 .LBB8_76
.LBB8_77:                               ;   in Loop: Header=BB8_31 Depth=1
	s_cbranch_execz .LBB8_79
	s_branch .LBB8_80
.LBB8_78:                               ;   in Loop: Header=BB8_31 Depth=1
.LBB8_79:                               ;   in Loop: Header=BB8_31 Depth=1
	global_load_b64 v[25:26], v12, s[0:1]
.LBB8_80:                               ;   in Loop: Header=BB8_31 Depth=1
	v_readfirstlane_b32 s0, v52
	v_mov_b32_e32 v31, 0
	v_mov_b32_e32 v32, 0
	s_wait_alu 0xf1ff
	s_delay_alu instid0(VALU_DEP_3) | instskip(NEXT) | instid1(VALU_DEP_1)
	v_cmp_eq_u32_e64 s0, s0, v52
	s_and_saveexec_b32 s1, s0
	s_cbranch_execz .LBB8_86
; %bb.81:                               ;   in Loop: Header=BB8_31 Depth=1
	global_load_b64 v[29:30], v12, s[34:35] offset:24 scope:SCOPE_SYS
	s_wait_loadcnt 0x0
	global_inv scope:SCOPE_SYS
	s_clause 0x1
	global_load_b64 v[27:28], v12, s[34:35] offset:40
	global_load_b64 v[31:32], v12, s[34:35]
	s_mov_b32 s10, exec_lo
	s_wait_loadcnt 0x1
	v_and_b32_e32 v11, v28, v30
	v_and_b32_e32 v27, v27, v29
	s_delay_alu instid0(VALU_DEP_2) | instskip(NEXT) | instid1(VALU_DEP_2)
	v_mul_lo_u32 v11, 24, v11
	v_mul_lo_u32 v28, 0, v27
	v_mul_hi_u32 v33, 24, v27
	v_mul_lo_u32 v27, 24, v27
	s_delay_alu instid0(VALU_DEP_3) | instskip(SKIP_1) | instid1(VALU_DEP_2)
	v_add_nc_u32_e32 v11, v11, v28
	s_wait_loadcnt 0x0
	v_add_co_u32 v27, vcc_lo, v31, v27
	s_delay_alu instid0(VALU_DEP_2) | instskip(SKIP_1) | instid1(VALU_DEP_1)
	v_add_nc_u32_e32 v11, v11, v33
	s_wait_alu 0xfffd
	v_add_co_ci_u32_e32 v28, vcc_lo, v32, v11, vcc_lo
	global_load_b64 v[27:28], v[27:28], off scope:SCOPE_SYS
	s_wait_loadcnt 0x0
	global_atomic_cmpswap_b64 v[31:32], v12, v[27:30], s[34:35] offset:24 th:TH_ATOMIC_RETURN scope:SCOPE_SYS
	s_wait_loadcnt 0x0
	global_inv scope:SCOPE_SYS
	v_cmpx_ne_u64_e64 v[31:32], v[29:30]
	s_cbranch_execz .LBB8_85
; %bb.82:                               ;   in Loop: Header=BB8_31 Depth=1
	s_mov_b32 s11, 0
.LBB8_83:                               ;   Parent Loop BB8_31 Depth=1
                                        ; =>  This Inner Loop Header: Depth=2
	s_sleep 1
	s_clause 0x1
	global_load_b64 v[27:28], v12, s[34:35] offset:40
	global_load_b64 v[33:34], v12, s[34:35]
	v_dual_mov_b32 v29, v31 :: v_dual_mov_b32 v30, v32
	s_wait_loadcnt 0x1
	s_delay_alu instid0(VALU_DEP_1) | instskip(NEXT) | instid1(VALU_DEP_2)
	v_and_b32_e32 v11, v27, v29
	v_and_b32_e32 v27, v28, v30
	s_wait_loadcnt 0x0
	s_delay_alu instid0(VALU_DEP_2) | instskip(NEXT) | instid1(VALU_DEP_1)
	v_mad_co_u64_u32 v[31:32], null, v11, 24, v[33:34]
	v_mov_b32_e32 v11, v32
	s_delay_alu instid0(VALU_DEP_1) | instskip(NEXT) | instid1(VALU_DEP_1)
	v_mad_co_u64_u32 v[27:28], null, v27, 24, v[11:12]
	v_mov_b32_e32 v32, v27
	global_load_b64 v[27:28], v[31:32], off scope:SCOPE_SYS
	s_wait_loadcnt 0x0
	global_atomic_cmpswap_b64 v[31:32], v12, v[27:30], s[34:35] offset:24 th:TH_ATOMIC_RETURN scope:SCOPE_SYS
	s_wait_loadcnt 0x0
	global_inv scope:SCOPE_SYS
	v_cmp_eq_u64_e32 vcc_lo, v[31:32], v[29:30]
	s_wait_alu 0xfffe
	s_or_b32 s11, vcc_lo, s11
	s_wait_alu 0xfffe
	s_and_not1_b32 exec_lo, exec_lo, s11
	s_cbranch_execnz .LBB8_83
; %bb.84:                               ;   in Loop: Header=BB8_31 Depth=1
	s_or_b32 exec_lo, exec_lo, s11
.LBB8_85:                               ;   in Loop: Header=BB8_31 Depth=1
	s_wait_alu 0xfffe
	s_or_b32 exec_lo, exec_lo, s10
.LBB8_86:                               ;   in Loop: Header=BB8_31 Depth=1
	s_wait_alu 0xfffe
	s_or_b32 exec_lo, exec_lo, s1
	s_clause 0x1
	global_load_b64 v[33:34], v12, s[34:35] offset:40
	global_load_b128 v[27:30], v12, s[34:35]
	v_readfirstlane_b32 s1, v32
	v_readfirstlane_b32 s10, v31
	s_mov_b32 s11, exec_lo
	s_wait_loadcnt 0x1
	s_wait_alu 0xf1ff
	v_and_b32_e32 v34, s1, v34
	v_and_b32_e32 v33, s10, v33
	s_delay_alu instid0(VALU_DEP_2) | instskip(NEXT) | instid1(VALU_DEP_2)
	v_mul_lo_u32 v11, 24, v34
	v_mul_lo_u32 v31, 0, v33
	v_mul_hi_u32 v32, 24, v33
	v_mul_lo_u32 v36, 24, v33
	s_delay_alu instid0(VALU_DEP_3) | instskip(SKIP_1) | instid1(VALU_DEP_2)
	v_add_nc_u32_e32 v11, v11, v31
	s_wait_loadcnt 0x0
	v_add_co_u32 v31, vcc_lo, v27, v36
	s_delay_alu instid0(VALU_DEP_2) | instskip(SKIP_1) | instid1(VALU_DEP_1)
	v_add_nc_u32_e32 v11, v11, v32
	s_wait_alu 0xfffd
	v_add_co_ci_u32_e32 v32, vcc_lo, v28, v11, vcc_lo
	s_and_saveexec_b32 s16, s0
	s_cbranch_execz .LBB8_88
; %bb.87:                               ;   in Loop: Header=BB8_31 Depth=1
	s_wait_alu 0xfffe
	v_mov_b32_e32 v11, s11
	global_store_b128 v[31:32], v[11:14], off offset:8
.LBB8_88:                               ;   in Loop: Header=BB8_31 Depth=1
	s_wait_alu 0xfffe
	s_or_b32 exec_lo, exec_lo, s16
	v_cmp_gt_u64_e64 vcc_lo, s[4:5], 56
	v_lshlrev_b64_e32 v[33:34], 12, v[33:34]
	v_or_b32_e32 v11, 0, v1
	v_or_b32_e32 v36, v0, v35
	s_lshl_b32 s11, s6, 2
	s_wait_alu 0xfffe
	s_add_co_i32 s11, s11, 28
	s_wait_alu 0xfffd
	v_dual_cndmask_b32 v1, v11, v1 :: v_dual_cndmask_b32 v0, v36, v0
	v_add_co_u32 v29, vcc_lo, v29, v33
	s_wait_alu 0xfffd
	v_add_co_ci_u32_e32 v30, vcc_lo, v30, v34, vcc_lo
	s_wait_alu 0xfffe
	s_and_b32 s11, s11, 0x1e0
	v_readfirstlane_b32 s16, v29
	s_wait_alu 0xfffe
	v_and_or_b32 v0, 0xffffff1f, v0, s11
	v_readfirstlane_b32 s17, v30
	s_clause 0x3
	global_store_b128 v51, v[0:3], s[16:17]
	global_store_b128 v51, v[15:18], s[16:17] offset:16
	global_store_b128 v51, v[19:22], s[16:17] offset:32
	;; [unrolled: 1-line block ×3, first 2 shown]
	s_and_saveexec_b32 s11, s0
	s_cbranch_execz .LBB8_96
; %bb.89:                               ;   in Loop: Header=BB8_31 Depth=1
	s_clause 0x1
	global_load_b64 v[19:20], v12, s[34:35] offset:32 scope:SCOPE_SYS
	global_load_b64 v[0:1], v12, s[34:35] offset:40
	s_mov_b32 s16, exec_lo
	v_dual_mov_b32 v17, s10 :: v_dual_mov_b32 v18, s1
	s_wait_loadcnt 0x0
	v_and_b32_e32 v1, s1, v1
	v_and_b32_e32 v0, s10, v0
	s_delay_alu instid0(VALU_DEP_2) | instskip(NEXT) | instid1(VALU_DEP_2)
	v_mul_lo_u32 v1, 24, v1
	v_mul_lo_u32 v2, 0, v0
	v_mul_hi_u32 v3, 24, v0
	v_mul_lo_u32 v0, 24, v0
	s_delay_alu instid0(VALU_DEP_3) | instskip(NEXT) | instid1(VALU_DEP_2)
	v_add_nc_u32_e32 v1, v1, v2
	v_add_co_u32 v15, vcc_lo, v27, v0
	s_delay_alu instid0(VALU_DEP_2) | instskip(SKIP_1) | instid1(VALU_DEP_1)
	v_add_nc_u32_e32 v1, v1, v3
	s_wait_alu 0xfffd
	v_add_co_ci_u32_e32 v16, vcc_lo, v28, v1, vcc_lo
	global_store_b64 v[15:16], v[19:20], off
	global_wb scope:SCOPE_SYS
	s_wait_storecnt 0x0
	global_atomic_cmpswap_b64 v[2:3], v12, v[17:20], s[34:35] offset:32 th:TH_ATOMIC_RETURN scope:SCOPE_SYS
	s_wait_loadcnt 0x0
	v_cmpx_ne_u64_e64 v[2:3], v[19:20]
	s_cbranch_execz .LBB8_92
; %bb.90:                               ;   in Loop: Header=BB8_31 Depth=1
	s_mov_b32 s17, 0
.LBB8_91:                               ;   Parent Loop BB8_31 Depth=1
                                        ; =>  This Inner Loop Header: Depth=2
	v_dual_mov_b32 v0, s10 :: v_dual_mov_b32 v1, s1
	s_sleep 1
	global_store_b64 v[15:16], v[2:3], off
	global_wb scope:SCOPE_SYS
	s_wait_storecnt 0x0
	global_atomic_cmpswap_b64 v[0:1], v12, v[0:3], s[34:35] offset:32 th:TH_ATOMIC_RETURN scope:SCOPE_SYS
	s_wait_loadcnt 0x0
	v_cmp_eq_u64_e32 vcc_lo, v[0:1], v[2:3]
	v_dual_mov_b32 v3, v1 :: v_dual_mov_b32 v2, v0
	s_wait_alu 0xfffe
	s_or_b32 s17, vcc_lo, s17
	s_wait_alu 0xfffe
	s_and_not1_b32 exec_lo, exec_lo, s17
	s_cbranch_execnz .LBB8_91
.LBB8_92:                               ;   in Loop: Header=BB8_31 Depth=1
	s_wait_alu 0xfffe
	s_or_b32 exec_lo, exec_lo, s16
	global_load_b64 v[0:1], v12, s[34:35] offset:16
	s_mov_b32 s17, exec_lo
	s_mov_b32 s16, exec_lo
	s_wait_alu 0xfffe
	v_mbcnt_lo_u32_b32 v2, s17, 0
	s_delay_alu instid0(VALU_DEP_1)
	v_cmpx_eq_u32_e32 0, v2
	s_cbranch_execz .LBB8_94
; %bb.93:                               ;   in Loop: Header=BB8_31 Depth=1
	s_bcnt1_i32_b32 s17, s17
	s_wait_alu 0xfffe
	v_mov_b32_e32 v11, s17
	global_wb scope:SCOPE_SYS
	s_wait_loadcnt 0x0
	global_atomic_add_u64 v[0:1], v[11:12], off offset:8 scope:SCOPE_SYS
.LBB8_94:                               ;   in Loop: Header=BB8_31 Depth=1
	s_or_b32 exec_lo, exec_lo, s16
	s_wait_loadcnt 0x0
	global_load_b64 v[2:3], v[0:1], off offset:16
	s_wait_loadcnt 0x0
	v_cmp_eq_u64_e32 vcc_lo, 0, v[2:3]
	s_cbranch_vccnz .LBB8_96
; %bb.95:                               ;   in Loop: Header=BB8_31 Depth=1
	global_load_b32 v11, v[0:1], off offset:24
	s_wait_loadcnt 0x0
	v_and_b32_e32 v0, 0xffffff, v11
	global_wb scope:SCOPE_SYS
	s_wait_storecnt 0x0
	global_store_b64 v[2:3], v[11:12], off scope:SCOPE_SYS
	v_readfirstlane_b32 m0, v0
	s_sendmsg sendmsg(MSG_INTERRUPT)
.LBB8_96:                               ;   in Loop: Header=BB8_31 Depth=1
	s_wait_alu 0xfffe
	s_or_b32 exec_lo, exec_lo, s11
	v_add_co_u32 v0, vcc_lo, v29, v51
	s_wait_alu 0xfffd
	v_add_co_ci_u32_e32 v1, vcc_lo, 0, v30, vcc_lo
	s_branch .LBB8_100
.LBB8_97:                               ;   in Loop: Header=BB8_100 Depth=2
	s_wait_alu 0xfffe
	s_or_b32 exec_lo, exec_lo, s11
	s_delay_alu instid0(VALU_DEP_1) | instskip(NEXT) | instid1(VALU_DEP_1)
	v_readfirstlane_b32 s11, v2
	s_cmp_eq_u32 s11, 0
	s_cbranch_scc1 .LBB8_99
; %bb.98:                               ;   in Loop: Header=BB8_100 Depth=2
	s_sleep 1
	s_cbranch_execnz .LBB8_100
	s_branch .LBB8_102
.LBB8_99:                               ;   in Loop: Header=BB8_31 Depth=1
	s_branch .LBB8_102
.LBB8_100:                              ;   Parent Loop BB8_31 Depth=1
                                        ; =>  This Inner Loop Header: Depth=2
	v_mov_b32_e32 v2, 1
	s_and_saveexec_b32 s11, s0
	s_cbranch_execz .LBB8_97
; %bb.101:                              ;   in Loop: Header=BB8_100 Depth=2
	global_load_b32 v2, v[31:32], off offset:20 scope:SCOPE_SYS
	s_wait_loadcnt 0x0
	global_inv scope:SCOPE_SYS
	v_and_b32_e32 v2, 1, v2
	s_branch .LBB8_97
.LBB8_102:                              ;   in Loop: Header=BB8_31 Depth=1
	global_load_b128 v[0:3], v[0:1], off
	s_and_saveexec_b32 s11, s0
	s_cbranch_execz .LBB8_30
; %bb.103:                              ;   in Loop: Header=BB8_31 Depth=1
	s_clause 0x2
	global_load_b64 v[2:3], v12, s[34:35] offset:40
	global_load_b64 v[19:20], v12, s[34:35] offset:24 scope:SCOPE_SYS
	global_load_b64 v[17:18], v12, s[34:35]
	s_wait_loadcnt 0x2
	v_add_co_u32 v11, vcc_lo, v2, 1
	s_wait_alu 0xfffd
	v_add_co_ci_u32_e32 v21, vcc_lo, 0, v3, vcc_lo
	s_delay_alu instid0(VALU_DEP_2) | instskip(SKIP_1) | instid1(VALU_DEP_2)
	v_add_co_u32 v15, vcc_lo, v11, s10
	s_wait_alu 0xfffd
	v_add_co_ci_u32_e32 v16, vcc_lo, s1, v21, vcc_lo
	s_delay_alu instid0(VALU_DEP_1) | instskip(SKIP_2) | instid1(VALU_DEP_1)
	v_cmp_eq_u64_e32 vcc_lo, 0, v[15:16]
	s_wait_alu 0xfffd
	v_dual_cndmask_b32 v16, v16, v21 :: v_dual_cndmask_b32 v15, v15, v11
	v_and_b32_e32 v3, v16, v3
	s_delay_alu instid0(VALU_DEP_2) | instskip(NEXT) | instid1(VALU_DEP_2)
	v_and_b32_e32 v2, v15, v2
	v_mul_lo_u32 v3, 24, v3
	s_delay_alu instid0(VALU_DEP_2) | instskip(SKIP_2) | instid1(VALU_DEP_3)
	v_mul_lo_u32 v11, 0, v2
	v_mul_hi_u32 v21, 24, v2
	v_mul_lo_u32 v2, 24, v2
	v_add_nc_u32_e32 v3, v3, v11
	s_wait_loadcnt 0x0
	s_delay_alu instid0(VALU_DEP_2) | instskip(SKIP_1) | instid1(VALU_DEP_3)
	v_add_co_u32 v2, vcc_lo, v17, v2
	v_mov_b32_e32 v17, v19
	v_add_nc_u32_e32 v3, v3, v21
	s_wait_alu 0xfffd
	s_delay_alu instid0(VALU_DEP_1)
	v_add_co_ci_u32_e32 v3, vcc_lo, v18, v3, vcc_lo
	v_mov_b32_e32 v18, v20
	global_store_b64 v[2:3], v[19:20], off
	global_wb scope:SCOPE_SYS
	s_wait_storecnt 0x0
	global_atomic_cmpswap_b64 v[17:18], v12, v[15:18], s[34:35] offset:24 th:TH_ATOMIC_RETURN scope:SCOPE_SYS
	s_wait_loadcnt 0x0
	v_cmp_ne_u64_e32 vcc_lo, v[17:18], v[19:20]
	s_and_b32 exec_lo, exec_lo, vcc_lo
	s_cbranch_execz .LBB8_30
; %bb.104:                              ;   in Loop: Header=BB8_31 Depth=1
	s_mov_b32 s0, 0
.LBB8_105:                              ;   Parent Loop BB8_31 Depth=1
                                        ; =>  This Inner Loop Header: Depth=2
	s_sleep 1
	global_store_b64 v[2:3], v[17:18], off
	global_wb scope:SCOPE_SYS
	s_wait_storecnt 0x0
	global_atomic_cmpswap_b64 v[19:20], v12, v[15:18], s[34:35] offset:24 th:TH_ATOMIC_RETURN scope:SCOPE_SYS
	s_wait_loadcnt 0x0
	v_cmp_eq_u64_e32 vcc_lo, v[19:20], v[17:18]
	v_dual_mov_b32 v17, v19 :: v_dual_mov_b32 v18, v20
	s_wait_alu 0xfffe
	s_or_b32 s0, vcc_lo, s0
	s_wait_alu 0xfffe
	s_and_not1_b32 exec_lo, exec_lo, s0
	s_cbranch_execnz .LBB8_105
	s_branch .LBB8_30
.LBB8_106:
	s_branch .LBB8_135
.LBB8_107:
                                        ; implicit-def: $vgpr0_vgpr1
	s_cbranch_execz .LBB8_135
; %bb.108:
	v_readfirstlane_b32 s0, v52
	v_mov_b32_e32 v12, 0
	v_mov_b32_e32 v13, 0
	s_wait_alu 0xf1ff
	s_delay_alu instid0(VALU_DEP_3) | instskip(NEXT) | instid1(VALU_DEP_1)
	v_cmp_eq_u32_e64 s0, s0, v52
	s_and_saveexec_b32 s1, s0
	s_cbranch_execz .LBB8_114
; %bb.109:
	s_wait_loadcnt 0x0
	v_mov_b32_e32 v0, 0
	s_mov_b32 s2, exec_lo
	global_load_b64 v[14:15], v0, s[34:35] offset:24 scope:SCOPE_SYS
	s_wait_loadcnt 0x0
	global_inv scope:SCOPE_SYS
	s_clause 0x1
	global_load_b64 v[1:2], v0, s[34:35] offset:40
	global_load_b64 v[11:12], v0, s[34:35]
	s_wait_loadcnt 0x1
	v_and_b32_e32 v1, v1, v14
	v_and_b32_e32 v2, v2, v15
	s_delay_alu instid0(VALU_DEP_2) | instskip(NEXT) | instid1(VALU_DEP_2)
	v_mul_lo_u32 v3, 0, v1
	v_mul_lo_u32 v2, 24, v2
	v_mul_hi_u32 v13, 24, v1
	v_mul_lo_u32 v1, 24, v1
	s_delay_alu instid0(VALU_DEP_3) | instskip(SKIP_1) | instid1(VALU_DEP_2)
	v_add_nc_u32_e32 v2, v2, v3
	s_wait_loadcnt 0x0
	v_add_co_u32 v1, vcc_lo, v11, v1
	s_delay_alu instid0(VALU_DEP_2) | instskip(SKIP_1) | instid1(VALU_DEP_1)
	v_add_nc_u32_e32 v2, v2, v13
	s_wait_alu 0xfffd
	v_add_co_ci_u32_e32 v2, vcc_lo, v12, v2, vcc_lo
	global_load_b64 v[12:13], v[1:2], off scope:SCOPE_SYS
	s_wait_loadcnt 0x0
	global_atomic_cmpswap_b64 v[12:13], v0, v[12:15], s[34:35] offset:24 th:TH_ATOMIC_RETURN scope:SCOPE_SYS
	s_wait_loadcnt 0x0
	global_inv scope:SCOPE_SYS
	v_cmpx_ne_u64_e64 v[12:13], v[14:15]
	s_cbranch_execz .LBB8_113
; %bb.110:
	s_mov_b32 s3, 0
.LBB8_111:                              ; =>This Inner Loop Header: Depth=1
	s_sleep 1
	s_clause 0x1
	global_load_b64 v[1:2], v0, s[34:35] offset:40
	global_load_b64 v[16:17], v0, s[34:35]
	v_dual_mov_b32 v15, v13 :: v_dual_mov_b32 v14, v12
	s_wait_loadcnt 0x1
	s_delay_alu instid0(VALU_DEP_1) | instskip(SKIP_1) | instid1(VALU_DEP_1)
	v_and_b32_e32 v1, v1, v14
	s_wait_loadcnt 0x0
	v_mad_co_u64_u32 v[11:12], null, v1, 24, v[16:17]
	s_delay_alu instid0(VALU_DEP_1) | instskip(NEXT) | instid1(VALU_DEP_1)
	v_dual_mov_b32 v1, v12 :: v_dual_and_b32 v2, v2, v15
	v_mad_co_u64_u32 v[1:2], null, v2, 24, v[1:2]
	s_delay_alu instid0(VALU_DEP_1)
	v_mov_b32_e32 v12, v1
	global_load_b64 v[12:13], v[11:12], off scope:SCOPE_SYS
	s_wait_loadcnt 0x0
	global_atomic_cmpswap_b64 v[12:13], v0, v[12:15], s[34:35] offset:24 th:TH_ATOMIC_RETURN scope:SCOPE_SYS
	s_wait_loadcnt 0x0
	global_inv scope:SCOPE_SYS
	v_cmp_eq_u64_e32 vcc_lo, v[12:13], v[14:15]
	s_wait_alu 0xfffe
	s_or_b32 s3, vcc_lo, s3
	s_wait_alu 0xfffe
	s_and_not1_b32 exec_lo, exec_lo, s3
	s_cbranch_execnz .LBB8_111
; %bb.112:
	s_or_b32 exec_lo, exec_lo, s3
.LBB8_113:
	s_wait_alu 0xfffe
	s_or_b32 exec_lo, exec_lo, s2
.LBB8_114:
	s_wait_alu 0xfffe
	s_or_b32 exec_lo, exec_lo, s1
	v_readfirstlane_b32 s1, v13
	v_mov_b32_e32 v11, 0
	v_readfirstlane_b32 s2, v12
	s_mov_b32 s3, exec_lo
	s_clause 0x1
	global_load_b64 v[14:15], v11, s[34:35] offset:40
	global_load_b128 v[0:3], v11, s[34:35]
	s_wait_loadcnt 0x1
	s_wait_alu 0xf1ff
	v_and_b32_e32 v16, s1, v15
	v_and_b32_e32 v15, s2, v14
	s_delay_alu instid0(VALU_DEP_2) | instskip(NEXT) | instid1(VALU_DEP_2)
	v_mul_lo_u32 v12, 24, v16
	v_mul_lo_u32 v13, 0, v15
	v_mul_hi_u32 v14, 24, v15
	v_mul_lo_u32 v17, 24, v15
	s_delay_alu instid0(VALU_DEP_3) | instskip(SKIP_1) | instid1(VALU_DEP_2)
	v_add_nc_u32_e32 v12, v12, v13
	s_wait_loadcnt 0x0
	v_add_co_u32 v13, vcc_lo, v0, v17
	s_delay_alu instid0(VALU_DEP_2) | instskip(SKIP_1) | instid1(VALU_DEP_1)
	v_add_nc_u32_e32 v12, v12, v14
	s_wait_alu 0xfffd
	v_add_co_ci_u32_e32 v14, vcc_lo, v1, v12, vcc_lo
	s_and_saveexec_b32 s4, s0
	s_cbranch_execz .LBB8_116
; %bb.115:
	s_wait_alu 0xfffe
	v_dual_mov_b32 v17, s3 :: v_dual_mov_b32 v18, v11
	v_dual_mov_b32 v19, 2 :: v_dual_mov_b32 v20, 1
	global_store_b128 v[13:14], v[17:20], off offset:8
.LBB8_116:
	s_wait_alu 0xfffe
	s_or_b32 exec_lo, exec_lo, s4
	v_lshlrev_b64_e32 v[15:16], 12, v[15:16]
	s_mov_b32 s4, 0
	v_and_or_b32 v9, 0xffffff1f, v9, 32
	s_wait_alu 0xfffe
	s_mov_b32 s7, s4
	s_mov_b32 s5, s4
	;; [unrolled: 1-line block ×3, first 2 shown]
	v_add_co_u32 v2, vcc_lo, v2, v15
	s_wait_alu 0xfffd
	v_add_co_ci_u32_e32 v3, vcc_lo, v3, v16, vcc_lo
	v_mov_b32_e32 v12, v11
	s_delay_alu instid0(VALU_DEP_3) | instskip(SKIP_1) | instid1(VALU_DEP_4)
	v_add_co_u32 v15, vcc_lo, v2, v51
	v_readfirstlane_b32 s10, v2
	v_readfirstlane_b32 s11, v3
	s_wait_alu 0xfffe
	v_dual_mov_b32 v20, s7 :: v_dual_mov_b32 v17, s4
	s_wait_alu 0xfffd
	v_add_co_ci_u32_e32 v16, vcc_lo, 0, v3, vcc_lo
	v_dual_mov_b32 v19, s6 :: v_dual_mov_b32 v18, s5
	s_clause 0x3
	global_store_b128 v51, v[9:12], s[10:11]
	global_store_b128 v51, v[17:20], s[10:11] offset:16
	global_store_b128 v51, v[17:20], s[10:11] offset:32
	global_store_b128 v51, v[17:20], s[10:11] offset:48
	s_and_saveexec_b32 s3, s0
	s_cbranch_execz .LBB8_124
; %bb.117:
	v_mov_b32_e32 v11, 0
	v_mov_b32_e32 v17, s2
	s_mov_b32 s4, exec_lo
	s_clause 0x1
	global_load_b64 v[19:20], v11, s[34:35] offset:32 scope:SCOPE_SYS
	global_load_b64 v[2:3], v11, s[34:35] offset:40
	v_mov_b32_e32 v18, s1
	s_wait_loadcnt 0x0
	v_and_b32_e32 v2, s2, v2
	v_and_b32_e32 v3, s1, v3
	s_delay_alu instid0(VALU_DEP_2) | instskip(NEXT) | instid1(VALU_DEP_2)
	v_mul_lo_u32 v9, 0, v2
	v_mul_lo_u32 v3, 24, v3
	v_mul_hi_u32 v10, 24, v2
	v_mul_lo_u32 v2, 24, v2
	s_delay_alu instid0(VALU_DEP_3) | instskip(NEXT) | instid1(VALU_DEP_2)
	v_add_nc_u32_e32 v3, v3, v9
	v_add_co_u32 v9, vcc_lo, v0, v2
	s_delay_alu instid0(VALU_DEP_2) | instskip(SKIP_1) | instid1(VALU_DEP_1)
	v_add_nc_u32_e32 v3, v3, v10
	s_wait_alu 0xfffd
	v_add_co_ci_u32_e32 v10, vcc_lo, v1, v3, vcc_lo
	global_store_b64 v[9:10], v[19:20], off
	global_wb scope:SCOPE_SYS
	s_wait_storecnt 0x0
	global_atomic_cmpswap_b64 v[2:3], v11, v[17:20], s[34:35] offset:32 th:TH_ATOMIC_RETURN scope:SCOPE_SYS
	s_wait_loadcnt 0x0
	v_cmpx_ne_u64_e64 v[2:3], v[19:20]
	s_cbranch_execz .LBB8_120
; %bb.118:
	s_mov_b32 s5, 0
.LBB8_119:                              ; =>This Inner Loop Header: Depth=1
	v_dual_mov_b32 v0, s2 :: v_dual_mov_b32 v1, s1
	s_sleep 1
	global_store_b64 v[9:10], v[2:3], off
	global_wb scope:SCOPE_SYS
	s_wait_storecnt 0x0
	global_atomic_cmpswap_b64 v[0:1], v11, v[0:3], s[34:35] offset:32 th:TH_ATOMIC_RETURN scope:SCOPE_SYS
	s_wait_loadcnt 0x0
	v_cmp_eq_u64_e32 vcc_lo, v[0:1], v[2:3]
	v_dual_mov_b32 v3, v1 :: v_dual_mov_b32 v2, v0
	s_wait_alu 0xfffe
	s_or_b32 s5, vcc_lo, s5
	s_wait_alu 0xfffe
	s_and_not1_b32 exec_lo, exec_lo, s5
	s_cbranch_execnz .LBB8_119
.LBB8_120:
	s_wait_alu 0xfffe
	s_or_b32 exec_lo, exec_lo, s4
	v_mov_b32_e32 v3, 0
	s_mov_b32 s5, exec_lo
	s_mov_b32 s4, exec_lo
	s_wait_alu 0xfffe
	v_mbcnt_lo_u32_b32 v2, s5, 0
	global_load_b64 v[0:1], v3, s[34:35] offset:16
	v_cmpx_eq_u32_e32 0, v2
	s_cbranch_execz .LBB8_122
; %bb.121:
	s_bcnt1_i32_b32 s5, s5
	s_wait_alu 0xfffe
	v_mov_b32_e32 v2, s5
	global_wb scope:SCOPE_SYS
	s_wait_loadcnt 0x0
	global_atomic_add_u64 v[0:1], v[2:3], off offset:8 scope:SCOPE_SYS
.LBB8_122:
	s_or_b32 exec_lo, exec_lo, s4
	s_wait_loadcnt 0x0
	global_load_b64 v[2:3], v[0:1], off offset:16
	s_wait_loadcnt 0x0
	v_cmp_eq_u64_e32 vcc_lo, 0, v[2:3]
	s_cbranch_vccnz .LBB8_124
; %bb.123:
	global_load_b32 v0, v[0:1], off offset:24
	v_mov_b32_e32 v1, 0
	s_wait_loadcnt 0x0
	v_and_b32_e32 v9, 0xffffff, v0
	global_wb scope:SCOPE_SYS
	s_wait_storecnt 0x0
	global_store_b64 v[2:3], v[0:1], off scope:SCOPE_SYS
	v_readfirstlane_b32 m0, v9
	s_sendmsg sendmsg(MSG_INTERRUPT)
.LBB8_124:
	s_wait_alu 0xfffe
	s_or_b32 exec_lo, exec_lo, s3
	s_branch .LBB8_128
.LBB8_125:                              ;   in Loop: Header=BB8_128 Depth=1
	s_wait_alu 0xfffe
	s_or_b32 exec_lo, exec_lo, s3
	s_delay_alu instid0(VALU_DEP_1) | instskip(NEXT) | instid1(VALU_DEP_1)
	v_readfirstlane_b32 s3, v0
	s_cmp_eq_u32 s3, 0
	s_cbranch_scc1 .LBB8_127
; %bb.126:                              ;   in Loop: Header=BB8_128 Depth=1
	s_sleep 1
	s_cbranch_execnz .LBB8_128
	s_branch .LBB8_130
.LBB8_127:
	s_branch .LBB8_130
.LBB8_128:                              ; =>This Inner Loop Header: Depth=1
	v_mov_b32_e32 v0, 1
	s_and_saveexec_b32 s3, s0
	s_cbranch_execz .LBB8_125
; %bb.129:                              ;   in Loop: Header=BB8_128 Depth=1
	global_load_b32 v0, v[13:14], off offset:20 scope:SCOPE_SYS
	s_wait_loadcnt 0x0
	global_inv scope:SCOPE_SYS
	v_and_b32_e32 v0, 1, v0
	s_branch .LBB8_125
.LBB8_130:
	global_load_b64 v[0:1], v[15:16], off
	s_and_saveexec_b32 s3, s0
	s_cbranch_execz .LBB8_134
; %bb.131:
	v_mov_b32_e32 v13, 0
	s_clause 0x2
	global_load_b64 v[2:3], v13, s[34:35] offset:40
	global_load_b64 v[14:15], v13, s[34:35] offset:24 scope:SCOPE_SYS
	global_load_b64 v[11:12], v13, s[34:35]
	s_wait_loadcnt 0x2
	v_add_co_u32 v16, vcc_lo, v2, 1
	s_wait_alu 0xfffd
	v_add_co_ci_u32_e32 v17, vcc_lo, 0, v3, vcc_lo
	s_delay_alu instid0(VALU_DEP_2) | instskip(SKIP_1) | instid1(VALU_DEP_2)
	v_add_co_u32 v9, vcc_lo, v16, s2
	s_wait_alu 0xfffd
	v_add_co_ci_u32_e32 v10, vcc_lo, s1, v17, vcc_lo
	s_delay_alu instid0(VALU_DEP_1) | instskip(SKIP_2) | instid1(VALU_DEP_1)
	v_cmp_eq_u64_e32 vcc_lo, 0, v[9:10]
	s_wait_alu 0xfffd
	v_dual_cndmask_b32 v10, v10, v17 :: v_dual_cndmask_b32 v9, v9, v16
	v_and_b32_e32 v3, v10, v3
	s_delay_alu instid0(VALU_DEP_2) | instskip(NEXT) | instid1(VALU_DEP_2)
	v_and_b32_e32 v2, v9, v2
	v_mul_lo_u32 v3, 24, v3
	s_delay_alu instid0(VALU_DEP_2) | instskip(SKIP_2) | instid1(VALU_DEP_3)
	v_mul_lo_u32 v16, 0, v2
	v_mul_hi_u32 v17, 24, v2
	v_mul_lo_u32 v2, 24, v2
	v_add_nc_u32_e32 v3, v3, v16
	s_wait_loadcnt 0x0
	s_delay_alu instid0(VALU_DEP_2) | instskip(SKIP_1) | instid1(VALU_DEP_3)
	v_add_co_u32 v2, vcc_lo, v11, v2
	v_mov_b32_e32 v11, v14
	v_add_nc_u32_e32 v3, v3, v17
	s_wait_alu 0xfffd
	s_delay_alu instid0(VALU_DEP_1)
	v_add_co_ci_u32_e32 v3, vcc_lo, v12, v3, vcc_lo
	v_mov_b32_e32 v12, v15
	global_store_b64 v[2:3], v[14:15], off
	global_wb scope:SCOPE_SYS
	s_wait_storecnt 0x0
	global_atomic_cmpswap_b64 v[11:12], v13, v[9:12], s[34:35] offset:24 th:TH_ATOMIC_RETURN scope:SCOPE_SYS
	s_wait_loadcnt 0x0
	v_cmp_ne_u64_e32 vcc_lo, v[11:12], v[14:15]
	s_and_b32 exec_lo, exec_lo, vcc_lo
	s_cbranch_execz .LBB8_134
; %bb.132:
	s_mov_b32 s0, 0
.LBB8_133:                              ; =>This Inner Loop Header: Depth=1
	s_sleep 1
	global_store_b64 v[2:3], v[11:12], off
	global_wb scope:SCOPE_SYS
	s_wait_storecnt 0x0
	global_atomic_cmpswap_b64 v[14:15], v13, v[9:12], s[34:35] offset:24 th:TH_ATOMIC_RETURN scope:SCOPE_SYS
	s_wait_loadcnt 0x0
	v_cmp_eq_u64_e32 vcc_lo, v[14:15], v[11:12]
	v_dual_mov_b32 v11, v14 :: v_dual_mov_b32 v12, v15
	s_wait_alu 0xfffe
	s_or_b32 s0, vcc_lo, s0
	s_wait_alu 0xfffe
	s_and_not1_b32 exec_lo, exec_lo, s0
	s_cbranch_execnz .LBB8_133
.LBB8_134:
	s_wait_alu 0xfffe
	s_or_b32 exec_lo, exec_lo, s3
.LBB8_135:
	v_cmp_ne_u64_e32 vcc_lo, 0, v[6:7]
	v_mov_b32_e32 v29, 0
	v_mov_b32_e32 v30, 0
	s_and_saveexec_b32 s1, vcc_lo
	s_cbranch_execnz .LBB8_138
; %bb.136:
	s_wait_alu 0xfffe
	s_or_b32 exec_lo, exec_lo, s1
	s_and_saveexec_b32 s0, vcc_lo
	s_wait_alu 0xfffe
	s_xor_b32 s4, exec_lo, s0
	s_cbranch_execnz .LBB8_141
.LBB8_137:
	s_wait_alu 0xfffe
	s_and_not1_saveexec_b32 s1, s4
	s_cbranch_execnz .LBB8_226
	s_branch .LBB8_253
.LBB8_138:
	s_wait_loadcnt 0x0
	v_add_co_u32 v2, s0, v6, -1
	s_wait_alu 0xf1ff
	v_add_co_ci_u32_e64 v3, s0, -1, v7, s0
	s_mov_b32 s2, 0
.LBB8_139:                              ; =>This Inner Loop Header: Depth=1
	flat_load_u8 v11, v[2:3] offset:1
	v_add_co_u32 v9, s0, v2, 1
	s_wait_alu 0xf1ff
	v_add_co_ci_u32_e64 v10, s0, 0, v3, s0
	s_delay_alu instid0(VALU_DEP_1) | instskip(SKIP_3) | instid1(VALU_DEP_1)
	v_dual_mov_b32 v2, v9 :: v_dual_mov_b32 v3, v10
	s_wait_loadcnt_dscnt 0x0
	v_cmp_eq_u16_e64 s0, 0, v11
	s_wait_alu 0xfffe
	s_or_b32 s2, s0, s2
	s_wait_alu 0xfffe
	s_and_not1_b32 exec_lo, exec_lo, s2
	s_cbranch_execnz .LBB8_139
; %bb.140:
	s_or_b32 exec_lo, exec_lo, s2
	v_sub_co_u32 v2, s0, v9, v6
	s_wait_alu 0xf1ff
	v_sub_co_ci_u32_e64 v3, s0, v10, v7, s0
	s_delay_alu instid0(VALU_DEP_2) | instskip(SKIP_1) | instid1(VALU_DEP_2)
	v_add_co_u32 v29, s0, v2, 1
	s_wait_alu 0xf1ff
	v_add_co_ci_u32_e64 v30, s0, 0, v3, s0
	s_or_b32 exec_lo, exec_lo, s1
	s_and_saveexec_b32 s0, vcc_lo
	s_wait_alu 0xfffe
	s_xor_b32 s4, exec_lo, s0
	s_cbranch_execz .LBB8_137
.LBB8_141:
	s_wait_loadcnt 0x0
	v_dual_mov_b32 v11, 2 :: v_dual_and_b32 v0, -3, v0
	v_mov_b32_e32 v10, 0
	v_mov_b32_e32 v12, 1
	s_mov_b32 s6, 0
	s_mov_b32 s5, 0
	s_branch .LBB8_143
.LBB8_142:                              ;   in Loop: Header=BB8_143 Depth=1
	s_wait_alu 0xfffe
	s_or_b32 exec_lo, exec_lo, s3
	v_sub_co_u32 v29, vcc_lo, v29, v31
	s_wait_alu 0xfffd
	v_sub_co_ci_u32_e32 v30, vcc_lo, v30, v32, vcc_lo
	v_add_co_u32 v6, s0, v6, v31
	s_wait_alu 0xf1ff
	v_add_co_ci_u32_e64 v7, s0, v7, v32, s0
	s_delay_alu instid0(VALU_DEP_3)
	v_cmp_eq_u64_e32 vcc_lo, 0, v[29:30]
	s_or_b32 s5, vcc_lo, s5
	s_wait_alu 0xfffe
	s_and_not1_b32 exec_lo, exec_lo, s5
	s_cbranch_execz .LBB8_225
.LBB8_143:                              ; =>This Loop Header: Depth=1
                                        ;     Child Loop BB8_146 Depth 2
                                        ;     Child Loop BB8_154 Depth 2
                                        ;     Child Loop BB8_162 Depth 2
                                        ;     Child Loop BB8_170 Depth 2
                                        ;     Child Loop BB8_178 Depth 2
                                        ;     Child Loop BB8_186 Depth 2
                                        ;     Child Loop BB8_194 Depth 2
                                        ;     Child Loop BB8_202 Depth 2
                                        ;     Child Loop BB8_210 Depth 2
                                        ;     Child Loop BB8_219 Depth 2
                                        ;     Child Loop BB8_224 Depth 2
	v_cmp_gt_u64_e32 vcc_lo, 56, v[29:30]
	s_mov_b32 s1, exec_lo
                                        ; implicit-def: $sgpr2
	s_wait_alu 0xfffd
	v_dual_cndmask_b32 v32, 0, v30 :: v_dual_cndmask_b32 v31, 56, v29
	v_cmpx_gt_u64_e32 8, v[29:30]
	s_wait_alu 0xfffe
	s_xor_b32 s1, exec_lo, s1
	s_cbranch_execz .LBB8_149
; %bb.144:                              ;   in Loop: Header=BB8_143 Depth=1
	s_wait_loadcnt 0x0
	v_mov_b32_e32 v2, 0
	v_mov_b32_e32 v3, 0
	s_mov_b64 s[2:3], 0
	s_mov_b32 s7, exec_lo
	v_cmpx_ne_u64_e32 0, v[29:30]
	s_cbranch_execz .LBB8_148
; %bb.145:                              ;   in Loop: Header=BB8_143 Depth=1
	v_lshlrev_b64_e32 v[13:14], 3, v[31:32]
	v_dual_mov_b32 v2, 0 :: v_dual_mov_b32 v15, v7
	v_dual_mov_b32 v3, 0 :: v_dual_mov_b32 v14, v6
	s_mov_b32 s10, 0
.LBB8_146:                              ;   Parent Loop BB8_143 Depth=1
                                        ; =>  This Inner Loop Header: Depth=2
	flat_load_u8 v9, v[14:15]
	v_mov_b32_e32 v17, s6
	v_add_co_u32 v14, vcc_lo, v14, 1
	s_wait_alu 0xfffd
	v_add_co_ci_u32_e32 v15, vcc_lo, 0, v15, vcc_lo
	s_wait_loadcnt_dscnt 0x0
	v_and_b32_e32 v16, 0xffff, v9
	s_wait_alu 0xfffe
	s_delay_alu instid0(VALU_DEP_1) | instskip(SKIP_3) | instid1(VALU_DEP_2)
	v_lshlrev_b64_e32 v[16:17], s2, v[16:17]
	s_add_nc_u64 s[2:3], s[2:3], 8
	s_wait_alu 0xfffe
	v_cmp_eq_u32_e64 s0, s2, v13
	v_or_b32_e32 v3, v17, v3
	s_delay_alu instid0(VALU_DEP_3) | instskip(NEXT) | instid1(VALU_DEP_3)
	v_or_b32_e32 v2, v16, v2
	s_or_b32 s10, s0, s10
	s_wait_alu 0xfffe
	s_and_not1_b32 exec_lo, exec_lo, s10
	s_cbranch_execnz .LBB8_146
; %bb.147:                              ;   in Loop: Header=BB8_143 Depth=1
	s_or_b32 exec_lo, exec_lo, s10
.LBB8_148:                              ;   in Loop: Header=BB8_143 Depth=1
	s_wait_alu 0xfffe
	s_or_b32 exec_lo, exec_lo, s7
	s_mov_b32 s2, 0
.LBB8_149:                              ;   in Loop: Header=BB8_143 Depth=1
	s_wait_alu 0xfffe
	s_or_saveexec_b32 s0, s1
	v_dual_mov_b32 v9, s2 :: v_dual_mov_b32 v26, v7
	v_mov_b32_e32 v25, v6
	s_wait_alu 0xfffe
	s_xor_b32 exec_lo, exec_lo, s0
	s_cbranch_execz .LBB8_151
; %bb.150:                              ;   in Loop: Header=BB8_143 Depth=1
	s_wait_loadcnt 0x0
	flat_load_b64 v[2:3], v[6:7]
	v_add_co_u32 v25, vcc_lo, v6, 8
	s_wait_alu 0xfffd
	v_add_co_ci_u32_e32 v26, vcc_lo, 0, v7, vcc_lo
	s_wait_loadcnt_dscnt 0x0
	v_and_b32_e32 v9, 0xff, v3
	v_and_b32_e32 v13, 0xff00, v3
	;; [unrolled: 1-line block ×4, first 2 shown]
	v_or3_b32 v2, v2, 0, 0
	s_delay_alu instid0(VALU_DEP_4) | instskip(SKIP_1) | instid1(VALU_DEP_2)
	v_or_b32_e32 v13, v9, v13
	v_add_nc_u32_e32 v9, -8, v31
	v_or3_b32 v3, v13, v14, v3
.LBB8_151:                              ;   in Loop: Header=BB8_143 Depth=1
	s_or_b32 exec_lo, exec_lo, s0
                                        ; implicit-def: $vgpr13_vgpr14
                                        ; implicit-def: $sgpr1
	s_delay_alu instid0(SALU_CYCLE_1) | instskip(NEXT) | instid1(VALU_DEP_2)
	s_mov_b32 s0, exec_lo
	v_cmpx_gt_u32_e32 8, v9
	s_wait_alu 0xfffe
	s_xor_b32 s7, exec_lo, s0
	s_cbranch_execz .LBB8_157
; %bb.152:                              ;   in Loop: Header=BB8_143 Depth=1
	v_mov_b32_e32 v13, 0
	v_mov_b32_e32 v14, 0
	s_mov_b32 s10, exec_lo
	v_cmpx_ne_u32_e32 0, v9
	s_cbranch_execz .LBB8_156
; %bb.153:                              ;   in Loop: Header=BB8_143 Depth=1
	v_mov_b32_e32 v13, 0
	v_mov_b32_e32 v14, 0
	s_mov_b64 s[0:1], 0
	s_mov_b32 s11, 0
	s_mov_b64 s[2:3], 0
.LBB8_154:                              ;   Parent Loop BB8_143 Depth=1
                                        ; =>  This Inner Loop Header: Depth=2
	s_wait_alu 0xfffe
	v_add_co_u32 v15, vcc_lo, v25, s2
	s_wait_alu 0xfffd
	v_add_co_ci_u32_e32 v16, vcc_lo, s3, v26, vcc_lo
	s_add_nc_u64 s[2:3], s[2:3], 1
	s_wait_alu 0xfffe
	v_cmp_eq_u32_e32 vcc_lo, s2, v9
	flat_load_u8 v15, v[15:16]
	v_mov_b32_e32 v16, s6
	s_or_b32 s11, vcc_lo, s11
	s_wait_loadcnt_dscnt 0x0
	v_and_b32_e32 v15, 0xffff, v15
	s_delay_alu instid0(VALU_DEP_1) | instskip(SKIP_1) | instid1(VALU_DEP_1)
	v_lshlrev_b64_e32 v[15:16], s0, v[15:16]
	s_add_nc_u64 s[0:1], s[0:1], 8
	v_or_b32_e32 v14, v16, v14
	s_delay_alu instid0(VALU_DEP_2)
	v_or_b32_e32 v13, v15, v13
	s_wait_alu 0xfffe
	s_and_not1_b32 exec_lo, exec_lo, s11
	s_cbranch_execnz .LBB8_154
; %bb.155:                              ;   in Loop: Header=BB8_143 Depth=1
	s_or_b32 exec_lo, exec_lo, s11
.LBB8_156:                              ;   in Loop: Header=BB8_143 Depth=1
	s_wait_alu 0xfffe
	s_or_b32 exec_lo, exec_lo, s10
	s_mov_b32 s1, 0
                                        ; implicit-def: $vgpr9
.LBB8_157:                              ;   in Loop: Header=BB8_143 Depth=1
	s_wait_alu 0xfffe
	s_or_saveexec_b32 s0, s7
	v_mov_b32_e32 v17, s1
	s_wait_alu 0xfffe
	s_xor_b32 exec_lo, exec_lo, s0
	s_cbranch_execz .LBB8_159
; %bb.158:                              ;   in Loop: Header=BB8_143 Depth=1
	flat_load_b64 v[13:14], v[25:26]
	v_add_co_u32 v25, vcc_lo, v25, 8
	v_add_nc_u32_e32 v17, -8, v9
	s_wait_alu 0xfffd
	v_add_co_ci_u32_e32 v26, vcc_lo, 0, v26, vcc_lo
	s_wait_loadcnt_dscnt 0x0
	v_and_b32_e32 v15, 0xff, v14
	v_and_b32_e32 v16, 0xff00, v14
	;; [unrolled: 1-line block ×4, first 2 shown]
	v_or3_b32 v13, v13, 0, 0
	s_delay_alu instid0(VALU_DEP_4) | instskip(NEXT) | instid1(VALU_DEP_1)
	v_or_b32_e32 v15, v15, v16
	v_or3_b32 v14, v15, v18, v14
.LBB8_159:                              ;   in Loop: Header=BB8_143 Depth=1
	s_or_b32 exec_lo, exec_lo, s0
                                        ; implicit-def: $sgpr1
	s_delay_alu instid0(SALU_CYCLE_1)
	s_mov_b32 s0, exec_lo
	v_cmpx_gt_u32_e32 8, v17
	s_wait_alu 0xfffe
	s_xor_b32 s7, exec_lo, s0
	s_cbranch_execz .LBB8_165
; %bb.160:                              ;   in Loop: Header=BB8_143 Depth=1
	v_mov_b32_e32 v15, 0
	v_mov_b32_e32 v16, 0
	s_mov_b32 s10, exec_lo
	v_cmpx_ne_u32_e32 0, v17
	s_cbranch_execz .LBB8_164
; %bb.161:                              ;   in Loop: Header=BB8_143 Depth=1
	v_mov_b32_e32 v15, 0
	v_mov_b32_e32 v16, 0
	s_mov_b64 s[0:1], 0
	s_mov_b32 s11, 0
	s_mov_b64 s[2:3], 0
.LBB8_162:                              ;   Parent Loop BB8_143 Depth=1
                                        ; =>  This Inner Loop Header: Depth=2
	s_wait_alu 0xfffe
	v_add_co_u32 v18, vcc_lo, v25, s2
	s_wait_alu 0xfffd
	v_add_co_ci_u32_e32 v19, vcc_lo, s3, v26, vcc_lo
	s_add_nc_u64 s[2:3], s[2:3], 1
	s_wait_alu 0xfffe
	v_cmp_eq_u32_e32 vcc_lo, s2, v17
	flat_load_u8 v9, v[18:19]
	v_mov_b32_e32 v19, s6
	s_or_b32 s11, vcc_lo, s11
	s_wait_loadcnt_dscnt 0x0
	v_and_b32_e32 v18, 0xffff, v9
	s_delay_alu instid0(VALU_DEP_1) | instskip(SKIP_1) | instid1(VALU_DEP_1)
	v_lshlrev_b64_e32 v[18:19], s0, v[18:19]
	s_add_nc_u64 s[0:1], s[0:1], 8
	v_or_b32_e32 v16, v19, v16
	s_delay_alu instid0(VALU_DEP_2)
	v_or_b32_e32 v15, v18, v15
	s_wait_alu 0xfffe
	s_and_not1_b32 exec_lo, exec_lo, s11
	s_cbranch_execnz .LBB8_162
; %bb.163:                              ;   in Loop: Header=BB8_143 Depth=1
	s_or_b32 exec_lo, exec_lo, s11
.LBB8_164:                              ;   in Loop: Header=BB8_143 Depth=1
	s_wait_alu 0xfffe
	s_or_b32 exec_lo, exec_lo, s10
	s_mov_b32 s1, 0
                                        ; implicit-def: $vgpr17
.LBB8_165:                              ;   in Loop: Header=BB8_143 Depth=1
	s_wait_alu 0xfffe
	s_or_saveexec_b32 s0, s7
	v_mov_b32_e32 v9, s1
	s_wait_alu 0xfffe
	s_xor_b32 exec_lo, exec_lo, s0
	s_cbranch_execz .LBB8_167
; %bb.166:                              ;   in Loop: Header=BB8_143 Depth=1
	flat_load_b64 v[15:16], v[25:26]
	v_add_co_u32 v25, vcc_lo, v25, 8
	s_wait_alu 0xfffd
	v_add_co_ci_u32_e32 v26, vcc_lo, 0, v26, vcc_lo
	s_wait_loadcnt_dscnt 0x0
	v_and_b32_e32 v9, 0xff, v16
	v_and_b32_e32 v18, 0xff00, v16
	v_and_b32_e32 v19, 0xff0000, v16
	v_and_b32_e32 v16, 0xff000000, v16
	v_or3_b32 v15, v15, 0, 0
	s_delay_alu instid0(VALU_DEP_4) | instskip(SKIP_1) | instid1(VALU_DEP_2)
	v_or_b32_e32 v18, v9, v18
	v_add_nc_u32_e32 v9, -8, v17
	v_or3_b32 v16, v18, v19, v16
.LBB8_167:                              ;   in Loop: Header=BB8_143 Depth=1
	s_or_b32 exec_lo, exec_lo, s0
                                        ; implicit-def: $vgpr17_vgpr18
                                        ; implicit-def: $sgpr1
	s_delay_alu instid0(SALU_CYCLE_1) | instskip(NEXT) | instid1(VALU_DEP_1)
	s_mov_b32 s0, exec_lo
	v_cmpx_gt_u32_e32 8, v9
	s_wait_alu 0xfffe
	s_xor_b32 s7, exec_lo, s0
	s_cbranch_execz .LBB8_173
; %bb.168:                              ;   in Loop: Header=BB8_143 Depth=1
	v_mov_b32_e32 v17, 0
	v_mov_b32_e32 v18, 0
	s_mov_b32 s10, exec_lo
	v_cmpx_ne_u32_e32 0, v9
	s_cbranch_execz .LBB8_172
; %bb.169:                              ;   in Loop: Header=BB8_143 Depth=1
	v_mov_b32_e32 v17, 0
	v_mov_b32_e32 v18, 0
	s_mov_b64 s[0:1], 0
	s_mov_b32 s11, 0
	s_mov_b64 s[2:3], 0
.LBB8_170:                              ;   Parent Loop BB8_143 Depth=1
                                        ; =>  This Inner Loop Header: Depth=2
	s_wait_alu 0xfffe
	v_add_co_u32 v19, vcc_lo, v25, s2
	s_wait_alu 0xfffd
	v_add_co_ci_u32_e32 v20, vcc_lo, s3, v26, vcc_lo
	s_add_nc_u64 s[2:3], s[2:3], 1
	s_wait_alu 0xfffe
	v_cmp_eq_u32_e32 vcc_lo, s2, v9
	flat_load_u8 v19, v[19:20]
	v_mov_b32_e32 v20, s6
	s_or_b32 s11, vcc_lo, s11
	s_wait_loadcnt_dscnt 0x0
	v_and_b32_e32 v19, 0xffff, v19
	s_delay_alu instid0(VALU_DEP_1) | instskip(SKIP_1) | instid1(VALU_DEP_1)
	v_lshlrev_b64_e32 v[19:20], s0, v[19:20]
	s_add_nc_u64 s[0:1], s[0:1], 8
	v_or_b32_e32 v18, v20, v18
	s_delay_alu instid0(VALU_DEP_2)
	v_or_b32_e32 v17, v19, v17
	s_wait_alu 0xfffe
	s_and_not1_b32 exec_lo, exec_lo, s11
	s_cbranch_execnz .LBB8_170
; %bb.171:                              ;   in Loop: Header=BB8_143 Depth=1
	s_or_b32 exec_lo, exec_lo, s11
.LBB8_172:                              ;   in Loop: Header=BB8_143 Depth=1
	s_wait_alu 0xfffe
	s_or_b32 exec_lo, exec_lo, s10
	s_mov_b32 s1, 0
                                        ; implicit-def: $vgpr9
.LBB8_173:                              ;   in Loop: Header=BB8_143 Depth=1
	s_wait_alu 0xfffe
	s_or_saveexec_b32 s0, s7
	v_mov_b32_e32 v21, s1
	s_wait_alu 0xfffe
	s_xor_b32 exec_lo, exec_lo, s0
	s_cbranch_execz .LBB8_175
; %bb.174:                              ;   in Loop: Header=BB8_143 Depth=1
	flat_load_b64 v[17:18], v[25:26]
	v_add_co_u32 v25, vcc_lo, v25, 8
	v_add_nc_u32_e32 v21, -8, v9
	s_wait_alu 0xfffd
	v_add_co_ci_u32_e32 v26, vcc_lo, 0, v26, vcc_lo
	s_wait_loadcnt_dscnt 0x0
	v_and_b32_e32 v19, 0xff, v18
	v_and_b32_e32 v20, 0xff00, v18
	v_and_b32_e32 v22, 0xff0000, v18
	v_and_b32_e32 v18, 0xff000000, v18
	v_or3_b32 v17, v17, 0, 0
	s_delay_alu instid0(VALU_DEP_4) | instskip(NEXT) | instid1(VALU_DEP_1)
	v_or_b32_e32 v19, v19, v20
	v_or3_b32 v18, v19, v22, v18
.LBB8_175:                              ;   in Loop: Header=BB8_143 Depth=1
	s_or_b32 exec_lo, exec_lo, s0
                                        ; implicit-def: $sgpr1
	s_delay_alu instid0(SALU_CYCLE_1)
	s_mov_b32 s0, exec_lo
	v_cmpx_gt_u32_e32 8, v21
	s_wait_alu 0xfffe
	s_xor_b32 s7, exec_lo, s0
	s_cbranch_execz .LBB8_181
; %bb.176:                              ;   in Loop: Header=BB8_143 Depth=1
	v_mov_b32_e32 v19, 0
	v_mov_b32_e32 v20, 0
	s_mov_b32 s10, exec_lo
	v_cmpx_ne_u32_e32 0, v21
	s_cbranch_execz .LBB8_180
; %bb.177:                              ;   in Loop: Header=BB8_143 Depth=1
	v_mov_b32_e32 v19, 0
	v_mov_b32_e32 v20, 0
	s_mov_b64 s[0:1], 0
	s_mov_b32 s11, 0
	s_mov_b64 s[2:3], 0
.LBB8_178:                              ;   Parent Loop BB8_143 Depth=1
                                        ; =>  This Inner Loop Header: Depth=2
	s_wait_alu 0xfffe
	v_add_co_u32 v22, vcc_lo, v25, s2
	s_wait_alu 0xfffd
	v_add_co_ci_u32_e32 v23, vcc_lo, s3, v26, vcc_lo
	s_add_nc_u64 s[2:3], s[2:3], 1
	s_wait_alu 0xfffe
	v_cmp_eq_u32_e32 vcc_lo, s2, v21
	flat_load_u8 v9, v[22:23]
	v_mov_b32_e32 v23, s6
	s_or_b32 s11, vcc_lo, s11
	s_wait_loadcnt_dscnt 0x0
	v_and_b32_e32 v22, 0xffff, v9
	s_delay_alu instid0(VALU_DEP_1) | instskip(SKIP_1) | instid1(VALU_DEP_1)
	v_lshlrev_b64_e32 v[22:23], s0, v[22:23]
	s_add_nc_u64 s[0:1], s[0:1], 8
	v_or_b32_e32 v20, v23, v20
	s_delay_alu instid0(VALU_DEP_2)
	v_or_b32_e32 v19, v22, v19
	s_wait_alu 0xfffe
	s_and_not1_b32 exec_lo, exec_lo, s11
	s_cbranch_execnz .LBB8_178
; %bb.179:                              ;   in Loop: Header=BB8_143 Depth=1
	s_or_b32 exec_lo, exec_lo, s11
.LBB8_180:                              ;   in Loop: Header=BB8_143 Depth=1
	s_wait_alu 0xfffe
	s_or_b32 exec_lo, exec_lo, s10
	s_mov_b32 s1, 0
                                        ; implicit-def: $vgpr21
.LBB8_181:                              ;   in Loop: Header=BB8_143 Depth=1
	s_wait_alu 0xfffe
	s_or_saveexec_b32 s0, s7
	v_mov_b32_e32 v9, s1
	s_wait_alu 0xfffe
	s_xor_b32 exec_lo, exec_lo, s0
	s_cbranch_execz .LBB8_183
; %bb.182:                              ;   in Loop: Header=BB8_143 Depth=1
	flat_load_b64 v[19:20], v[25:26]
	v_add_co_u32 v25, vcc_lo, v25, 8
	s_wait_alu 0xfffd
	v_add_co_ci_u32_e32 v26, vcc_lo, 0, v26, vcc_lo
	s_wait_loadcnt_dscnt 0x0
	v_and_b32_e32 v9, 0xff, v20
	v_and_b32_e32 v22, 0xff00, v20
	;; [unrolled: 1-line block ×4, first 2 shown]
	v_or3_b32 v19, v19, 0, 0
	s_delay_alu instid0(VALU_DEP_4) | instskip(SKIP_1) | instid1(VALU_DEP_2)
	v_or_b32_e32 v22, v9, v22
	v_add_nc_u32_e32 v9, -8, v21
	v_or3_b32 v20, v22, v23, v20
.LBB8_183:                              ;   in Loop: Header=BB8_143 Depth=1
	s_or_b32 exec_lo, exec_lo, s0
                                        ; implicit-def: $vgpr21_vgpr22
                                        ; implicit-def: $sgpr1
	s_delay_alu instid0(SALU_CYCLE_1) | instskip(NEXT) | instid1(VALU_DEP_1)
	s_mov_b32 s0, exec_lo
	v_cmpx_gt_u32_e32 8, v9
	s_wait_alu 0xfffe
	s_xor_b32 s7, exec_lo, s0
	s_cbranch_execz .LBB8_189
; %bb.184:                              ;   in Loop: Header=BB8_143 Depth=1
	v_mov_b32_e32 v21, 0
	v_mov_b32_e32 v22, 0
	s_mov_b32 s10, exec_lo
	v_cmpx_ne_u32_e32 0, v9
	s_cbranch_execz .LBB8_188
; %bb.185:                              ;   in Loop: Header=BB8_143 Depth=1
	v_mov_b32_e32 v21, 0
	v_mov_b32_e32 v22, 0
	s_mov_b64 s[0:1], 0
	s_mov_b32 s11, 0
	s_mov_b64 s[2:3], 0
.LBB8_186:                              ;   Parent Loop BB8_143 Depth=1
                                        ; =>  This Inner Loop Header: Depth=2
	s_wait_alu 0xfffe
	v_add_co_u32 v23, vcc_lo, v25, s2
	s_wait_alu 0xfffd
	v_add_co_ci_u32_e32 v24, vcc_lo, s3, v26, vcc_lo
	s_add_nc_u64 s[2:3], s[2:3], 1
	s_wait_alu 0xfffe
	v_cmp_eq_u32_e32 vcc_lo, s2, v9
	flat_load_u8 v23, v[23:24]
	v_mov_b32_e32 v24, s6
	s_or_b32 s11, vcc_lo, s11
	s_wait_loadcnt_dscnt 0x0
	v_and_b32_e32 v23, 0xffff, v23
	s_delay_alu instid0(VALU_DEP_1) | instskip(SKIP_1) | instid1(VALU_DEP_1)
	v_lshlrev_b64_e32 v[23:24], s0, v[23:24]
	s_add_nc_u64 s[0:1], s[0:1], 8
	v_or_b32_e32 v22, v24, v22
	s_delay_alu instid0(VALU_DEP_2)
	v_or_b32_e32 v21, v23, v21
	s_wait_alu 0xfffe
	s_and_not1_b32 exec_lo, exec_lo, s11
	s_cbranch_execnz .LBB8_186
; %bb.187:                              ;   in Loop: Header=BB8_143 Depth=1
	s_or_b32 exec_lo, exec_lo, s11
.LBB8_188:                              ;   in Loop: Header=BB8_143 Depth=1
	s_wait_alu 0xfffe
	s_or_b32 exec_lo, exec_lo, s10
	s_mov_b32 s1, 0
                                        ; implicit-def: $vgpr9
.LBB8_189:                              ;   in Loop: Header=BB8_143 Depth=1
	s_wait_alu 0xfffe
	s_or_saveexec_b32 s0, s7
	v_mov_b32_e32 v27, s1
	s_wait_alu 0xfffe
	s_xor_b32 exec_lo, exec_lo, s0
	s_cbranch_execz .LBB8_191
; %bb.190:                              ;   in Loop: Header=BB8_143 Depth=1
	flat_load_b64 v[21:22], v[25:26]
	v_add_co_u32 v25, vcc_lo, v25, 8
	v_add_nc_u32_e32 v27, -8, v9
	s_wait_alu 0xfffd
	v_add_co_ci_u32_e32 v26, vcc_lo, 0, v26, vcc_lo
	s_wait_loadcnt_dscnt 0x0
	v_and_b32_e32 v23, 0xff, v22
	v_and_b32_e32 v24, 0xff00, v22
	;; [unrolled: 1-line block ×4, first 2 shown]
	v_or3_b32 v21, v21, 0, 0
	s_delay_alu instid0(VALU_DEP_4) | instskip(NEXT) | instid1(VALU_DEP_1)
	v_or_b32_e32 v23, v23, v24
	v_or3_b32 v22, v23, v28, v22
.LBB8_191:                              ;   in Loop: Header=BB8_143 Depth=1
	s_or_b32 exec_lo, exec_lo, s0
	s_delay_alu instid0(SALU_CYCLE_1)
	s_mov_b32 s0, exec_lo
	v_cmpx_gt_u32_e32 8, v27
	s_wait_alu 0xfffe
	s_xor_b32 s1, exec_lo, s0
	s_cbranch_execz .LBB8_197
; %bb.192:                              ;   in Loop: Header=BB8_143 Depth=1
	v_mov_b32_e32 v23, 0
	v_mov_b32_e32 v24, 0
	s_mov_b32 s7, exec_lo
	v_cmpx_ne_u32_e32 0, v27
	s_cbranch_execz .LBB8_196
; %bb.193:                              ;   in Loop: Header=BB8_143 Depth=1
	v_mov_b32_e32 v23, 0
	v_mov_b32_e32 v24, 0
	s_mov_b64 s[2:3], 0
	s_mov_b32 s10, 0
.LBB8_194:                              ;   Parent Loop BB8_143 Depth=1
                                        ; =>  This Inner Loop Header: Depth=2
	flat_load_u8 v9, v[25:26]
	v_dual_mov_b32 v34, s6 :: v_dual_add_nc_u32 v27, -1, v27
	v_add_co_u32 v25, vcc_lo, v25, 1
	s_wait_alu 0xfffd
	v_add_co_ci_u32_e32 v26, vcc_lo, 0, v26, vcc_lo
	s_delay_alu instid0(VALU_DEP_3) | instskip(SKIP_1) | instid1(VALU_DEP_1)
	v_cmp_eq_u32_e64 s0, 0, v27
	s_wait_alu 0xfffe
	s_or_b32 s10, s0, s10
	s_wait_loadcnt_dscnt 0x0
	v_and_b32_e32 v33, 0xffff, v9
	s_delay_alu instid0(VALU_DEP_1) | instskip(SKIP_1) | instid1(VALU_DEP_1)
	v_lshlrev_b64_e32 v[33:34], s2, v[33:34]
	s_add_nc_u64 s[2:3], s[2:3], 8
	v_or_b32_e32 v24, v34, v24
	s_delay_alu instid0(VALU_DEP_2)
	v_or_b32_e32 v23, v33, v23
	s_wait_alu 0xfffe
	s_and_not1_b32 exec_lo, exec_lo, s10
	s_cbranch_execnz .LBB8_194
; %bb.195:                              ;   in Loop: Header=BB8_143 Depth=1
	s_or_b32 exec_lo, exec_lo, s10
.LBB8_196:                              ;   in Loop: Header=BB8_143 Depth=1
	s_wait_alu 0xfffe
	s_or_b32 exec_lo, exec_lo, s7
                                        ; implicit-def: $vgpr25_vgpr26
.LBB8_197:                              ;   in Loop: Header=BB8_143 Depth=1
	s_wait_alu 0xfffe
	s_and_not1_saveexec_b32 s0, s1
	s_cbranch_execz .LBB8_199
; %bb.198:                              ;   in Loop: Header=BB8_143 Depth=1
	flat_load_b64 v[23:24], v[25:26]
	s_wait_loadcnt_dscnt 0x0
	v_and_b32_e32 v9, 0xff, v24
	v_and_b32_e32 v25, 0xff00, v24
	;; [unrolled: 1-line block ×4, first 2 shown]
	v_or3_b32 v23, v23, 0, 0
	s_delay_alu instid0(VALU_DEP_4) | instskip(NEXT) | instid1(VALU_DEP_1)
	v_or_b32_e32 v9, v9, v25
	v_or3_b32 v24, v9, v26, v24
.LBB8_199:                              ;   in Loop: Header=BB8_143 Depth=1
	s_wait_alu 0xfffe
	s_or_b32 exec_lo, exec_lo, s0
	v_readfirstlane_b32 s0, v52
	v_mov_b32_e32 v33, 0
	v_mov_b32_e32 v34, 0
	s_wait_alu 0xf1ff
	s_delay_alu instid0(VALU_DEP_3) | instskip(NEXT) | instid1(VALU_DEP_1)
	v_cmp_eq_u32_e64 s0, s0, v52
	s_and_saveexec_b32 s1, s0
	s_cbranch_execz .LBB8_205
; %bb.200:                              ;   in Loop: Header=BB8_143 Depth=1
	global_load_b64 v[27:28], v10, s[34:35] offset:24 scope:SCOPE_SYS
	s_wait_loadcnt 0x0
	global_inv scope:SCOPE_SYS
	s_clause 0x1
	global_load_b64 v[25:26], v10, s[34:35] offset:40
	global_load_b64 v[33:34], v10, s[34:35]
	s_mov_b32 s2, exec_lo
	s_wait_loadcnt 0x1
	v_and_b32_e32 v9, v26, v28
	v_and_b32_e32 v25, v25, v27
	s_delay_alu instid0(VALU_DEP_2) | instskip(NEXT) | instid1(VALU_DEP_2)
	v_mul_lo_u32 v9, 24, v9
	v_mul_lo_u32 v26, 0, v25
	v_mul_hi_u32 v35, 24, v25
	v_mul_lo_u32 v25, 24, v25
	s_delay_alu instid0(VALU_DEP_3) | instskip(SKIP_1) | instid1(VALU_DEP_2)
	v_add_nc_u32_e32 v9, v9, v26
	s_wait_loadcnt 0x0
	v_add_co_u32 v25, vcc_lo, v33, v25
	s_delay_alu instid0(VALU_DEP_2) | instskip(SKIP_1) | instid1(VALU_DEP_1)
	v_add_nc_u32_e32 v9, v9, v35
	s_wait_alu 0xfffd
	v_add_co_ci_u32_e32 v26, vcc_lo, v34, v9, vcc_lo
	global_load_b64 v[25:26], v[25:26], off scope:SCOPE_SYS
	s_wait_loadcnt 0x0
	global_atomic_cmpswap_b64 v[33:34], v10, v[25:28], s[34:35] offset:24 th:TH_ATOMIC_RETURN scope:SCOPE_SYS
	s_wait_loadcnt 0x0
	global_inv scope:SCOPE_SYS
	v_cmpx_ne_u64_e64 v[33:34], v[27:28]
	s_cbranch_execz .LBB8_204
; %bb.201:                              ;   in Loop: Header=BB8_143 Depth=1
	s_mov_b32 s3, 0
.LBB8_202:                              ;   Parent Loop BB8_143 Depth=1
                                        ; =>  This Inner Loop Header: Depth=2
	s_sleep 1
	s_clause 0x1
	global_load_b64 v[25:26], v10, s[34:35] offset:40
	global_load_b64 v[35:36], v10, s[34:35]
	v_dual_mov_b32 v27, v33 :: v_dual_mov_b32 v28, v34
	s_wait_loadcnt 0x1
	s_delay_alu instid0(VALU_DEP_1) | instskip(NEXT) | instid1(VALU_DEP_2)
	v_and_b32_e32 v9, v25, v27
	v_and_b32_e32 v25, v26, v28
	s_wait_loadcnt 0x0
	s_delay_alu instid0(VALU_DEP_2) | instskip(NEXT) | instid1(VALU_DEP_1)
	v_mad_co_u64_u32 v[33:34], null, v9, 24, v[35:36]
	v_mov_b32_e32 v9, v34
	s_delay_alu instid0(VALU_DEP_1) | instskip(NEXT) | instid1(VALU_DEP_1)
	v_mad_co_u64_u32 v[25:26], null, v25, 24, v[9:10]
	v_mov_b32_e32 v34, v25
	global_load_b64 v[25:26], v[33:34], off scope:SCOPE_SYS
	s_wait_loadcnt 0x0
	global_atomic_cmpswap_b64 v[33:34], v10, v[25:28], s[34:35] offset:24 th:TH_ATOMIC_RETURN scope:SCOPE_SYS
	s_wait_loadcnt 0x0
	global_inv scope:SCOPE_SYS
	v_cmp_eq_u64_e32 vcc_lo, v[33:34], v[27:28]
	s_wait_alu 0xfffe
	s_or_b32 s3, vcc_lo, s3
	s_wait_alu 0xfffe
	s_and_not1_b32 exec_lo, exec_lo, s3
	s_cbranch_execnz .LBB8_202
; %bb.203:                              ;   in Loop: Header=BB8_143 Depth=1
	s_or_b32 exec_lo, exec_lo, s3
.LBB8_204:                              ;   in Loop: Header=BB8_143 Depth=1
	s_wait_alu 0xfffe
	s_or_b32 exec_lo, exec_lo, s2
.LBB8_205:                              ;   in Loop: Header=BB8_143 Depth=1
	s_wait_alu 0xfffe
	s_or_b32 exec_lo, exec_lo, s1
	s_clause 0x1
	global_load_b64 v[35:36], v10, s[34:35] offset:40
	global_load_b128 v[25:28], v10, s[34:35]
	v_readfirstlane_b32 s1, v34
	v_readfirstlane_b32 s2, v33
	s_mov_b32 s3, exec_lo
	s_wait_loadcnt 0x1
	s_wait_alu 0xf1ff
	v_and_b32_e32 v36, s1, v36
	v_and_b32_e32 v35, s2, v35
	s_delay_alu instid0(VALU_DEP_2) | instskip(NEXT) | instid1(VALU_DEP_2)
	v_mul_lo_u32 v9, 24, v36
	v_mul_lo_u32 v33, 0, v35
	v_mul_hi_u32 v34, 24, v35
	v_mul_lo_u32 v39, 24, v35
	s_delay_alu instid0(VALU_DEP_3) | instskip(SKIP_1) | instid1(VALU_DEP_2)
	v_add_nc_u32_e32 v9, v9, v33
	s_wait_loadcnt 0x0
	v_add_co_u32 v33, vcc_lo, v25, v39
	s_delay_alu instid0(VALU_DEP_2) | instskip(SKIP_1) | instid1(VALU_DEP_1)
	v_add_nc_u32_e32 v9, v9, v34
	s_wait_alu 0xfffd
	v_add_co_ci_u32_e32 v34, vcc_lo, v26, v9, vcc_lo
	s_and_saveexec_b32 s7, s0
	s_cbranch_execz .LBB8_207
; %bb.206:                              ;   in Loop: Header=BB8_143 Depth=1
	s_wait_alu 0xfffe
	v_mov_b32_e32 v9, s3
	global_store_b128 v[33:34], v[9:12], off offset:8
.LBB8_207:                              ;   in Loop: Header=BB8_143 Depth=1
	s_wait_alu 0xfffe
	s_or_b32 exec_lo, exec_lo, s7
	v_lshlrev_b64_e32 v[35:36], 12, v[35:36]
	v_cmp_lt_u64_e32 vcc_lo, 56, v[29:30]
	v_or_b32_e32 v9, 2, v0
	v_lshl_add_u32 v39, v31, 2, 28
	s_wait_alu 0xfffd
	s_delay_alu instid0(VALU_DEP_1) | instskip(SKIP_3) | instid1(VALU_DEP_3)
	v_dual_cndmask_b32 v0, v9, v0 :: v_dual_and_b32 v9, 0x1e0, v39
	v_add_co_u32 v27, vcc_lo, v27, v35
	s_wait_alu 0xfffd
	v_add_co_ci_u32_e32 v28, vcc_lo, v28, v36, vcc_lo
	v_and_or_b32 v0, 0xffffff1f, v0, v9
	s_delay_alu instid0(VALU_DEP_3) | instskip(NEXT) | instid1(VALU_DEP_3)
	v_readfirstlane_b32 s10, v27
	v_readfirstlane_b32 s11, v28
	s_clause 0x3
	global_store_b128 v51, v[0:3], s[10:11]
	global_store_b128 v51, v[13:16], s[10:11] offset:16
	global_store_b128 v51, v[17:20], s[10:11] offset:32
	;; [unrolled: 1-line block ×3, first 2 shown]
	s_and_saveexec_b32 s3, s0
	s_cbranch_execz .LBB8_215
; %bb.208:                              ;   in Loop: Header=BB8_143 Depth=1
	s_clause 0x1
	global_load_b64 v[17:18], v10, s[34:35] offset:32 scope:SCOPE_SYS
	global_load_b64 v[0:1], v10, s[34:35] offset:40
	s_mov_b32 s7, exec_lo
	v_dual_mov_b32 v15, s2 :: v_dual_mov_b32 v16, s1
	s_wait_loadcnt 0x0
	v_and_b32_e32 v1, s1, v1
	v_and_b32_e32 v0, s2, v0
	s_delay_alu instid0(VALU_DEP_2) | instskip(NEXT) | instid1(VALU_DEP_2)
	v_mul_lo_u32 v1, 24, v1
	v_mul_lo_u32 v2, 0, v0
	v_mul_hi_u32 v3, 24, v0
	v_mul_lo_u32 v0, 24, v0
	s_delay_alu instid0(VALU_DEP_3) | instskip(NEXT) | instid1(VALU_DEP_2)
	v_add_nc_u32_e32 v1, v1, v2
	v_add_co_u32 v13, vcc_lo, v25, v0
	s_delay_alu instid0(VALU_DEP_2) | instskip(SKIP_1) | instid1(VALU_DEP_1)
	v_add_nc_u32_e32 v1, v1, v3
	s_wait_alu 0xfffd
	v_add_co_ci_u32_e32 v14, vcc_lo, v26, v1, vcc_lo
	global_store_b64 v[13:14], v[17:18], off
	global_wb scope:SCOPE_SYS
	s_wait_storecnt 0x0
	global_atomic_cmpswap_b64 v[2:3], v10, v[15:18], s[34:35] offset:32 th:TH_ATOMIC_RETURN scope:SCOPE_SYS
	s_wait_loadcnt 0x0
	v_cmpx_ne_u64_e64 v[2:3], v[17:18]
	s_cbranch_execz .LBB8_211
; %bb.209:                              ;   in Loop: Header=BB8_143 Depth=1
	s_mov_b32 s10, 0
.LBB8_210:                              ;   Parent Loop BB8_143 Depth=1
                                        ; =>  This Inner Loop Header: Depth=2
	v_dual_mov_b32 v0, s2 :: v_dual_mov_b32 v1, s1
	s_sleep 1
	global_store_b64 v[13:14], v[2:3], off
	global_wb scope:SCOPE_SYS
	s_wait_storecnt 0x0
	global_atomic_cmpswap_b64 v[0:1], v10, v[0:3], s[34:35] offset:32 th:TH_ATOMIC_RETURN scope:SCOPE_SYS
	s_wait_loadcnt 0x0
	v_cmp_eq_u64_e32 vcc_lo, v[0:1], v[2:3]
	v_dual_mov_b32 v3, v1 :: v_dual_mov_b32 v2, v0
	s_wait_alu 0xfffe
	s_or_b32 s10, vcc_lo, s10
	s_wait_alu 0xfffe
	s_and_not1_b32 exec_lo, exec_lo, s10
	s_cbranch_execnz .LBB8_210
.LBB8_211:                              ;   in Loop: Header=BB8_143 Depth=1
	s_wait_alu 0xfffe
	s_or_b32 exec_lo, exec_lo, s7
	global_load_b64 v[0:1], v10, s[34:35] offset:16
	s_mov_b32 s10, exec_lo
	s_mov_b32 s7, exec_lo
	s_wait_alu 0xfffe
	v_mbcnt_lo_u32_b32 v2, s10, 0
	s_delay_alu instid0(VALU_DEP_1)
	v_cmpx_eq_u32_e32 0, v2
	s_cbranch_execz .LBB8_213
; %bb.212:                              ;   in Loop: Header=BB8_143 Depth=1
	s_bcnt1_i32_b32 s10, s10
	s_wait_alu 0xfffe
	v_mov_b32_e32 v9, s10
	global_wb scope:SCOPE_SYS
	s_wait_loadcnt 0x0
	global_atomic_add_u64 v[0:1], v[9:10], off offset:8 scope:SCOPE_SYS
.LBB8_213:                              ;   in Loop: Header=BB8_143 Depth=1
	s_or_b32 exec_lo, exec_lo, s7
	s_wait_loadcnt 0x0
	global_load_b64 v[2:3], v[0:1], off offset:16
	s_wait_loadcnt 0x0
	v_cmp_eq_u64_e32 vcc_lo, 0, v[2:3]
	s_cbranch_vccnz .LBB8_215
; %bb.214:                              ;   in Loop: Header=BB8_143 Depth=1
	global_load_b32 v9, v[0:1], off offset:24
	s_wait_loadcnt 0x0
	v_and_b32_e32 v0, 0xffffff, v9
	global_wb scope:SCOPE_SYS
	s_wait_storecnt 0x0
	global_store_b64 v[2:3], v[9:10], off scope:SCOPE_SYS
	v_readfirstlane_b32 m0, v0
	s_sendmsg sendmsg(MSG_INTERRUPT)
.LBB8_215:                              ;   in Loop: Header=BB8_143 Depth=1
	s_wait_alu 0xfffe
	s_or_b32 exec_lo, exec_lo, s3
	v_add_co_u32 v0, vcc_lo, v27, v51
	s_wait_alu 0xfffd
	v_add_co_ci_u32_e32 v1, vcc_lo, 0, v28, vcc_lo
	s_branch .LBB8_219
.LBB8_216:                              ;   in Loop: Header=BB8_219 Depth=2
	s_wait_alu 0xfffe
	s_or_b32 exec_lo, exec_lo, s3
	s_delay_alu instid0(VALU_DEP_1) | instskip(NEXT) | instid1(VALU_DEP_1)
	v_readfirstlane_b32 s3, v2
	s_cmp_eq_u32 s3, 0
	s_cbranch_scc1 .LBB8_218
; %bb.217:                              ;   in Loop: Header=BB8_219 Depth=2
	s_sleep 1
	s_cbranch_execnz .LBB8_219
	s_branch .LBB8_221
.LBB8_218:                              ;   in Loop: Header=BB8_143 Depth=1
	s_branch .LBB8_221
.LBB8_219:                              ;   Parent Loop BB8_143 Depth=1
                                        ; =>  This Inner Loop Header: Depth=2
	v_mov_b32_e32 v2, 1
	s_and_saveexec_b32 s3, s0
	s_cbranch_execz .LBB8_216
; %bb.220:                              ;   in Loop: Header=BB8_219 Depth=2
	global_load_b32 v2, v[33:34], off offset:20 scope:SCOPE_SYS
	s_wait_loadcnt 0x0
	global_inv scope:SCOPE_SYS
	v_and_b32_e32 v2, 1, v2
	s_branch .LBB8_216
.LBB8_221:                              ;   in Loop: Header=BB8_143 Depth=1
	global_load_b128 v[0:3], v[0:1], off
	s_and_saveexec_b32 s3, s0
	s_cbranch_execz .LBB8_142
; %bb.222:                              ;   in Loop: Header=BB8_143 Depth=1
	s_clause 0x2
	global_load_b64 v[2:3], v10, s[34:35] offset:40
	global_load_b64 v[17:18], v10, s[34:35] offset:24 scope:SCOPE_SYS
	global_load_b64 v[15:16], v10, s[34:35]
	s_wait_loadcnt 0x2
	v_add_co_u32 v9, vcc_lo, v2, 1
	s_wait_alu 0xfffd
	v_add_co_ci_u32_e32 v19, vcc_lo, 0, v3, vcc_lo
	s_delay_alu instid0(VALU_DEP_2) | instskip(SKIP_1) | instid1(VALU_DEP_2)
	v_add_co_u32 v13, vcc_lo, v9, s2
	s_wait_alu 0xfffd
	v_add_co_ci_u32_e32 v14, vcc_lo, s1, v19, vcc_lo
	s_delay_alu instid0(VALU_DEP_1) | instskip(SKIP_2) | instid1(VALU_DEP_1)
	v_cmp_eq_u64_e32 vcc_lo, 0, v[13:14]
	s_wait_alu 0xfffd
	v_dual_cndmask_b32 v14, v14, v19 :: v_dual_cndmask_b32 v13, v13, v9
	v_and_b32_e32 v3, v14, v3
	s_delay_alu instid0(VALU_DEP_2) | instskip(NEXT) | instid1(VALU_DEP_2)
	v_and_b32_e32 v2, v13, v2
	v_mul_lo_u32 v3, 24, v3
	s_delay_alu instid0(VALU_DEP_2) | instskip(SKIP_2) | instid1(VALU_DEP_3)
	v_mul_lo_u32 v9, 0, v2
	v_mul_hi_u32 v19, 24, v2
	v_mul_lo_u32 v2, 24, v2
	v_add_nc_u32_e32 v3, v3, v9
	s_wait_loadcnt 0x0
	s_delay_alu instid0(VALU_DEP_2) | instskip(SKIP_1) | instid1(VALU_DEP_3)
	v_add_co_u32 v2, vcc_lo, v15, v2
	v_mov_b32_e32 v15, v17
	v_add_nc_u32_e32 v3, v3, v19
	s_wait_alu 0xfffd
	s_delay_alu instid0(VALU_DEP_1)
	v_add_co_ci_u32_e32 v3, vcc_lo, v16, v3, vcc_lo
	v_mov_b32_e32 v16, v18
	global_store_b64 v[2:3], v[17:18], off
	global_wb scope:SCOPE_SYS
	s_wait_storecnt 0x0
	global_atomic_cmpswap_b64 v[15:16], v10, v[13:16], s[34:35] offset:24 th:TH_ATOMIC_RETURN scope:SCOPE_SYS
	s_wait_loadcnt 0x0
	v_cmp_ne_u64_e32 vcc_lo, v[15:16], v[17:18]
	s_and_b32 exec_lo, exec_lo, vcc_lo
	s_cbranch_execz .LBB8_142
; %bb.223:                              ;   in Loop: Header=BB8_143 Depth=1
	s_mov_b32 s0, 0
.LBB8_224:                              ;   Parent Loop BB8_143 Depth=1
                                        ; =>  This Inner Loop Header: Depth=2
	s_sleep 1
	global_store_b64 v[2:3], v[15:16], off
	global_wb scope:SCOPE_SYS
	s_wait_storecnt 0x0
	global_atomic_cmpswap_b64 v[17:18], v10, v[13:16], s[34:35] offset:24 th:TH_ATOMIC_RETURN scope:SCOPE_SYS
	s_wait_loadcnt 0x0
	v_cmp_eq_u64_e32 vcc_lo, v[17:18], v[15:16]
	v_dual_mov_b32 v15, v17 :: v_dual_mov_b32 v16, v18
	s_wait_alu 0xfffe
	s_or_b32 s0, vcc_lo, s0
	s_wait_alu 0xfffe
	s_and_not1_b32 exec_lo, exec_lo, s0
	s_cbranch_execnz .LBB8_224
	s_branch .LBB8_142
.LBB8_225:
	s_or_b32 exec_lo, exec_lo, s5
                                        ; implicit-def: $vgpr0_vgpr1
	s_and_not1_saveexec_b32 s1, s4
	s_cbranch_execz .LBB8_253
.LBB8_226:
	v_readfirstlane_b32 s0, v52
	v_mov_b32_e32 v6, 0
	v_mov_b32_e32 v7, 0
	s_wait_alu 0xf1ff
	s_delay_alu instid0(VALU_DEP_3) | instskip(NEXT) | instid1(VALU_DEP_1)
	v_cmp_eq_u32_e64 s0, s0, v52
	s_and_saveexec_b32 s2, s0
	s_cbranch_execz .LBB8_232
; %bb.227:
	s_wait_loadcnt 0x0
	v_mov_b32_e32 v2, 0
	s_mov_b32 s3, exec_lo
	global_load_b64 v[11:12], v2, s[34:35] offset:24 scope:SCOPE_SYS
	s_wait_loadcnt 0x0
	global_inv scope:SCOPE_SYS
	s_clause 0x1
	global_load_b64 v[6:7], v2, s[34:35] offset:40
	global_load_b64 v[9:10], v2, s[34:35]
	s_wait_loadcnt 0x1
	v_and_b32_e32 v3, v7, v12
	v_and_b32_e32 v6, v6, v11
	s_delay_alu instid0(VALU_DEP_2) | instskip(NEXT) | instid1(VALU_DEP_2)
	v_mul_lo_u32 v3, 24, v3
	v_mul_lo_u32 v7, 0, v6
	v_mul_hi_u32 v13, 24, v6
	v_mul_lo_u32 v6, 24, v6
	s_delay_alu instid0(VALU_DEP_3) | instskip(SKIP_1) | instid1(VALU_DEP_2)
	v_add_nc_u32_e32 v3, v3, v7
	s_wait_loadcnt 0x0
	v_add_co_u32 v6, vcc_lo, v9, v6
	s_delay_alu instid0(VALU_DEP_2) | instskip(SKIP_1) | instid1(VALU_DEP_1)
	v_add_nc_u32_e32 v3, v3, v13
	s_wait_alu 0xfffd
	v_add_co_ci_u32_e32 v7, vcc_lo, v10, v3, vcc_lo
	global_load_b64 v[9:10], v[6:7], off scope:SCOPE_SYS
	s_wait_loadcnt 0x0
	global_atomic_cmpswap_b64 v[6:7], v2, v[9:12], s[34:35] offset:24 th:TH_ATOMIC_RETURN scope:SCOPE_SYS
	s_wait_loadcnt 0x0
	global_inv scope:SCOPE_SYS
	v_cmpx_ne_u64_e64 v[6:7], v[11:12]
	s_cbranch_execz .LBB8_231
; %bb.228:
	s_mov_b32 s4, 0
.LBB8_229:                              ; =>This Inner Loop Header: Depth=1
	s_sleep 1
	s_clause 0x1
	global_load_b64 v[9:10], v2, s[34:35] offset:40
	global_load_b64 v[13:14], v2, s[34:35]
	v_dual_mov_b32 v12, v7 :: v_dual_mov_b32 v11, v6
	s_wait_loadcnt 0x1
	s_delay_alu instid0(VALU_DEP_1) | instskip(NEXT) | instid1(VALU_DEP_2)
	v_and_b32_e32 v3, v9, v11
	v_and_b32_e32 v9, v10, v12
	s_wait_loadcnt 0x0
	s_delay_alu instid0(VALU_DEP_2) | instskip(NEXT) | instid1(VALU_DEP_1)
	v_mad_co_u64_u32 v[6:7], null, v3, 24, v[13:14]
	v_mov_b32_e32 v3, v7
	s_delay_alu instid0(VALU_DEP_1) | instskip(NEXT) | instid1(VALU_DEP_1)
	v_mad_co_u64_u32 v[9:10], null, v9, 24, v[3:4]
	v_mov_b32_e32 v7, v9
	global_load_b64 v[9:10], v[6:7], off scope:SCOPE_SYS
	s_wait_loadcnt 0x0
	global_atomic_cmpswap_b64 v[6:7], v2, v[9:12], s[34:35] offset:24 th:TH_ATOMIC_RETURN scope:SCOPE_SYS
	s_wait_loadcnt 0x0
	global_inv scope:SCOPE_SYS
	v_cmp_eq_u64_e32 vcc_lo, v[6:7], v[11:12]
	s_wait_alu 0xfffe
	s_or_b32 s4, vcc_lo, s4
	s_wait_alu 0xfffe
	s_and_not1_b32 exec_lo, exec_lo, s4
	s_cbranch_execnz .LBB8_229
; %bb.230:
	s_or_b32 exec_lo, exec_lo, s4
.LBB8_231:
	s_wait_alu 0xfffe
	s_or_b32 exec_lo, exec_lo, s3
.LBB8_232:
	s_wait_alu 0xfffe
	s_or_b32 exec_lo, exec_lo, s2
	v_readfirstlane_b32 s3, v6
	s_wait_loadcnt 0x0
	v_mov_b32_e32 v2, 0
	v_readfirstlane_b32 s2, v7
	s_mov_b32 s4, exec_lo
	s_clause 0x1
	global_load_b64 v[13:14], v2, s[34:35] offset:40
	global_load_b128 v[9:12], v2, s[34:35]
	s_wait_loadcnt 0x1
	s_wait_alu 0xf1ff
	v_and_b32_e32 v13, s3, v13
	v_and_b32_e32 v14, s2, v14
	s_delay_alu instid0(VALU_DEP_2) | instskip(NEXT) | instid1(VALU_DEP_2)
	v_mul_lo_u32 v6, 0, v13
	v_mul_lo_u32 v3, 24, v14
	v_mul_hi_u32 v7, 24, v13
	v_mul_lo_u32 v15, 24, v13
	s_delay_alu instid0(VALU_DEP_3) | instskip(SKIP_1) | instid1(VALU_DEP_2)
	v_add_nc_u32_e32 v3, v3, v6
	s_wait_loadcnt 0x0
	v_add_co_u32 v6, vcc_lo, v9, v15
	s_delay_alu instid0(VALU_DEP_2) | instskip(SKIP_1) | instid1(VALU_DEP_1)
	v_add_nc_u32_e32 v3, v3, v7
	s_wait_alu 0xfffd
	v_add_co_ci_u32_e32 v7, vcc_lo, v10, v3, vcc_lo
	s_and_saveexec_b32 s5, s0
	s_cbranch_execz .LBB8_234
; %bb.233:
	s_wait_alu 0xfffe
	v_dual_mov_b32 v15, s4 :: v_dual_mov_b32 v16, v2
	v_dual_mov_b32 v17, 2 :: v_dual_mov_b32 v18, 1
	global_store_b128 v[6:7], v[15:18], off offset:8
.LBB8_234:
	s_wait_alu 0xfffe
	s_or_b32 exec_lo, exec_lo, s5
	v_lshlrev_b64_e32 v[13:14], 12, v[13:14]
	s_mov_b32 s4, 0
	v_and_or_b32 v0, 0xffffff1d, v0, 34
	s_wait_alu 0xfffe
	s_mov_b32 s7, s4
	s_mov_b32 s5, s4
	;; [unrolled: 1-line block ×3, first 2 shown]
	v_add_co_u32 v11, vcc_lo, v11, v13
	s_wait_alu 0xfffd
	v_add_co_ci_u32_e32 v12, vcc_lo, v12, v14, vcc_lo
	v_mov_b32_e32 v3, v2
	s_delay_alu instid0(VALU_DEP_3) | instskip(NEXT) | instid1(VALU_DEP_3)
	v_readfirstlane_b32 s10, v11
	v_readfirstlane_b32 s11, v12
	s_wait_alu 0xfffe
	v_dual_mov_b32 v14, s7 :: v_dual_mov_b32 v13, s6
	v_dual_mov_b32 v12, s5 :: v_dual_mov_b32 v11, s4
	s_clause 0x3
	global_store_b128 v51, v[0:3], s[10:11]
	global_store_b128 v51, v[11:14], s[10:11] offset:16
	global_store_b128 v51, v[11:14], s[10:11] offset:32
	;; [unrolled: 1-line block ×3, first 2 shown]
	s_and_saveexec_b32 s4, s0
	s_cbranch_execz .LBB8_242
; %bb.235:
	v_mov_b32_e32 v11, 0
	v_mov_b32_e32 v13, s2
	s_mov_b32 s5, exec_lo
	s_clause 0x1
	global_load_b64 v[14:15], v11, s[34:35] offset:32 scope:SCOPE_SYS
	global_load_b64 v[0:1], v11, s[34:35] offset:40
	v_mov_b32_e32 v12, s3
	s_wait_loadcnt 0x0
	v_and_b32_e32 v0, s3, v0
	v_and_b32_e32 v1, s2, v1
	s_delay_alu instid0(VALU_DEP_2) | instskip(NEXT) | instid1(VALU_DEP_2)
	v_mul_lo_u32 v2, 0, v0
	v_mul_lo_u32 v1, 24, v1
	v_mul_hi_u32 v3, 24, v0
	v_mul_lo_u32 v0, 24, v0
	s_delay_alu instid0(VALU_DEP_3) | instskip(NEXT) | instid1(VALU_DEP_2)
	v_add_nc_u32_e32 v1, v1, v2
	v_add_co_u32 v9, vcc_lo, v9, v0
	s_delay_alu instid0(VALU_DEP_2) | instskip(SKIP_1) | instid1(VALU_DEP_1)
	v_add_nc_u32_e32 v1, v1, v3
	s_wait_alu 0xfffd
	v_add_co_ci_u32_e32 v10, vcc_lo, v10, v1, vcc_lo
	global_store_b64 v[9:10], v[14:15], off
	global_wb scope:SCOPE_SYS
	s_wait_storecnt 0x0
	global_atomic_cmpswap_b64 v[2:3], v11, v[12:15], s[34:35] offset:32 th:TH_ATOMIC_RETURN scope:SCOPE_SYS
	s_wait_loadcnt 0x0
	v_cmpx_ne_u64_e64 v[2:3], v[14:15]
	s_cbranch_execz .LBB8_238
; %bb.236:
	s_mov_b32 s6, 0
.LBB8_237:                              ; =>This Inner Loop Header: Depth=1
	v_dual_mov_b32 v0, s3 :: v_dual_mov_b32 v1, s2
	s_sleep 1
	global_store_b64 v[9:10], v[2:3], off
	global_wb scope:SCOPE_SYS
	s_wait_storecnt 0x0
	global_atomic_cmpswap_b64 v[0:1], v11, v[0:3], s[34:35] offset:32 th:TH_ATOMIC_RETURN scope:SCOPE_SYS
	s_wait_loadcnt 0x0
	v_cmp_eq_u64_e32 vcc_lo, v[0:1], v[2:3]
	v_dual_mov_b32 v3, v1 :: v_dual_mov_b32 v2, v0
	s_wait_alu 0xfffe
	s_or_b32 s6, vcc_lo, s6
	s_wait_alu 0xfffe
	s_and_not1_b32 exec_lo, exec_lo, s6
	s_cbranch_execnz .LBB8_237
.LBB8_238:
	s_wait_alu 0xfffe
	s_or_b32 exec_lo, exec_lo, s5
	v_mov_b32_e32 v3, 0
	s_mov_b32 s6, exec_lo
	s_mov_b32 s5, exec_lo
	s_wait_alu 0xfffe
	v_mbcnt_lo_u32_b32 v2, s6, 0
	global_load_b64 v[0:1], v3, s[34:35] offset:16
	v_cmpx_eq_u32_e32 0, v2
	s_cbranch_execz .LBB8_240
; %bb.239:
	s_bcnt1_i32_b32 s6, s6
	s_wait_alu 0xfffe
	v_mov_b32_e32 v2, s6
	global_wb scope:SCOPE_SYS
	s_wait_loadcnt 0x0
	global_atomic_add_u64 v[0:1], v[2:3], off offset:8 scope:SCOPE_SYS
.LBB8_240:
	s_or_b32 exec_lo, exec_lo, s5
	s_wait_loadcnt 0x0
	global_load_b64 v[2:3], v[0:1], off offset:16
	s_wait_loadcnt 0x0
	v_cmp_eq_u64_e32 vcc_lo, 0, v[2:3]
	s_cbranch_vccnz .LBB8_242
; %bb.241:
	global_load_b32 v0, v[0:1], off offset:24
	v_mov_b32_e32 v1, 0
	s_wait_loadcnt 0x0
	v_and_b32_e32 v9, 0xffffff, v0
	global_wb scope:SCOPE_SYS
	s_wait_storecnt 0x0
	global_store_b64 v[2:3], v[0:1], off scope:SCOPE_SYS
	v_readfirstlane_b32 m0, v9
	s_sendmsg sendmsg(MSG_INTERRUPT)
.LBB8_242:
	s_wait_alu 0xfffe
	s_or_b32 exec_lo, exec_lo, s4
	s_branch .LBB8_246
.LBB8_243:                              ;   in Loop: Header=BB8_246 Depth=1
	s_wait_alu 0xfffe
	s_or_b32 exec_lo, exec_lo, s4
	s_delay_alu instid0(VALU_DEP_1) | instskip(NEXT) | instid1(VALU_DEP_1)
	v_readfirstlane_b32 s4, v0
	s_cmp_eq_u32 s4, 0
	s_cbranch_scc1 .LBB8_245
; %bb.244:                              ;   in Loop: Header=BB8_246 Depth=1
	s_sleep 1
	s_cbranch_execnz .LBB8_246
	s_branch .LBB8_248
.LBB8_245:
	s_branch .LBB8_248
.LBB8_246:                              ; =>This Inner Loop Header: Depth=1
	v_mov_b32_e32 v0, 1
	s_and_saveexec_b32 s4, s0
	s_cbranch_execz .LBB8_243
; %bb.247:                              ;   in Loop: Header=BB8_246 Depth=1
	global_load_b32 v0, v[6:7], off offset:20 scope:SCOPE_SYS
	s_wait_loadcnt 0x0
	global_inv scope:SCOPE_SYS
	v_and_b32_e32 v0, 1, v0
	s_branch .LBB8_243
.LBB8_248:
	s_and_saveexec_b32 s4, s0
	s_cbranch_execz .LBB8_252
; %bb.249:
	v_mov_b32_e32 v9, 0
	s_clause 0x2
	global_load_b64 v[2:3], v9, s[34:35] offset:40
	global_load_b64 v[10:11], v9, s[34:35] offset:24 scope:SCOPE_SYS
	global_load_b64 v[6:7], v9, s[34:35]
	s_wait_loadcnt 0x2
	v_add_co_u32 v12, vcc_lo, v2, 1
	s_wait_alu 0xfffd
	v_add_co_ci_u32_e32 v13, vcc_lo, 0, v3, vcc_lo
	s_delay_alu instid0(VALU_DEP_2) | instskip(SKIP_1) | instid1(VALU_DEP_2)
	v_add_co_u32 v0, vcc_lo, v12, s3
	s_wait_alu 0xfffd
	v_add_co_ci_u32_e32 v1, vcc_lo, s2, v13, vcc_lo
	s_delay_alu instid0(VALU_DEP_1) | instskip(SKIP_2) | instid1(VALU_DEP_1)
	v_cmp_eq_u64_e32 vcc_lo, 0, v[0:1]
	s_wait_alu 0xfffd
	v_dual_cndmask_b32 v0, v0, v12 :: v_dual_cndmask_b32 v1, v1, v13
	v_and_b32_e32 v2, v0, v2
	s_delay_alu instid0(VALU_DEP_2) | instskip(NEXT) | instid1(VALU_DEP_2)
	v_and_b32_e32 v3, v1, v3
	v_mul_lo_u32 v12, 0, v2
	v_mul_hi_u32 v13, 24, v2
	v_mul_lo_u32 v2, 24, v2
	s_wait_loadcnt 0x0
	s_delay_alu instid0(VALU_DEP_1) | instskip(SKIP_2) | instid1(VALU_DEP_1)
	v_add_co_u32 v6, vcc_lo, v6, v2
	v_mov_b32_e32 v2, v10
	v_mul_lo_u32 v3, 24, v3
	v_add_nc_u32_e32 v3, v3, v12
	s_delay_alu instid0(VALU_DEP_1) | instskip(SKIP_1) | instid1(VALU_DEP_1)
	v_add_nc_u32_e32 v3, v3, v13
	s_wait_alu 0xfffd
	v_add_co_ci_u32_e32 v7, vcc_lo, v7, v3, vcc_lo
	v_mov_b32_e32 v3, v11
	global_store_b64 v[6:7], v[10:11], off
	global_wb scope:SCOPE_SYS
	s_wait_storecnt 0x0
	global_atomic_cmpswap_b64 v[2:3], v9, v[0:3], s[34:35] offset:24 th:TH_ATOMIC_RETURN scope:SCOPE_SYS
	s_wait_loadcnt 0x0
	v_cmp_ne_u64_e32 vcc_lo, v[2:3], v[10:11]
	s_and_b32 exec_lo, exec_lo, vcc_lo
	s_cbranch_execz .LBB8_252
; %bb.250:
	s_mov_b32 s0, 0
.LBB8_251:                              ; =>This Inner Loop Header: Depth=1
	s_sleep 1
	global_store_b64 v[6:7], v[2:3], off
	global_wb scope:SCOPE_SYS
	s_wait_storecnt 0x0
	global_atomic_cmpswap_b64 v[10:11], v9, v[0:3], s[34:35] offset:24 th:TH_ATOMIC_RETURN scope:SCOPE_SYS
	s_wait_loadcnt 0x0
	v_cmp_eq_u64_e32 vcc_lo, v[10:11], v[2:3]
	v_dual_mov_b32 v2, v10 :: v_dual_mov_b32 v3, v11
	s_wait_alu 0xfffe
	s_or_b32 s0, vcc_lo, s0
	s_wait_alu 0xfffe
	s_and_not1_b32 exec_lo, exec_lo, s0
	s_cbranch_execnz .LBB8_251
.LBB8_252:
	s_wait_alu 0xfffe
	s_or_b32 exec_lo, exec_lo, s4
.LBB8_253:
	s_wait_alu 0xfffe
	s_or_b32 exec_lo, exec_lo, s1
	v_readfirstlane_b32 s0, v52
	v_mov_b32_e32 v6, 0
	v_mov_b32_e32 v7, 0
	s_wait_alu 0xf1ff
	s_delay_alu instid0(VALU_DEP_3) | instskip(NEXT) | instid1(VALU_DEP_1)
	v_cmp_eq_u32_e64 s0, s0, v52
	s_and_saveexec_b32 s1, s0
	s_cbranch_execz .LBB8_259
; %bb.254:
	s_wait_loadcnt 0x0
	v_mov_b32_e32 v0, 0
	s_mov_b32 s2, exec_lo
	global_load_b64 v[11:12], v0, s[34:35] offset:24 scope:SCOPE_SYS
	s_wait_loadcnt 0x0
	global_inv scope:SCOPE_SYS
	s_clause 0x1
	global_load_b64 v[1:2], v0, s[34:35] offset:40
	global_load_b64 v[6:7], v0, s[34:35]
	s_wait_loadcnt 0x1
	v_and_b32_e32 v1, v1, v11
	v_and_b32_e32 v2, v2, v12
	s_delay_alu instid0(VALU_DEP_2) | instskip(NEXT) | instid1(VALU_DEP_2)
	v_mul_lo_u32 v3, 0, v1
	v_mul_lo_u32 v2, 24, v2
	v_mul_hi_u32 v9, 24, v1
	v_mul_lo_u32 v1, 24, v1
	s_delay_alu instid0(VALU_DEP_3) | instskip(SKIP_1) | instid1(VALU_DEP_2)
	v_add_nc_u32_e32 v2, v2, v3
	s_wait_loadcnt 0x0
	v_add_co_u32 v1, vcc_lo, v6, v1
	s_delay_alu instid0(VALU_DEP_2) | instskip(SKIP_1) | instid1(VALU_DEP_1)
	v_add_nc_u32_e32 v2, v2, v9
	s_wait_alu 0xfffd
	v_add_co_ci_u32_e32 v2, vcc_lo, v7, v2, vcc_lo
	global_load_b64 v[9:10], v[1:2], off scope:SCOPE_SYS
	s_wait_loadcnt 0x0
	global_atomic_cmpswap_b64 v[6:7], v0, v[9:12], s[34:35] offset:24 th:TH_ATOMIC_RETURN scope:SCOPE_SYS
	s_wait_loadcnt 0x0
	global_inv scope:SCOPE_SYS
	v_cmpx_ne_u64_e64 v[6:7], v[11:12]
	s_cbranch_execz .LBB8_258
; %bb.255:
	s_mov_b32 s3, 0
.LBB8_256:                              ; =>This Inner Loop Header: Depth=1
	s_sleep 1
	s_clause 0x1
	global_load_b64 v[1:2], v0, s[34:35] offset:40
	global_load_b64 v[9:10], v0, s[34:35]
	v_dual_mov_b32 v12, v7 :: v_dual_mov_b32 v11, v6
	s_wait_loadcnt 0x1
	s_delay_alu instid0(VALU_DEP_1) | instskip(SKIP_1) | instid1(VALU_DEP_1)
	v_and_b32_e32 v1, v1, v11
	s_wait_loadcnt 0x0
	v_mad_co_u64_u32 v[6:7], null, v1, 24, v[9:10]
	s_delay_alu instid0(VALU_DEP_1) | instskip(NEXT) | instid1(VALU_DEP_1)
	v_dual_mov_b32 v1, v7 :: v_dual_and_b32 v2, v2, v12
	v_mad_co_u64_u32 v[1:2], null, v2, 24, v[1:2]
	s_delay_alu instid0(VALU_DEP_1)
	v_mov_b32_e32 v7, v1
	global_load_b64 v[9:10], v[6:7], off scope:SCOPE_SYS
	s_wait_loadcnt 0x0
	global_atomic_cmpswap_b64 v[6:7], v0, v[9:12], s[34:35] offset:24 th:TH_ATOMIC_RETURN scope:SCOPE_SYS
	s_wait_loadcnt 0x0
	global_inv scope:SCOPE_SYS
	v_cmp_eq_u64_e32 vcc_lo, v[6:7], v[11:12]
	s_wait_alu 0xfffe
	s_or_b32 s3, vcc_lo, s3
	s_wait_alu 0xfffe
	s_and_not1_b32 exec_lo, exec_lo, s3
	s_cbranch_execnz .LBB8_256
; %bb.257:
	s_or_b32 exec_lo, exec_lo, s3
.LBB8_258:
	s_wait_alu 0xfffe
	s_or_b32 exec_lo, exec_lo, s2
.LBB8_259:
	s_wait_alu 0xfffe
	s_or_b32 exec_lo, exec_lo, s1
	v_readfirstlane_b32 s2, v6
	s_wait_loadcnt 0x0
	v_mov_b32_e32 v10, 0
	v_readfirstlane_b32 s1, v7
	s_mov_b32 s3, exec_lo
	s_clause 0x1
	global_load_b64 v[11:12], v10, s[34:35] offset:40
	global_load_b128 v[0:3], v10, s[34:35]
	s_wait_loadcnt 0x1
	s_wait_alu 0xf1ff
	v_and_b32_e32 v13, s2, v11
	v_and_b32_e32 v14, s1, v12
	s_delay_alu instid0(VALU_DEP_2) | instskip(NEXT) | instid1(VALU_DEP_2)
	v_mul_lo_u32 v7, 0, v13
	v_mul_lo_u32 v6, 24, v14
	v_mul_hi_u32 v9, 24, v13
	v_mul_lo_u32 v11, 24, v13
	s_delay_alu instid0(VALU_DEP_3) | instskip(NEXT) | instid1(VALU_DEP_1)
	v_add_nc_u32_e32 v6, v6, v7
	v_add_nc_u32_e32 v7, v6, v9
	s_wait_loadcnt 0x0
	s_delay_alu instid0(VALU_DEP_3) | instskip(SKIP_1) | instid1(VALU_DEP_2)
	v_add_co_u32 v6, vcc_lo, v0, v11
	s_wait_alu 0xfffd
	v_add_co_ci_u32_e32 v7, vcc_lo, v1, v7, vcc_lo
	s_and_saveexec_b32 s4, s0
	s_cbranch_execz .LBB8_261
; %bb.260:
	s_wait_alu 0xfffe
	v_dual_mov_b32 v9, s3 :: v_dual_mov_b32 v12, 1
	v_mov_b32_e32 v11, 2
	global_store_b128 v[6:7], v[9:12], off offset:8
.LBB8_261:
	s_wait_alu 0xfffe
	s_or_b32 exec_lo, exec_lo, s4
	v_lshlrev_b64_e32 v[13:14], 12, v[13:14]
	s_mov_b32 s4, 0
	v_dual_mov_b32 v9, 33 :: v_dual_mov_b32 v12, v10
	s_wait_alu 0xfffe
	s_mov_b32 s7, s4
	s_mov_b32 s5, s4
	v_add_co_u32 v2, vcc_lo, v2, v13
	s_wait_alu 0xfffd
	v_add_co_ci_u32_e32 v3, vcc_lo, v3, v14, vcc_lo
	s_mov_b32 s6, s4
	s_delay_alu instid0(VALU_DEP_2)
	v_add_co_u32 v13, vcc_lo, v2, v51
	s_wait_alu 0xfffe
	v_dual_mov_b32 v11, v10 :: v_dual_mov_b32 v18, s7
	v_readfirstlane_b32 s10, v2
	v_readfirstlane_b32 s11, v3
	s_wait_alu 0xfffd
	v_add_co_ci_u32_e32 v14, vcc_lo, 0, v3, vcc_lo
	v_dual_mov_b32 v17, s6 :: v_dual_mov_b32 v16, s5
	v_mov_b32_e32 v15, s4
	s_clause 0x3
	global_store_b128 v51, v[9:12], s[10:11]
	global_store_b128 v51, v[15:18], s[10:11] offset:16
	global_store_b128 v51, v[15:18], s[10:11] offset:32
	;; [unrolled: 1-line block ×3, first 2 shown]
	s_and_saveexec_b32 s3, s0
	s_cbranch_execz .LBB8_269
; %bb.262:
	v_mov_b32_e32 v11, 0
	v_mov_b32_e32 v15, s2
	s_mov_b32 s4, exec_lo
	s_clause 0x1
	global_load_b64 v[17:18], v11, s[34:35] offset:32 scope:SCOPE_SYS
	global_load_b64 v[2:3], v11, s[34:35] offset:40
	v_mov_b32_e32 v16, s1
	s_wait_loadcnt 0x0
	v_and_b32_e32 v2, s2, v2
	v_and_b32_e32 v3, s1, v3
	s_delay_alu instid0(VALU_DEP_2) | instskip(NEXT) | instid1(VALU_DEP_2)
	v_mul_lo_u32 v9, 0, v2
	v_mul_lo_u32 v3, 24, v3
	v_mul_hi_u32 v10, 24, v2
	v_mul_lo_u32 v2, 24, v2
	s_delay_alu instid0(VALU_DEP_3) | instskip(NEXT) | instid1(VALU_DEP_2)
	v_add_nc_u32_e32 v3, v3, v9
	v_add_co_u32 v9, vcc_lo, v0, v2
	s_delay_alu instid0(VALU_DEP_2) | instskip(SKIP_1) | instid1(VALU_DEP_1)
	v_add_nc_u32_e32 v3, v3, v10
	s_wait_alu 0xfffd
	v_add_co_ci_u32_e32 v10, vcc_lo, v1, v3, vcc_lo
	global_store_b64 v[9:10], v[17:18], off
	global_wb scope:SCOPE_SYS
	s_wait_storecnt 0x0
	global_atomic_cmpswap_b64 v[2:3], v11, v[15:18], s[34:35] offset:32 th:TH_ATOMIC_RETURN scope:SCOPE_SYS
	s_wait_loadcnt 0x0
	v_cmpx_ne_u64_e64 v[2:3], v[17:18]
	s_cbranch_execz .LBB8_265
; %bb.263:
	s_mov_b32 s5, 0
.LBB8_264:                              ; =>This Inner Loop Header: Depth=1
	v_dual_mov_b32 v0, s2 :: v_dual_mov_b32 v1, s1
	s_sleep 1
	global_store_b64 v[9:10], v[2:3], off
	global_wb scope:SCOPE_SYS
	s_wait_storecnt 0x0
	global_atomic_cmpswap_b64 v[0:1], v11, v[0:3], s[34:35] offset:32 th:TH_ATOMIC_RETURN scope:SCOPE_SYS
	s_wait_loadcnt 0x0
	v_cmp_eq_u64_e32 vcc_lo, v[0:1], v[2:3]
	v_dual_mov_b32 v3, v1 :: v_dual_mov_b32 v2, v0
	s_wait_alu 0xfffe
	s_or_b32 s5, vcc_lo, s5
	s_wait_alu 0xfffe
	s_and_not1_b32 exec_lo, exec_lo, s5
	s_cbranch_execnz .LBB8_264
.LBB8_265:
	s_wait_alu 0xfffe
	s_or_b32 exec_lo, exec_lo, s4
	v_mov_b32_e32 v3, 0
	s_mov_b32 s5, exec_lo
	s_mov_b32 s4, exec_lo
	s_wait_alu 0xfffe
	v_mbcnt_lo_u32_b32 v2, s5, 0
	global_load_b64 v[0:1], v3, s[34:35] offset:16
	v_cmpx_eq_u32_e32 0, v2
	s_cbranch_execz .LBB8_267
; %bb.266:
	s_bcnt1_i32_b32 s5, s5
	s_wait_alu 0xfffe
	v_mov_b32_e32 v2, s5
	global_wb scope:SCOPE_SYS
	s_wait_loadcnt 0x0
	global_atomic_add_u64 v[0:1], v[2:3], off offset:8 scope:SCOPE_SYS
.LBB8_267:
	s_or_b32 exec_lo, exec_lo, s4
	s_wait_loadcnt 0x0
	global_load_b64 v[2:3], v[0:1], off offset:16
	s_wait_loadcnt 0x0
	v_cmp_eq_u64_e32 vcc_lo, 0, v[2:3]
	s_cbranch_vccnz .LBB8_269
; %bb.268:
	global_load_b32 v0, v[0:1], off offset:24
	v_mov_b32_e32 v1, 0
	s_wait_loadcnt 0x0
	v_and_b32_e32 v9, 0xffffff, v0
	global_wb scope:SCOPE_SYS
	s_wait_storecnt 0x0
	global_store_b64 v[2:3], v[0:1], off scope:SCOPE_SYS
	v_readfirstlane_b32 m0, v9
	s_sendmsg sendmsg(MSG_INTERRUPT)
.LBB8_269:
	s_wait_alu 0xfffe
	s_or_b32 exec_lo, exec_lo, s3
	s_branch .LBB8_273
.LBB8_270:                              ;   in Loop: Header=BB8_273 Depth=1
	s_wait_alu 0xfffe
	s_or_b32 exec_lo, exec_lo, s3
	s_delay_alu instid0(VALU_DEP_1) | instskip(NEXT) | instid1(VALU_DEP_1)
	v_readfirstlane_b32 s3, v0
	s_cmp_eq_u32 s3, 0
	s_cbranch_scc1 .LBB8_272
; %bb.271:                              ;   in Loop: Header=BB8_273 Depth=1
	s_sleep 1
	s_cbranch_execnz .LBB8_273
	s_branch .LBB8_275
.LBB8_272:
	s_branch .LBB8_275
.LBB8_273:                              ; =>This Inner Loop Header: Depth=1
	v_mov_b32_e32 v0, 1
	s_and_saveexec_b32 s3, s0
	s_cbranch_execz .LBB8_270
; %bb.274:                              ;   in Loop: Header=BB8_273 Depth=1
	global_load_b32 v0, v[6:7], off offset:20 scope:SCOPE_SYS
	s_wait_loadcnt 0x0
	global_inv scope:SCOPE_SYS
	v_and_b32_e32 v0, 1, v0
	s_branch .LBB8_270
.LBB8_275:
	global_load_b64 v[0:1], v[13:14], off
	s_and_saveexec_b32 s3, s0
	s_cbranch_execz .LBB8_279
; %bb.276:
	v_mov_b32_e32 v6, 0
	s_clause 0x2
	global_load_b64 v[2:3], v6, s[34:35] offset:40
	global_load_b64 v[13:14], v6, s[34:35] offset:24 scope:SCOPE_SYS
	global_load_b64 v[11:12], v6, s[34:35]
	s_wait_loadcnt 0x2
	v_add_co_u32 v7, vcc_lo, v2, 1
	s_wait_alu 0xfffd
	v_add_co_ci_u32_e32 v15, vcc_lo, 0, v3, vcc_lo
	s_delay_alu instid0(VALU_DEP_2) | instskip(SKIP_1) | instid1(VALU_DEP_2)
	v_add_co_u32 v9, vcc_lo, v7, s2
	s_wait_alu 0xfffd
	v_add_co_ci_u32_e32 v10, vcc_lo, s1, v15, vcc_lo
	s_delay_alu instid0(VALU_DEP_1) | instskip(SKIP_3) | instid1(VALU_DEP_2)
	v_cmp_eq_u64_e32 vcc_lo, 0, v[9:10]
	s_wait_alu 0xfffd
	v_cndmask_b32_e32 v9, v9, v7, vcc_lo
	v_cndmask_b32_e32 v10, v10, v15, vcc_lo
	v_and_b32_e32 v2, v9, v2
	s_delay_alu instid0(VALU_DEP_1) | instskip(SKIP_3) | instid1(VALU_DEP_1)
	v_mul_lo_u32 v7, 0, v2
	v_mul_hi_u32 v15, 24, v2
	v_mul_lo_u32 v2, 24, v2
	s_wait_loadcnt 0x0
	v_add_co_u32 v2, vcc_lo, v11, v2
	v_mov_b32_e32 v11, v13
	v_and_b32_e32 v3, v10, v3
	s_delay_alu instid0(VALU_DEP_1) | instskip(NEXT) | instid1(VALU_DEP_1)
	v_mul_lo_u32 v3, 24, v3
	v_add_nc_u32_e32 v3, v3, v7
	s_delay_alu instid0(VALU_DEP_1) | instskip(SKIP_1) | instid1(VALU_DEP_1)
	v_add_nc_u32_e32 v3, v3, v15
	s_wait_alu 0xfffd
	v_add_co_ci_u32_e32 v3, vcc_lo, v12, v3, vcc_lo
	v_mov_b32_e32 v12, v14
	global_store_b64 v[2:3], v[13:14], off
	global_wb scope:SCOPE_SYS
	s_wait_storecnt 0x0
	global_atomic_cmpswap_b64 v[11:12], v6, v[9:12], s[34:35] offset:24 th:TH_ATOMIC_RETURN scope:SCOPE_SYS
	s_wait_loadcnt 0x0
	v_cmp_ne_u64_e32 vcc_lo, v[11:12], v[13:14]
	s_and_b32 exec_lo, exec_lo, vcc_lo
	s_cbranch_execz .LBB8_279
; %bb.277:
	s_mov_b32 s0, 0
.LBB8_278:                              ; =>This Inner Loop Header: Depth=1
	s_sleep 1
	global_store_b64 v[2:3], v[11:12], off
	global_wb scope:SCOPE_SYS
	s_wait_storecnt 0x0
	global_atomic_cmpswap_b64 v[13:14], v6, v[9:12], s[34:35] offset:24 th:TH_ATOMIC_RETURN scope:SCOPE_SYS
	s_wait_loadcnt 0x0
	v_cmp_eq_u64_e32 vcc_lo, v[13:14], v[11:12]
	v_dual_mov_b32 v11, v13 :: v_dual_mov_b32 v12, v14
	s_wait_alu 0xfffe
	s_or_b32 s0, vcc_lo, s0
	s_wait_alu 0xfffe
	s_and_not1_b32 exec_lo, exec_lo, s0
	s_cbranch_execnz .LBB8_278
.LBB8_279:
	s_wait_alu 0xfffe
	s_or_b32 exec_lo, exec_lo, s3
	s_getpc_b64 s[2:3]
	s_wait_alu 0xfffe
	s_sext_i32_i16 s3, s3
	s_add_co_u32 s2, s2, .str.8@rel32@lo+12
	s_wait_alu 0xfffe
	s_add_co_ci_u32 s3, s3, .str.8@rel32@hi+24
	s_wait_alu 0xfffe
	s_cmp_lg_u64 s[2:3], 0
	s_cselect_b32 s38, -1, 0
	s_wait_alu 0xfffe
	s_and_b32 vcc_lo, exec_lo, s38
	s_wait_alu 0xfffe
	s_cbranch_vccz .LBB8_358
; %bb.280:
	s_wait_loadcnt 0x0
	v_dual_mov_b32 v13, 0 :: v_dual_and_b32 v36, 2, v0
	v_dual_mov_b32 v10, v1 :: v_dual_and_b32 v9, -3, v0
	v_dual_mov_b32 v14, 2 :: v_dual_mov_b32 v15, 1
	s_mov_b64 s[4:5], 3
	s_branch .LBB8_282
.LBB8_281:                              ;   in Loop: Header=BB8_282 Depth=1
	s_wait_alu 0xfffe
	s_or_b32 exec_lo, exec_lo, s11
	s_sub_nc_u64 s[4:5], s[4:5], s[6:7]
	s_add_nc_u64 s[2:3], s[2:3], s[6:7]
	s_wait_alu 0xfffe
	s_cmp_lg_u64 s[4:5], 0
	s_cbranch_scc0 .LBB8_357
.LBB8_282:                              ; =>This Loop Header: Depth=1
                                        ;     Child Loop BB8_291 Depth 2
                                        ;     Child Loop BB8_287 Depth 2
	;; [unrolled: 1-line block ×11, first 2 shown]
	s_wait_alu 0xfffe
	v_cmp_lt_u64_e64 s0, s[4:5], 56
	v_cmp_gt_u64_e64 s1, s[4:5], 7
                                        ; implicit-def: $vgpr18_vgpr19
                                        ; implicit-def: $sgpr18
	s_delay_alu instid0(VALU_DEP_2) | instskip(SKIP_2) | instid1(VALU_DEP_1)
	s_and_b32 s0, s0, exec_lo
	s_cselect_b32 s7, s5, 0
	s_cselect_b32 s6, s4, 56
	s_and_b32 vcc_lo, exec_lo, s1
	s_mov_b32 s0, -1
	s_wait_alu 0xfffe
	s_cbranch_vccz .LBB8_289
; %bb.283:                              ;   in Loop: Header=BB8_282 Depth=1
	s_and_not1_b32 vcc_lo, exec_lo, s0
	s_mov_b64 s[0:1], s[2:3]
	s_wait_alu 0xfffe
	s_cbranch_vccz .LBB8_293
.LBB8_284:                              ;   in Loop: Header=BB8_282 Depth=1
	s_wait_alu 0xfffe
	s_cmp_gt_u32 s18, 7
	s_cbranch_scc1 .LBB8_294
.LBB8_285:                              ;   in Loop: Header=BB8_282 Depth=1
	v_mov_b32_e32 v20, 0
	v_mov_b32_e32 v21, 0
	s_cmp_eq_u32 s18, 0
	s_cbranch_scc1 .LBB8_288
; %bb.286:                              ;   in Loop: Header=BB8_282 Depth=1
	s_mov_b64 s[10:11], 0
	s_mov_b64 s[16:17], 0
.LBB8_287:                              ;   Parent Loop BB8_282 Depth=1
                                        ; =>  This Inner Loop Header: Depth=2
	s_wait_alu 0xfffe
	s_add_nc_u64 s[20:21], s[0:1], s[16:17]
	s_add_nc_u64 s[16:17], s[16:17], 1
	global_load_u8 v2, v13, s[20:21]
	s_wait_alu 0xfffe
	s_cmp_lg_u32 s18, s16
	s_wait_loadcnt 0x0
	v_and_b32_e32 v12, 0xffff, v2
	s_delay_alu instid0(VALU_DEP_1) | instskip(SKIP_1) | instid1(VALU_DEP_1)
	v_lshlrev_b64_e32 v[2:3], s10, v[12:13]
	s_add_nc_u64 s[10:11], s[10:11], 8
	v_or_b32_e32 v20, v2, v20
	s_delay_alu instid0(VALU_DEP_2)
	v_or_b32_e32 v21, v3, v21
	s_cbranch_scc1 .LBB8_287
.LBB8_288:                              ;   in Loop: Header=BB8_282 Depth=1
	s_mov_b32 s19, 0
	s_cbranch_execz .LBB8_295
	s_branch .LBB8_296
.LBB8_289:                              ;   in Loop: Header=BB8_282 Depth=1
	v_mov_b32_e32 v18, 0
	v_mov_b32_e32 v19, 0
	s_cmp_eq_u64 s[4:5], 0
	s_mov_b64 s[0:1], 0
	s_cbranch_scc1 .LBB8_292
; %bb.290:                              ;   in Loop: Header=BB8_282 Depth=1
	v_mov_b32_e32 v18, 0
	v_mov_b32_e32 v19, 0
	s_mov_b64 s[10:11], 0
.LBB8_291:                              ;   Parent Loop BB8_282 Depth=1
                                        ; =>  This Inner Loop Header: Depth=2
	s_wait_alu 0xfffe
	s_add_nc_u64 s[16:17], s[2:3], s[10:11]
	s_add_nc_u64 s[10:11], s[10:11], 1
	global_load_u8 v2, v13, s[16:17]
	s_wait_alu 0xfffe
	s_cmp_lg_u32 s6, s10
	s_wait_loadcnt 0x0
	v_and_b32_e32 v12, 0xffff, v2
	s_delay_alu instid0(VALU_DEP_1) | instskip(SKIP_1) | instid1(VALU_DEP_1)
	v_lshlrev_b64_e32 v[2:3], s0, v[12:13]
	s_add_nc_u64 s[0:1], s[0:1], 8
	v_or_b32_e32 v18, v2, v18
	s_delay_alu instid0(VALU_DEP_2)
	v_or_b32_e32 v19, v3, v19
	s_cbranch_scc1 .LBB8_291
.LBB8_292:                              ;   in Loop: Header=BB8_282 Depth=1
	s_mov_b32 s18, 0
	s_mov_b64 s[0:1], s[2:3]
	s_cbranch_execnz .LBB8_284
.LBB8_293:                              ;   in Loop: Header=BB8_282 Depth=1
	global_load_b64 v[18:19], v13, s[2:3]
	s_add_co_i32 s18, s6, -8
	s_add_nc_u64 s[0:1], s[2:3], 8
	s_wait_alu 0xfffe
	s_cmp_gt_u32 s18, 7
	s_cbranch_scc0 .LBB8_285
.LBB8_294:                              ;   in Loop: Header=BB8_282 Depth=1
                                        ; implicit-def: $vgpr20_vgpr21
                                        ; implicit-def: $sgpr19
.LBB8_295:                              ;   in Loop: Header=BB8_282 Depth=1
	global_load_b64 v[20:21], v13, s[0:1]
	s_add_co_i32 s19, s18, -8
	s_add_nc_u64 s[0:1], s[0:1], 8
.LBB8_296:                              ;   in Loop: Header=BB8_282 Depth=1
	s_wait_alu 0xfffe
	s_cmp_gt_u32 s19, 7
	s_cbranch_scc1 .LBB8_301
; %bb.297:                              ;   in Loop: Header=BB8_282 Depth=1
	v_mov_b32_e32 v22, 0
	v_mov_b32_e32 v23, 0
	s_cmp_eq_u32 s19, 0
	s_cbranch_scc1 .LBB8_300
; %bb.298:                              ;   in Loop: Header=BB8_282 Depth=1
	s_mov_b64 s[10:11], 0
	s_mov_b64 s[16:17], 0
.LBB8_299:                              ;   Parent Loop BB8_282 Depth=1
                                        ; =>  This Inner Loop Header: Depth=2
	s_wait_alu 0xfffe
	s_add_nc_u64 s[20:21], s[0:1], s[16:17]
	s_add_nc_u64 s[16:17], s[16:17], 1
	global_load_u8 v2, v13, s[20:21]
	s_wait_alu 0xfffe
	s_cmp_lg_u32 s19, s16
	s_wait_loadcnt 0x0
	v_and_b32_e32 v12, 0xffff, v2
	s_delay_alu instid0(VALU_DEP_1) | instskip(SKIP_1) | instid1(VALU_DEP_1)
	v_lshlrev_b64_e32 v[2:3], s10, v[12:13]
	s_add_nc_u64 s[10:11], s[10:11], 8
	v_or_b32_e32 v22, v2, v22
	s_delay_alu instid0(VALU_DEP_2)
	v_or_b32_e32 v23, v3, v23
	s_cbranch_scc1 .LBB8_299
.LBB8_300:                              ;   in Loop: Header=BB8_282 Depth=1
	s_mov_b32 s18, 0
	s_cbranch_execz .LBB8_302
	s_branch .LBB8_303
.LBB8_301:                              ;   in Loop: Header=BB8_282 Depth=1
                                        ; implicit-def: $sgpr18
.LBB8_302:                              ;   in Loop: Header=BB8_282 Depth=1
	global_load_b64 v[22:23], v13, s[0:1]
	s_add_co_i32 s18, s19, -8
	s_add_nc_u64 s[0:1], s[0:1], 8
.LBB8_303:                              ;   in Loop: Header=BB8_282 Depth=1
	s_wait_alu 0xfffe
	s_cmp_gt_u32 s18, 7
	s_cbranch_scc1 .LBB8_308
; %bb.304:                              ;   in Loop: Header=BB8_282 Depth=1
	v_mov_b32_e32 v24, 0
	v_mov_b32_e32 v25, 0
	s_cmp_eq_u32 s18, 0
	s_cbranch_scc1 .LBB8_307
; %bb.305:                              ;   in Loop: Header=BB8_282 Depth=1
	s_mov_b64 s[10:11], 0
	s_mov_b64 s[16:17], 0
.LBB8_306:                              ;   Parent Loop BB8_282 Depth=1
                                        ; =>  This Inner Loop Header: Depth=2
	s_wait_alu 0xfffe
	s_add_nc_u64 s[20:21], s[0:1], s[16:17]
	s_add_nc_u64 s[16:17], s[16:17], 1
	global_load_u8 v2, v13, s[20:21]
	s_wait_alu 0xfffe
	s_cmp_lg_u32 s18, s16
	s_wait_loadcnt 0x0
	v_and_b32_e32 v12, 0xffff, v2
	s_delay_alu instid0(VALU_DEP_1) | instskip(SKIP_1) | instid1(VALU_DEP_1)
	v_lshlrev_b64_e32 v[2:3], s10, v[12:13]
	s_add_nc_u64 s[10:11], s[10:11], 8
	v_or_b32_e32 v24, v2, v24
	s_delay_alu instid0(VALU_DEP_2)
	v_or_b32_e32 v25, v3, v25
	s_cbranch_scc1 .LBB8_306
.LBB8_307:                              ;   in Loop: Header=BB8_282 Depth=1
	s_mov_b32 s19, 0
	s_cbranch_execz .LBB8_309
	s_branch .LBB8_310
.LBB8_308:                              ;   in Loop: Header=BB8_282 Depth=1
                                        ; implicit-def: $vgpr24_vgpr25
                                        ; implicit-def: $sgpr19
.LBB8_309:                              ;   in Loop: Header=BB8_282 Depth=1
	global_load_b64 v[24:25], v13, s[0:1]
	s_add_co_i32 s19, s18, -8
	s_add_nc_u64 s[0:1], s[0:1], 8
.LBB8_310:                              ;   in Loop: Header=BB8_282 Depth=1
	s_wait_alu 0xfffe
	s_cmp_gt_u32 s19, 7
	s_cbranch_scc1 .LBB8_315
; %bb.311:                              ;   in Loop: Header=BB8_282 Depth=1
	v_mov_b32_e32 v26, 0
	v_mov_b32_e32 v27, 0
	s_cmp_eq_u32 s19, 0
	s_cbranch_scc1 .LBB8_314
; %bb.312:                              ;   in Loop: Header=BB8_282 Depth=1
	s_mov_b64 s[10:11], 0
	s_mov_b64 s[16:17], 0
.LBB8_313:                              ;   Parent Loop BB8_282 Depth=1
                                        ; =>  This Inner Loop Header: Depth=2
	s_wait_alu 0xfffe
	s_add_nc_u64 s[20:21], s[0:1], s[16:17]
	s_add_nc_u64 s[16:17], s[16:17], 1
	global_load_u8 v2, v13, s[20:21]
	s_wait_alu 0xfffe
	s_cmp_lg_u32 s19, s16
	s_wait_loadcnt 0x0
	v_and_b32_e32 v12, 0xffff, v2
	s_delay_alu instid0(VALU_DEP_1) | instskip(SKIP_1) | instid1(VALU_DEP_1)
	v_lshlrev_b64_e32 v[2:3], s10, v[12:13]
	s_add_nc_u64 s[10:11], s[10:11], 8
	v_or_b32_e32 v26, v2, v26
	s_delay_alu instid0(VALU_DEP_2)
	v_or_b32_e32 v27, v3, v27
	s_cbranch_scc1 .LBB8_313
.LBB8_314:                              ;   in Loop: Header=BB8_282 Depth=1
	s_mov_b32 s18, 0
	s_cbranch_execz .LBB8_316
	s_branch .LBB8_317
.LBB8_315:                              ;   in Loop: Header=BB8_282 Depth=1
                                        ; implicit-def: $sgpr18
.LBB8_316:                              ;   in Loop: Header=BB8_282 Depth=1
	global_load_b64 v[26:27], v13, s[0:1]
	s_add_co_i32 s18, s19, -8
	s_add_nc_u64 s[0:1], s[0:1], 8
.LBB8_317:                              ;   in Loop: Header=BB8_282 Depth=1
	s_wait_alu 0xfffe
	s_cmp_gt_u32 s18, 7
	s_cbranch_scc1 .LBB8_322
; %bb.318:                              ;   in Loop: Header=BB8_282 Depth=1
	v_mov_b32_e32 v28, 0
	v_mov_b32_e32 v29, 0
	s_cmp_eq_u32 s18, 0
	s_cbranch_scc1 .LBB8_321
; %bb.319:                              ;   in Loop: Header=BB8_282 Depth=1
	s_mov_b64 s[10:11], 0
	s_mov_b64 s[16:17], 0
.LBB8_320:                              ;   Parent Loop BB8_282 Depth=1
                                        ; =>  This Inner Loop Header: Depth=2
	s_wait_alu 0xfffe
	s_add_nc_u64 s[20:21], s[0:1], s[16:17]
	s_add_nc_u64 s[16:17], s[16:17], 1
	global_load_u8 v2, v13, s[20:21]
	s_wait_alu 0xfffe
	s_cmp_lg_u32 s18, s16
	s_wait_loadcnt 0x0
	v_and_b32_e32 v12, 0xffff, v2
	s_delay_alu instid0(VALU_DEP_1) | instskip(SKIP_1) | instid1(VALU_DEP_1)
	v_lshlrev_b64_e32 v[2:3], s10, v[12:13]
	s_add_nc_u64 s[10:11], s[10:11], 8
	v_or_b32_e32 v28, v2, v28
	s_delay_alu instid0(VALU_DEP_2)
	v_or_b32_e32 v29, v3, v29
	s_cbranch_scc1 .LBB8_320
.LBB8_321:                              ;   in Loop: Header=BB8_282 Depth=1
	s_mov_b32 s19, 0
	s_cbranch_execz .LBB8_323
	s_branch .LBB8_324
.LBB8_322:                              ;   in Loop: Header=BB8_282 Depth=1
                                        ; implicit-def: $vgpr28_vgpr29
                                        ; implicit-def: $sgpr19
.LBB8_323:                              ;   in Loop: Header=BB8_282 Depth=1
	global_load_b64 v[28:29], v13, s[0:1]
	s_add_co_i32 s19, s18, -8
	s_add_nc_u64 s[0:1], s[0:1], 8
.LBB8_324:                              ;   in Loop: Header=BB8_282 Depth=1
	s_wait_alu 0xfffe
	s_cmp_gt_u32 s19, 7
	s_cbranch_scc1 .LBB8_329
; %bb.325:                              ;   in Loop: Header=BB8_282 Depth=1
	v_mov_b32_e32 v30, 0
	v_mov_b32_e32 v31, 0
	s_cmp_eq_u32 s19, 0
	s_cbranch_scc1 .LBB8_328
; %bb.326:                              ;   in Loop: Header=BB8_282 Depth=1
	s_mov_b64 s[10:11], 0
	s_mov_b64 s[16:17], s[0:1]
.LBB8_327:                              ;   Parent Loop BB8_282 Depth=1
                                        ; =>  This Inner Loop Header: Depth=2
	global_load_u8 v2, v13, s[16:17]
	s_add_co_i32 s19, s19, -1
	s_wait_alu 0xfffe
	s_add_nc_u64 s[16:17], s[16:17], 1
	s_cmp_lg_u32 s19, 0
	s_wait_loadcnt 0x0
	v_and_b32_e32 v12, 0xffff, v2
	s_delay_alu instid0(VALU_DEP_1) | instskip(SKIP_1) | instid1(VALU_DEP_1)
	v_lshlrev_b64_e32 v[2:3], s10, v[12:13]
	s_add_nc_u64 s[10:11], s[10:11], 8
	v_or_b32_e32 v30, v2, v30
	s_delay_alu instid0(VALU_DEP_2)
	v_or_b32_e32 v31, v3, v31
	s_cbranch_scc1 .LBB8_327
.LBB8_328:                              ;   in Loop: Header=BB8_282 Depth=1
	s_cbranch_execz .LBB8_330
	s_branch .LBB8_331
.LBB8_329:                              ;   in Loop: Header=BB8_282 Depth=1
.LBB8_330:                              ;   in Loop: Header=BB8_282 Depth=1
	global_load_b64 v[30:31], v13, s[0:1]
.LBB8_331:                              ;   in Loop: Header=BB8_282 Depth=1
	v_readfirstlane_b32 s0, v52
	v_mov_b32_e32 v2, 0
	v_mov_b32_e32 v3, 0
	s_wait_alu 0xf1ff
	s_delay_alu instid0(VALU_DEP_3) | instskip(NEXT) | instid1(VALU_DEP_1)
	v_cmp_eq_u32_e64 s0, s0, v52
	s_and_saveexec_b32 s1, s0
	s_cbranch_execz .LBB8_337
; %bb.332:                              ;   in Loop: Header=BB8_282 Depth=1
	global_load_b64 v[34:35], v13, s[34:35] offset:24 scope:SCOPE_SYS
	s_wait_loadcnt 0x0
	global_inv scope:SCOPE_SYS
	s_clause 0x1
	global_load_b64 v[2:3], v13, s[34:35] offset:40
	global_load_b64 v[6:7], v13, s[34:35]
	s_mov_b32 s10, exec_lo
	s_wait_loadcnt 0x1
	v_and_b32_e32 v3, v3, v35
	v_and_b32_e32 v2, v2, v34
	s_delay_alu instid0(VALU_DEP_2) | instskip(NEXT) | instid1(VALU_DEP_2)
	v_mul_lo_u32 v3, 24, v3
	v_mul_lo_u32 v11, 0, v2
	v_mul_hi_u32 v12, 24, v2
	v_mul_lo_u32 v2, 24, v2
	s_delay_alu instid0(VALU_DEP_3) | instskip(SKIP_1) | instid1(VALU_DEP_2)
	v_add_nc_u32_e32 v3, v3, v11
	s_wait_loadcnt 0x0
	v_add_co_u32 v2, vcc_lo, v6, v2
	s_delay_alu instid0(VALU_DEP_2) | instskip(SKIP_1) | instid1(VALU_DEP_1)
	v_add_nc_u32_e32 v3, v3, v12
	s_wait_alu 0xfffd
	v_add_co_ci_u32_e32 v3, vcc_lo, v7, v3, vcc_lo
	global_load_b64 v[32:33], v[2:3], off scope:SCOPE_SYS
	s_wait_loadcnt 0x0
	global_atomic_cmpswap_b64 v[2:3], v13, v[32:35], s[34:35] offset:24 th:TH_ATOMIC_RETURN scope:SCOPE_SYS
	s_wait_loadcnt 0x0
	global_inv scope:SCOPE_SYS
	v_cmpx_ne_u64_e64 v[2:3], v[34:35]
	s_cbranch_execz .LBB8_336
; %bb.333:                              ;   in Loop: Header=BB8_282 Depth=1
	s_mov_b32 s11, 0
.LBB8_334:                              ;   Parent Loop BB8_282 Depth=1
                                        ; =>  This Inner Loop Header: Depth=2
	s_sleep 1
	s_clause 0x1
	global_load_b64 v[6:7], v13, s[34:35] offset:40
	global_load_b64 v[11:12], v13, s[34:35]
	v_dual_mov_b32 v35, v3 :: v_dual_mov_b32 v34, v2
	s_wait_loadcnt 0x1
	s_delay_alu instid0(VALU_DEP_1) | instskip(NEXT) | instid1(VALU_DEP_2)
	v_and_b32_e32 v2, v6, v34
	v_and_b32_e32 v6, v7, v35
	s_wait_loadcnt 0x0
	s_delay_alu instid0(VALU_DEP_2) | instskip(NEXT) | instid1(VALU_DEP_1)
	v_mad_co_u64_u32 v[2:3], null, v2, 24, v[11:12]
	v_mad_co_u64_u32 v[6:7], null, v6, 24, v[3:4]
	s_delay_alu instid0(VALU_DEP_1)
	v_mov_b32_e32 v3, v6
	global_load_b64 v[32:33], v[2:3], off scope:SCOPE_SYS
	s_wait_loadcnt 0x0
	global_atomic_cmpswap_b64 v[2:3], v13, v[32:35], s[34:35] offset:24 th:TH_ATOMIC_RETURN scope:SCOPE_SYS
	s_wait_loadcnt 0x0
	global_inv scope:SCOPE_SYS
	v_cmp_eq_u64_e32 vcc_lo, v[2:3], v[34:35]
	s_wait_alu 0xfffe
	s_or_b32 s11, vcc_lo, s11
	s_wait_alu 0xfffe
	s_and_not1_b32 exec_lo, exec_lo, s11
	s_cbranch_execnz .LBB8_334
; %bb.335:                              ;   in Loop: Header=BB8_282 Depth=1
	s_or_b32 exec_lo, exec_lo, s11
.LBB8_336:                              ;   in Loop: Header=BB8_282 Depth=1
	s_wait_alu 0xfffe
	s_or_b32 exec_lo, exec_lo, s10
.LBB8_337:                              ;   in Loop: Header=BB8_282 Depth=1
	s_wait_alu 0xfffe
	s_or_b32 exec_lo, exec_lo, s1
	s_clause 0x1
	global_load_b64 v[6:7], v13, s[34:35] offset:40
	global_load_b128 v[32:35], v13, s[34:35]
	v_readfirstlane_b32 s1, v3
	v_readfirstlane_b32 s10, v2
	s_mov_b32 s11, exec_lo
	s_wait_loadcnt 0x1
	s_wait_alu 0xf1ff
	v_and_b32_e32 v7, s1, v7
	v_and_b32_e32 v6, s10, v6
	s_delay_alu instid0(VALU_DEP_2) | instskip(NEXT) | instid1(VALU_DEP_2)
	v_mul_lo_u32 v2, 24, v7
	v_mul_lo_u32 v3, 0, v6
	v_mul_hi_u32 v11, 24, v6
	v_mul_lo_u32 v12, 24, v6
	s_delay_alu instid0(VALU_DEP_3) | instskip(NEXT) | instid1(VALU_DEP_1)
	v_add_nc_u32_e32 v2, v2, v3
	v_add_nc_u32_e32 v3, v2, v11
	s_wait_loadcnt 0x0
	s_delay_alu instid0(VALU_DEP_3) | instskip(SKIP_1) | instid1(VALU_DEP_2)
	v_add_co_u32 v2, vcc_lo, v32, v12
	s_wait_alu 0xfffd
	v_add_co_ci_u32_e32 v3, vcc_lo, v33, v3, vcc_lo
	s_and_saveexec_b32 s16, s0
	s_cbranch_execz .LBB8_339
; %bb.338:                              ;   in Loop: Header=BB8_282 Depth=1
	s_wait_alu 0xfffe
	v_mov_b32_e32 v12, s11
	global_store_b128 v[2:3], v[12:15], off offset:8
.LBB8_339:                              ;   in Loop: Header=BB8_282 Depth=1
	s_wait_alu 0xfffe
	s_or_b32 exec_lo, exec_lo, s16
	v_cmp_gt_u64_e64 vcc_lo, s[4:5], 56
	v_lshlrev_b64_e32 v[6:7], 12, v[6:7]
	v_or_b32_e32 v11, 0, v10
	v_or_b32_e32 v12, v9, v36
	s_lshl_b32 s11, s6, 2
	s_wait_alu 0xfffe
	s_add_co_i32 s11, s11, 28
	s_wait_alu 0xfffd
	v_cndmask_b32_e32 v17, v11, v10, vcc_lo
	v_cndmask_b32_e32 v9, v12, v9, vcc_lo
	v_add_co_u32 v34, vcc_lo, v34, v6
	s_wait_alu 0xfffd
	v_add_co_ci_u32_e32 v35, vcc_lo, v35, v7, vcc_lo
	s_wait_alu 0xfffe
	s_and_b32 s11, s11, 0x1e0
	v_readfirstlane_b32 s16, v34
	s_wait_alu 0xfffe
	v_and_or_b32 v16, 0xffffff1f, v9, s11
	v_readfirstlane_b32 s17, v35
	s_clause 0x3
	global_store_b128 v51, v[16:19], s[16:17]
	global_store_b128 v51, v[20:23], s[16:17] offset:16
	global_store_b128 v51, v[24:27], s[16:17] offset:32
	;; [unrolled: 1-line block ×3, first 2 shown]
	s_and_saveexec_b32 s11, s0
	s_cbranch_execz .LBB8_347
; %bb.340:                              ;   in Loop: Header=BB8_282 Depth=1
	s_clause 0x1
	global_load_b64 v[18:19], v13, s[34:35] offset:32 scope:SCOPE_SYS
	global_load_b64 v[6:7], v13, s[34:35] offset:40
	s_mov_b32 s16, exec_lo
	v_dual_mov_b32 v16, s10 :: v_dual_mov_b32 v17, s1
	s_wait_loadcnt 0x0
	v_and_b32_e32 v7, s1, v7
	v_and_b32_e32 v6, s10, v6
	s_delay_alu instid0(VALU_DEP_2) | instskip(NEXT) | instid1(VALU_DEP_2)
	v_mul_lo_u32 v7, 24, v7
	v_mul_lo_u32 v9, 0, v6
	v_mul_hi_u32 v10, 24, v6
	v_mul_lo_u32 v6, 24, v6
	s_delay_alu instid0(VALU_DEP_3) | instskip(NEXT) | instid1(VALU_DEP_2)
	v_add_nc_u32_e32 v7, v7, v9
	v_add_co_u32 v6, vcc_lo, v32, v6
	s_delay_alu instid0(VALU_DEP_2) | instskip(SKIP_1) | instid1(VALU_DEP_1)
	v_add_nc_u32_e32 v7, v7, v10
	s_wait_alu 0xfffd
	v_add_co_ci_u32_e32 v7, vcc_lo, v33, v7, vcc_lo
	global_store_b64 v[6:7], v[18:19], off
	global_wb scope:SCOPE_SYS
	s_wait_storecnt 0x0
	global_atomic_cmpswap_b64 v[11:12], v13, v[16:19], s[34:35] offset:32 th:TH_ATOMIC_RETURN scope:SCOPE_SYS
	s_wait_loadcnt 0x0
	v_cmpx_ne_u64_e64 v[11:12], v[18:19]
	s_cbranch_execz .LBB8_343
; %bb.341:                              ;   in Loop: Header=BB8_282 Depth=1
	s_mov_b32 s17, 0
.LBB8_342:                              ;   Parent Loop BB8_282 Depth=1
                                        ; =>  This Inner Loop Header: Depth=2
	v_dual_mov_b32 v9, s10 :: v_dual_mov_b32 v10, s1
	s_sleep 1
	global_store_b64 v[6:7], v[11:12], off
	global_wb scope:SCOPE_SYS
	s_wait_storecnt 0x0
	global_atomic_cmpswap_b64 v[9:10], v13, v[9:12], s[34:35] offset:32 th:TH_ATOMIC_RETURN scope:SCOPE_SYS
	s_wait_loadcnt 0x0
	v_cmp_eq_u64_e32 vcc_lo, v[9:10], v[11:12]
	v_dual_mov_b32 v12, v10 :: v_dual_mov_b32 v11, v9
	s_wait_alu 0xfffe
	s_or_b32 s17, vcc_lo, s17
	s_wait_alu 0xfffe
	s_and_not1_b32 exec_lo, exec_lo, s17
	s_cbranch_execnz .LBB8_342
.LBB8_343:                              ;   in Loop: Header=BB8_282 Depth=1
	s_wait_alu 0xfffe
	s_or_b32 exec_lo, exec_lo, s16
	global_load_b64 v[6:7], v13, s[34:35] offset:16
	s_mov_b32 s17, exec_lo
	s_mov_b32 s16, exec_lo
	s_wait_alu 0xfffe
	v_mbcnt_lo_u32_b32 v9, s17, 0
	s_delay_alu instid0(VALU_DEP_1)
	v_cmpx_eq_u32_e32 0, v9
	s_cbranch_execz .LBB8_345
; %bb.344:                              ;   in Loop: Header=BB8_282 Depth=1
	s_bcnt1_i32_b32 s17, s17
	s_wait_alu 0xfffe
	v_mov_b32_e32 v12, s17
	global_wb scope:SCOPE_SYS
	s_wait_loadcnt 0x0
	global_atomic_add_u64 v[6:7], v[12:13], off offset:8 scope:SCOPE_SYS
.LBB8_345:                              ;   in Loop: Header=BB8_282 Depth=1
	s_or_b32 exec_lo, exec_lo, s16
	s_wait_loadcnt 0x0
	global_load_b64 v[9:10], v[6:7], off offset:16
	s_wait_loadcnt 0x0
	v_cmp_eq_u64_e32 vcc_lo, 0, v[9:10]
	s_cbranch_vccnz .LBB8_347
; %bb.346:                              ;   in Loop: Header=BB8_282 Depth=1
	global_load_b32 v12, v[6:7], off offset:24
	s_wait_loadcnt 0x0
	v_and_b32_e32 v6, 0xffffff, v12
	global_wb scope:SCOPE_SYS
	s_wait_storecnt 0x0
	global_store_b64 v[9:10], v[12:13], off scope:SCOPE_SYS
	v_readfirstlane_b32 m0, v6
	s_sendmsg sendmsg(MSG_INTERRUPT)
.LBB8_347:                              ;   in Loop: Header=BB8_282 Depth=1
	s_wait_alu 0xfffe
	s_or_b32 exec_lo, exec_lo, s11
	v_add_co_u32 v6, vcc_lo, v34, v51
	s_wait_alu 0xfffd
	v_add_co_ci_u32_e32 v7, vcc_lo, 0, v35, vcc_lo
	s_branch .LBB8_351
.LBB8_348:                              ;   in Loop: Header=BB8_351 Depth=2
	s_wait_alu 0xfffe
	s_or_b32 exec_lo, exec_lo, s11
	s_delay_alu instid0(VALU_DEP_1) | instskip(NEXT) | instid1(VALU_DEP_1)
	v_readfirstlane_b32 s11, v9
	s_cmp_eq_u32 s11, 0
	s_cbranch_scc1 .LBB8_350
; %bb.349:                              ;   in Loop: Header=BB8_351 Depth=2
	s_sleep 1
	s_cbranch_execnz .LBB8_351
	s_branch .LBB8_353
.LBB8_350:                              ;   in Loop: Header=BB8_282 Depth=1
	s_branch .LBB8_353
.LBB8_351:                              ;   Parent Loop BB8_282 Depth=1
                                        ; =>  This Inner Loop Header: Depth=2
	v_mov_b32_e32 v9, 1
	s_and_saveexec_b32 s11, s0
	s_cbranch_execz .LBB8_348
; %bb.352:                              ;   in Loop: Header=BB8_351 Depth=2
	global_load_b32 v9, v[2:3], off offset:20 scope:SCOPE_SYS
	s_wait_loadcnt 0x0
	global_inv scope:SCOPE_SYS
	v_and_b32_e32 v9, 1, v9
	s_branch .LBB8_348
.LBB8_353:                              ;   in Loop: Header=BB8_282 Depth=1
	global_load_b128 v[9:12], v[6:7], off
	s_and_saveexec_b32 s11, s0
	s_cbranch_execz .LBB8_281
; %bb.354:                              ;   in Loop: Header=BB8_282 Depth=1
	s_clause 0x2
	global_load_b64 v[2:3], v13, s[34:35] offset:40
	global_load_b64 v[6:7], v13, s[34:35] offset:24 scope:SCOPE_SYS
	global_load_b64 v[11:12], v13, s[34:35]
	s_wait_loadcnt 0x2
	v_add_co_u32 v18, vcc_lo, v2, 1
	s_wait_alu 0xfffd
	v_add_co_ci_u32_e32 v19, vcc_lo, 0, v3, vcc_lo
	s_delay_alu instid0(VALU_DEP_2) | instskip(SKIP_1) | instid1(VALU_DEP_2)
	v_add_co_u32 v16, vcc_lo, v18, s10
	s_wait_alu 0xfffd
	v_add_co_ci_u32_e32 v17, vcc_lo, s1, v19, vcc_lo
	s_delay_alu instid0(VALU_DEP_1) | instskip(SKIP_2) | instid1(VALU_DEP_1)
	v_cmp_eq_u64_e32 vcc_lo, 0, v[16:17]
	s_wait_alu 0xfffd
	v_dual_cndmask_b32 v17, v17, v19 :: v_dual_cndmask_b32 v16, v16, v18
	v_and_b32_e32 v3, v17, v3
	s_delay_alu instid0(VALU_DEP_2) | instskip(NEXT) | instid1(VALU_DEP_2)
	v_and_b32_e32 v2, v16, v2
	v_mul_lo_u32 v3, 24, v3
	s_delay_alu instid0(VALU_DEP_2) | instskip(SKIP_2) | instid1(VALU_DEP_2)
	v_mul_lo_u32 v18, 0, v2
	v_mul_hi_u32 v19, 24, v2
	s_wait_loadcnt 0x1
	v_dual_mov_b32 v18, v6 :: v_dual_add_nc_u32 v3, v3, v18
	s_delay_alu instid0(VALU_DEP_1) | instskip(SKIP_3) | instid1(VALU_DEP_1)
	v_add_nc_u32_e32 v3, v3, v19
	v_mov_b32_e32 v19, v7
	v_mul_lo_u32 v2, 24, v2
	s_wait_loadcnt 0x0
	v_add_co_u32 v2, vcc_lo, v11, v2
	s_wait_alu 0xfffd
	v_add_co_ci_u32_e32 v3, vcc_lo, v12, v3, vcc_lo
	global_store_b64 v[2:3], v[6:7], off
	global_wb scope:SCOPE_SYS
	s_wait_storecnt 0x0
	global_atomic_cmpswap_b64 v[18:19], v13, v[16:19], s[34:35] offset:24 th:TH_ATOMIC_RETURN scope:SCOPE_SYS
	s_wait_loadcnt 0x0
	v_cmp_ne_u64_e32 vcc_lo, v[18:19], v[6:7]
	s_and_b32 exec_lo, exec_lo, vcc_lo
	s_cbranch_execz .LBB8_281
; %bb.355:                              ;   in Loop: Header=BB8_282 Depth=1
	s_mov_b32 s0, 0
.LBB8_356:                              ;   Parent Loop BB8_282 Depth=1
                                        ; =>  This Inner Loop Header: Depth=2
	s_sleep 1
	global_store_b64 v[2:3], v[18:19], off
	global_wb scope:SCOPE_SYS
	s_wait_storecnt 0x0
	global_atomic_cmpswap_b64 v[6:7], v13, v[16:19], s[34:35] offset:24 th:TH_ATOMIC_RETURN scope:SCOPE_SYS
	s_wait_loadcnt 0x0
	v_cmp_eq_u64_e32 vcc_lo, v[6:7], v[18:19]
	v_dual_mov_b32 v19, v7 :: v_dual_mov_b32 v18, v6
	s_wait_alu 0xfffe
	s_or_b32 s0, vcc_lo, s0
	s_wait_alu 0xfffe
	s_and_not1_b32 exec_lo, exec_lo, s0
	s_cbranch_execnz .LBB8_356
	s_branch .LBB8_281
.LBB8_357:
	s_branch .LBB8_386
.LBB8_358:
                                        ; implicit-def: $vgpr9_vgpr10
	s_cbranch_execz .LBB8_386
; %bb.359:
	v_readfirstlane_b32 s0, v52
	v_mov_b32_e32 v6, 0
	v_mov_b32_e32 v7, 0
	s_wait_alu 0xf1ff
	s_delay_alu instid0(VALU_DEP_3) | instskip(NEXT) | instid1(VALU_DEP_1)
	v_cmp_eq_u32_e64 s0, s0, v52
	s_and_saveexec_b32 s1, s0
	s_cbranch_execz .LBB8_365
; %bb.360:
	v_mov_b32_e32 v2, 0
	s_mov_b32 s2, exec_lo
	global_load_b64 v[11:12], v2, s[34:35] offset:24 scope:SCOPE_SYS
	s_wait_loadcnt 0x0
	global_inv scope:SCOPE_SYS
	s_clause 0x1
	global_load_b64 v[6:7], v2, s[34:35] offset:40
	global_load_b64 v[9:10], v2, s[34:35]
	s_wait_loadcnt 0x1
	v_and_b32_e32 v3, v7, v12
	v_and_b32_e32 v6, v6, v11
	s_delay_alu instid0(VALU_DEP_2) | instskip(NEXT) | instid1(VALU_DEP_2)
	v_mul_lo_u32 v3, 24, v3
	v_mul_lo_u32 v7, 0, v6
	v_mul_hi_u32 v13, 24, v6
	v_mul_lo_u32 v6, 24, v6
	s_delay_alu instid0(VALU_DEP_3) | instskip(SKIP_1) | instid1(VALU_DEP_2)
	v_add_nc_u32_e32 v3, v3, v7
	s_wait_loadcnt 0x0
	v_add_co_u32 v6, vcc_lo, v9, v6
	s_delay_alu instid0(VALU_DEP_2) | instskip(SKIP_1) | instid1(VALU_DEP_1)
	v_add_nc_u32_e32 v3, v3, v13
	s_wait_alu 0xfffd
	v_add_co_ci_u32_e32 v7, vcc_lo, v10, v3, vcc_lo
	global_load_b64 v[9:10], v[6:7], off scope:SCOPE_SYS
	s_wait_loadcnt 0x0
	global_atomic_cmpswap_b64 v[6:7], v2, v[9:12], s[34:35] offset:24 th:TH_ATOMIC_RETURN scope:SCOPE_SYS
	s_wait_loadcnt 0x0
	global_inv scope:SCOPE_SYS
	v_cmpx_ne_u64_e64 v[6:7], v[11:12]
	s_cbranch_execz .LBB8_364
; %bb.361:
	s_mov_b32 s3, 0
.LBB8_362:                              ; =>This Inner Loop Header: Depth=1
	s_sleep 1
	s_clause 0x1
	global_load_b64 v[9:10], v2, s[34:35] offset:40
	global_load_b64 v[13:14], v2, s[34:35]
	v_dual_mov_b32 v12, v7 :: v_dual_mov_b32 v11, v6
	s_wait_loadcnt 0x1
	s_delay_alu instid0(VALU_DEP_1) | instskip(NEXT) | instid1(VALU_DEP_2)
	v_and_b32_e32 v3, v9, v11
	v_and_b32_e32 v9, v10, v12
	s_wait_loadcnt 0x0
	s_delay_alu instid0(VALU_DEP_2) | instskip(NEXT) | instid1(VALU_DEP_1)
	v_mad_co_u64_u32 v[6:7], null, v3, 24, v[13:14]
	v_mov_b32_e32 v3, v7
	s_delay_alu instid0(VALU_DEP_1) | instskip(NEXT) | instid1(VALU_DEP_1)
	v_mad_co_u64_u32 v[9:10], null, v9, 24, v[3:4]
	v_mov_b32_e32 v7, v9
	global_load_b64 v[9:10], v[6:7], off scope:SCOPE_SYS
	s_wait_loadcnt 0x0
	global_atomic_cmpswap_b64 v[6:7], v2, v[9:12], s[34:35] offset:24 th:TH_ATOMIC_RETURN scope:SCOPE_SYS
	s_wait_loadcnt 0x0
	global_inv scope:SCOPE_SYS
	v_cmp_eq_u64_e32 vcc_lo, v[6:7], v[11:12]
	s_wait_alu 0xfffe
	s_or_b32 s3, vcc_lo, s3
	s_wait_alu 0xfffe
	s_and_not1_b32 exec_lo, exec_lo, s3
	s_cbranch_execnz .LBB8_362
; %bb.363:
	s_or_b32 exec_lo, exec_lo, s3
.LBB8_364:
	s_wait_alu 0xfffe
	s_or_b32 exec_lo, exec_lo, s2
.LBB8_365:
	s_wait_alu 0xfffe
	s_or_b32 exec_lo, exec_lo, s1
	v_readfirstlane_b32 s2, v6
	v_mov_b32_e32 v2, 0
	v_readfirstlane_b32 s1, v7
	s_mov_b32 s3, exec_lo
	s_clause 0x1
	global_load_b64 v[13:14], v2, s[34:35] offset:40
	global_load_b128 v[9:12], v2, s[34:35]
	s_wait_loadcnt 0x1
	s_wait_alu 0xf1ff
	v_and_b32_e32 v13, s2, v13
	v_and_b32_e32 v14, s1, v14
	s_delay_alu instid0(VALU_DEP_2) | instskip(NEXT) | instid1(VALU_DEP_2)
	v_mul_lo_u32 v6, 0, v13
	v_mul_lo_u32 v3, 24, v14
	v_mul_hi_u32 v7, 24, v13
	v_mul_lo_u32 v15, 24, v13
	s_delay_alu instid0(VALU_DEP_3) | instskip(SKIP_1) | instid1(VALU_DEP_2)
	v_add_nc_u32_e32 v3, v3, v6
	s_wait_loadcnt 0x0
	v_add_co_u32 v6, vcc_lo, v9, v15
	s_delay_alu instid0(VALU_DEP_2) | instskip(SKIP_1) | instid1(VALU_DEP_1)
	v_add_nc_u32_e32 v3, v3, v7
	s_wait_alu 0xfffd
	v_add_co_ci_u32_e32 v7, vcc_lo, v10, v3, vcc_lo
	s_and_saveexec_b32 s4, s0
	s_cbranch_execz .LBB8_367
; %bb.366:
	s_wait_alu 0xfffe
	v_dual_mov_b32 v15, s3 :: v_dual_mov_b32 v16, v2
	v_dual_mov_b32 v17, 2 :: v_dual_mov_b32 v18, 1
	global_store_b128 v[6:7], v[15:18], off offset:8
.LBB8_367:
	s_wait_alu 0xfffe
	s_or_b32 exec_lo, exec_lo, s4
	v_lshlrev_b64_e32 v[13:14], 12, v[13:14]
	s_mov_b32 s4, 0
	v_and_or_b32 v0, 0xffffff1f, v0, 32
	s_wait_alu 0xfffe
	s_mov_b32 s7, s4
	s_mov_b32 s5, s4
	;; [unrolled: 1-line block ×3, first 2 shown]
	v_add_co_u32 v11, vcc_lo, v11, v13
	s_wait_alu 0xfffd
	v_add_co_ci_u32_e32 v12, vcc_lo, v12, v14, vcc_lo
	s_wait_alu 0xfffe
	v_dual_mov_b32 v3, v2 :: v_dual_mov_b32 v16, s7
	v_readfirstlane_b32 s10, v11
	v_add_co_u32 v11, vcc_lo, v11, v51
	v_readfirstlane_b32 s11, v12
	s_wait_alu 0xfffd
	v_add_co_ci_u32_e32 v12, vcc_lo, 0, v12, vcc_lo
	v_dual_mov_b32 v15, s6 :: v_dual_mov_b32 v14, s5
	v_mov_b32_e32 v13, s4
	s_clause 0x3
	global_store_b128 v51, v[0:3], s[10:11]
	global_store_b128 v51, v[13:16], s[10:11] offset:16
	global_store_b128 v51, v[13:16], s[10:11] offset:32
	;; [unrolled: 1-line block ×3, first 2 shown]
	s_and_saveexec_b32 s3, s0
	s_cbranch_execz .LBB8_375
; %bb.368:
	v_mov_b32_e32 v13, 0
	v_mov_b32_e32 v15, s1
	s_mov_b32 s4, exec_lo
	s_clause 0x1
	global_load_b64 v[16:17], v13, s[34:35] offset:32 scope:SCOPE_SYS
	global_load_b64 v[0:1], v13, s[34:35] offset:40
	v_mov_b32_e32 v14, s2
	s_wait_loadcnt 0x0
	v_and_b32_e32 v0, s2, v0
	v_and_b32_e32 v1, s1, v1
	s_delay_alu instid0(VALU_DEP_2) | instskip(NEXT) | instid1(VALU_DEP_2)
	v_mul_lo_u32 v2, 0, v0
	v_mul_lo_u32 v1, 24, v1
	v_mul_hi_u32 v3, 24, v0
	v_mul_lo_u32 v0, 24, v0
	s_delay_alu instid0(VALU_DEP_3) | instskip(NEXT) | instid1(VALU_DEP_2)
	v_add_nc_u32_e32 v1, v1, v2
	v_add_co_u32 v9, vcc_lo, v9, v0
	s_delay_alu instid0(VALU_DEP_2) | instskip(SKIP_1) | instid1(VALU_DEP_1)
	v_add_nc_u32_e32 v1, v1, v3
	s_wait_alu 0xfffd
	v_add_co_ci_u32_e32 v10, vcc_lo, v10, v1, vcc_lo
	global_store_b64 v[9:10], v[16:17], off
	global_wb scope:SCOPE_SYS
	s_wait_storecnt 0x0
	global_atomic_cmpswap_b64 v[2:3], v13, v[14:17], s[34:35] offset:32 th:TH_ATOMIC_RETURN scope:SCOPE_SYS
	s_wait_loadcnt 0x0
	v_cmpx_ne_u64_e64 v[2:3], v[16:17]
	s_cbranch_execz .LBB8_371
; %bb.369:
	s_mov_b32 s5, 0
.LBB8_370:                              ; =>This Inner Loop Header: Depth=1
	v_dual_mov_b32 v0, s2 :: v_dual_mov_b32 v1, s1
	s_sleep 1
	global_store_b64 v[9:10], v[2:3], off
	global_wb scope:SCOPE_SYS
	s_wait_storecnt 0x0
	global_atomic_cmpswap_b64 v[0:1], v13, v[0:3], s[34:35] offset:32 th:TH_ATOMIC_RETURN scope:SCOPE_SYS
	s_wait_loadcnt 0x0
	v_cmp_eq_u64_e32 vcc_lo, v[0:1], v[2:3]
	v_dual_mov_b32 v3, v1 :: v_dual_mov_b32 v2, v0
	s_wait_alu 0xfffe
	s_or_b32 s5, vcc_lo, s5
	s_wait_alu 0xfffe
	s_and_not1_b32 exec_lo, exec_lo, s5
	s_cbranch_execnz .LBB8_370
.LBB8_371:
	s_wait_alu 0xfffe
	s_or_b32 exec_lo, exec_lo, s4
	v_mov_b32_e32 v3, 0
	s_mov_b32 s5, exec_lo
	s_mov_b32 s4, exec_lo
	s_wait_alu 0xfffe
	v_mbcnt_lo_u32_b32 v2, s5, 0
	global_load_b64 v[0:1], v3, s[34:35] offset:16
	v_cmpx_eq_u32_e32 0, v2
	s_cbranch_execz .LBB8_373
; %bb.372:
	s_bcnt1_i32_b32 s5, s5
	s_wait_alu 0xfffe
	v_mov_b32_e32 v2, s5
	global_wb scope:SCOPE_SYS
	s_wait_loadcnt 0x0
	global_atomic_add_u64 v[0:1], v[2:3], off offset:8 scope:SCOPE_SYS
.LBB8_373:
	s_or_b32 exec_lo, exec_lo, s4
	s_wait_loadcnt 0x0
	global_load_b64 v[2:3], v[0:1], off offset:16
	s_wait_loadcnt 0x0
	v_cmp_eq_u64_e32 vcc_lo, 0, v[2:3]
	s_cbranch_vccnz .LBB8_375
; %bb.374:
	global_load_b32 v0, v[0:1], off offset:24
	v_mov_b32_e32 v1, 0
	s_wait_loadcnt 0x0
	v_and_b32_e32 v9, 0xffffff, v0
	global_wb scope:SCOPE_SYS
	s_wait_storecnt 0x0
	global_store_b64 v[2:3], v[0:1], off scope:SCOPE_SYS
	v_readfirstlane_b32 m0, v9
	s_sendmsg sendmsg(MSG_INTERRUPT)
.LBB8_375:
	s_wait_alu 0xfffe
	s_or_b32 exec_lo, exec_lo, s3
	s_branch .LBB8_379
.LBB8_376:                              ;   in Loop: Header=BB8_379 Depth=1
	s_wait_alu 0xfffe
	s_or_b32 exec_lo, exec_lo, s3
	s_delay_alu instid0(VALU_DEP_1) | instskip(NEXT) | instid1(VALU_DEP_1)
	v_readfirstlane_b32 s3, v0
	s_cmp_eq_u32 s3, 0
	s_cbranch_scc1 .LBB8_378
; %bb.377:                              ;   in Loop: Header=BB8_379 Depth=1
	s_sleep 1
	s_cbranch_execnz .LBB8_379
	s_branch .LBB8_381
.LBB8_378:
	s_branch .LBB8_381
.LBB8_379:                              ; =>This Inner Loop Header: Depth=1
	v_mov_b32_e32 v0, 1
	s_and_saveexec_b32 s3, s0
	s_cbranch_execz .LBB8_376
; %bb.380:                              ;   in Loop: Header=BB8_379 Depth=1
	global_load_b32 v0, v[6:7], off offset:20 scope:SCOPE_SYS
	s_wait_loadcnt 0x0
	global_inv scope:SCOPE_SYS
	v_and_b32_e32 v0, 1, v0
	s_branch .LBB8_376
.LBB8_381:
	global_load_b64 v[9:10], v[11:12], off
	s_and_saveexec_b32 s3, s0
	s_cbranch_execz .LBB8_385
; %bb.382:
	v_mov_b32_e32 v11, 0
	s_clause 0x2
	global_load_b64 v[2:3], v11, s[34:35] offset:40
	global_load_b64 v[12:13], v11, s[34:35] offset:24 scope:SCOPE_SYS
	global_load_b64 v[6:7], v11, s[34:35]
	s_wait_loadcnt 0x2
	v_add_co_u32 v14, vcc_lo, v2, 1
	s_wait_alu 0xfffd
	v_add_co_ci_u32_e32 v15, vcc_lo, 0, v3, vcc_lo
	s_delay_alu instid0(VALU_DEP_2) | instskip(SKIP_1) | instid1(VALU_DEP_2)
	v_add_co_u32 v0, vcc_lo, v14, s2
	s_wait_alu 0xfffd
	v_add_co_ci_u32_e32 v1, vcc_lo, s1, v15, vcc_lo
	s_delay_alu instid0(VALU_DEP_1) | instskip(SKIP_2) | instid1(VALU_DEP_1)
	v_cmp_eq_u64_e32 vcc_lo, 0, v[0:1]
	s_wait_alu 0xfffd
	v_dual_cndmask_b32 v0, v0, v14 :: v_dual_cndmask_b32 v1, v1, v15
	v_and_b32_e32 v2, v0, v2
	s_delay_alu instid0(VALU_DEP_2) | instskip(NEXT) | instid1(VALU_DEP_2)
	v_and_b32_e32 v3, v1, v3
	v_mul_lo_u32 v14, 0, v2
	v_mul_hi_u32 v15, 24, v2
	v_mul_lo_u32 v2, 24, v2
	s_wait_loadcnt 0x0
	s_delay_alu instid0(VALU_DEP_1) | instskip(SKIP_2) | instid1(VALU_DEP_1)
	v_add_co_u32 v6, vcc_lo, v6, v2
	v_mov_b32_e32 v2, v12
	v_mul_lo_u32 v3, 24, v3
	v_add_nc_u32_e32 v3, v3, v14
	s_delay_alu instid0(VALU_DEP_1) | instskip(SKIP_1) | instid1(VALU_DEP_1)
	v_add_nc_u32_e32 v3, v3, v15
	s_wait_alu 0xfffd
	v_add_co_ci_u32_e32 v7, vcc_lo, v7, v3, vcc_lo
	v_mov_b32_e32 v3, v13
	global_store_b64 v[6:7], v[12:13], off
	global_wb scope:SCOPE_SYS
	s_wait_storecnt 0x0
	global_atomic_cmpswap_b64 v[2:3], v11, v[0:3], s[34:35] offset:24 th:TH_ATOMIC_RETURN scope:SCOPE_SYS
	s_wait_loadcnt 0x0
	v_cmp_ne_u64_e32 vcc_lo, v[2:3], v[12:13]
	s_and_b32 exec_lo, exec_lo, vcc_lo
	s_cbranch_execz .LBB8_385
; %bb.383:
	s_mov_b32 s0, 0
.LBB8_384:                              ; =>This Inner Loop Header: Depth=1
	s_sleep 1
	global_store_b64 v[6:7], v[2:3], off
	global_wb scope:SCOPE_SYS
	s_wait_storecnt 0x0
	global_atomic_cmpswap_b64 v[12:13], v11, v[0:3], s[34:35] offset:24 th:TH_ATOMIC_RETURN scope:SCOPE_SYS
	s_wait_loadcnt 0x0
	v_cmp_eq_u64_e32 vcc_lo, v[12:13], v[2:3]
	v_dual_mov_b32 v2, v12 :: v_dual_mov_b32 v3, v13
	s_wait_alu 0xfffe
	s_or_b32 s0, vcc_lo, s0
	s_wait_alu 0xfffe
	s_and_not1_b32 exec_lo, exec_lo, s0
	s_cbranch_execnz .LBB8_384
.LBB8_385:
	s_wait_alu 0xfffe
	s_or_b32 exec_lo, exec_lo, s3
.LBB8_386:
	v_readfirstlane_b32 s0, v52
	v_mov_b32_e32 v6, 0
	v_mov_b32_e32 v7, 0
	s_wait_alu 0xf1ff
	s_delay_alu instid0(VALU_DEP_3) | instskip(NEXT) | instid1(VALU_DEP_1)
	v_cmp_eq_u32_e64 s0, s0, v52
	s_and_saveexec_b32 s1, s0
	s_cbranch_execz .LBB8_392
; %bb.387:
	s_wait_loadcnt 0x0
	v_mov_b32_e32 v0, 0
	s_mov_b32 s2, exec_lo
	global_load_b64 v[13:14], v0, s[34:35] offset:24 scope:SCOPE_SYS
	s_wait_loadcnt 0x0
	global_inv scope:SCOPE_SYS
	s_clause 0x1
	global_load_b64 v[1:2], v0, s[34:35] offset:40
	global_load_b64 v[6:7], v0, s[34:35]
	s_wait_loadcnt 0x1
	v_and_b32_e32 v1, v1, v13
	v_and_b32_e32 v2, v2, v14
	s_delay_alu instid0(VALU_DEP_2) | instskip(NEXT) | instid1(VALU_DEP_2)
	v_mul_lo_u32 v3, 0, v1
	v_mul_lo_u32 v2, 24, v2
	v_mul_hi_u32 v11, 24, v1
	v_mul_lo_u32 v1, 24, v1
	s_delay_alu instid0(VALU_DEP_3) | instskip(SKIP_1) | instid1(VALU_DEP_2)
	v_add_nc_u32_e32 v2, v2, v3
	s_wait_loadcnt 0x0
	v_add_co_u32 v1, vcc_lo, v6, v1
	s_delay_alu instid0(VALU_DEP_2) | instskip(SKIP_1) | instid1(VALU_DEP_1)
	v_add_nc_u32_e32 v2, v2, v11
	s_wait_alu 0xfffd
	v_add_co_ci_u32_e32 v2, vcc_lo, v7, v2, vcc_lo
	global_load_b64 v[11:12], v[1:2], off scope:SCOPE_SYS
	s_wait_loadcnt 0x0
	global_atomic_cmpswap_b64 v[6:7], v0, v[11:14], s[34:35] offset:24 th:TH_ATOMIC_RETURN scope:SCOPE_SYS
	s_wait_loadcnt 0x0
	global_inv scope:SCOPE_SYS
	v_cmpx_ne_u64_e64 v[6:7], v[13:14]
	s_cbranch_execz .LBB8_391
; %bb.388:
	s_mov_b32 s3, 0
.LBB8_389:                              ; =>This Inner Loop Header: Depth=1
	s_sleep 1
	s_clause 0x1
	global_load_b64 v[1:2], v0, s[34:35] offset:40
	global_load_b64 v[11:12], v0, s[34:35]
	v_dual_mov_b32 v14, v7 :: v_dual_mov_b32 v13, v6
	s_wait_loadcnt 0x1
	s_delay_alu instid0(VALU_DEP_1) | instskip(SKIP_1) | instid1(VALU_DEP_1)
	v_and_b32_e32 v1, v1, v13
	s_wait_loadcnt 0x0
	v_mad_co_u64_u32 v[6:7], null, v1, 24, v[11:12]
	s_delay_alu instid0(VALU_DEP_1) | instskip(NEXT) | instid1(VALU_DEP_1)
	v_dual_mov_b32 v1, v7 :: v_dual_and_b32 v2, v2, v14
	v_mad_co_u64_u32 v[1:2], null, v2, 24, v[1:2]
	s_delay_alu instid0(VALU_DEP_1)
	v_mov_b32_e32 v7, v1
	global_load_b64 v[11:12], v[6:7], off scope:SCOPE_SYS
	s_wait_loadcnt 0x0
	global_atomic_cmpswap_b64 v[6:7], v0, v[11:14], s[34:35] offset:24 th:TH_ATOMIC_RETURN scope:SCOPE_SYS
	s_wait_loadcnt 0x0
	global_inv scope:SCOPE_SYS
	v_cmp_eq_u64_e32 vcc_lo, v[6:7], v[13:14]
	s_wait_alu 0xfffe
	s_or_b32 s3, vcc_lo, s3
	s_wait_alu 0xfffe
	s_and_not1_b32 exec_lo, exec_lo, s3
	s_cbranch_execnz .LBB8_389
; %bb.390:
	s_or_b32 exec_lo, exec_lo, s3
.LBB8_391:
	s_wait_alu 0xfffe
	s_or_b32 exec_lo, exec_lo, s2
.LBB8_392:
	s_wait_alu 0xfffe
	s_or_b32 exec_lo, exec_lo, s1
	v_readfirstlane_b32 s2, v6
	s_wait_loadcnt 0x0
	v_mov_b32_e32 v12, 0
	v_readfirstlane_b32 s1, v7
	s_mov_b32 s3, exec_lo
	s_clause 0x1
	global_load_b64 v[13:14], v12, s[34:35] offset:40
	global_load_b128 v[0:3], v12, s[34:35]
	s_wait_loadcnt 0x1
	s_wait_alu 0xf1ff
	v_and_b32_e32 v13, s2, v13
	v_and_b32_e32 v14, s1, v14
	s_delay_alu instid0(VALU_DEP_2) | instskip(NEXT) | instid1(VALU_DEP_2)
	v_mul_lo_u32 v7, 0, v13
	v_mul_lo_u32 v6, 24, v14
	v_mul_hi_u32 v11, 24, v13
	v_mul_lo_u32 v15, 24, v13
	s_delay_alu instid0(VALU_DEP_3) | instskip(NEXT) | instid1(VALU_DEP_1)
	v_add_nc_u32_e32 v6, v6, v7
	v_add_nc_u32_e32 v7, v6, v11
	s_wait_loadcnt 0x0
	s_delay_alu instid0(VALU_DEP_3) | instskip(SKIP_1) | instid1(VALU_DEP_2)
	v_add_co_u32 v6, vcc_lo, v0, v15
	s_wait_alu 0xfffd
	v_add_co_ci_u32_e32 v7, vcc_lo, v1, v7, vcc_lo
	s_and_saveexec_b32 s4, s0
	s_cbranch_execz .LBB8_394
; %bb.393:
	s_wait_alu 0xfffe
	v_dual_mov_b32 v11, s3 :: v_dual_mov_b32 v18, 1
	v_dual_mov_b32 v17, 2 :: v_dual_mov_b32 v16, v12
	s_delay_alu instid0(VALU_DEP_2)
	v_mov_b32_e32 v15, v11
	global_store_b128 v[6:7], v[15:18], off offset:8
.LBB8_394:
	s_wait_alu 0xfffe
	s_or_b32 exec_lo, exec_lo, s4
	v_lshlrev_b64_e32 v[13:14], 12, v[13:14]
	s_mov_b32 s4, 0
	v_and_or_b32 v9, 0xffffff1d, v9, 34
	s_wait_alu 0xfffe
	s_mov_b32 s7, s4
	s_mov_b32 s5, s4
	;; [unrolled: 1-line block ×3, first 2 shown]
	v_add_co_u32 v2, vcc_lo, v2, v13
	s_wait_alu 0xfffd
	v_add_co_ci_u32_e32 v3, vcc_lo, v3, v14, vcc_lo
	s_wait_alu 0xfffe
	v_dual_mov_b32 v11, 10 :: v_dual_mov_b32 v16, s7
	v_readfirstlane_b32 s10, v2
	s_delay_alu instid0(VALU_DEP_3)
	v_readfirstlane_b32 s11, v3
	v_dual_mov_b32 v15, s6 :: v_dual_mov_b32 v14, s5
	v_mov_b32_e32 v13, s4
	s_clause 0x3
	global_store_b128 v51, v[9:12], s[10:11]
	global_store_b128 v51, v[13:16], s[10:11] offset:16
	global_store_b128 v51, v[13:16], s[10:11] offset:32
	;; [unrolled: 1-line block ×3, first 2 shown]
	s_and_saveexec_b32 s3, s0
	s_cbranch_execz .LBB8_402
; %bb.395:
	v_mov_b32_e32 v11, 0
	v_mov_b32_e32 v13, s1
	s_mov_b32 s4, exec_lo
	s_clause 0x1
	global_load_b64 v[14:15], v11, s[34:35] offset:32 scope:SCOPE_SYS
	global_load_b64 v[2:3], v11, s[34:35] offset:40
	v_mov_b32_e32 v12, s2
	s_wait_loadcnt 0x0
	v_and_b32_e32 v2, s2, v2
	v_and_b32_e32 v3, s1, v3
	s_delay_alu instid0(VALU_DEP_2) | instskip(NEXT) | instid1(VALU_DEP_2)
	v_mul_lo_u32 v9, 0, v2
	v_mul_lo_u32 v3, 24, v3
	v_mul_hi_u32 v10, 24, v2
	v_mul_lo_u32 v2, 24, v2
	s_delay_alu instid0(VALU_DEP_3) | instskip(NEXT) | instid1(VALU_DEP_2)
	v_add_nc_u32_e32 v3, v3, v9
	v_add_co_u32 v9, vcc_lo, v0, v2
	s_delay_alu instid0(VALU_DEP_2) | instskip(SKIP_1) | instid1(VALU_DEP_1)
	v_add_nc_u32_e32 v3, v3, v10
	s_wait_alu 0xfffd
	v_add_co_ci_u32_e32 v10, vcc_lo, v1, v3, vcc_lo
	global_store_b64 v[9:10], v[14:15], off
	global_wb scope:SCOPE_SYS
	s_wait_storecnt 0x0
	global_atomic_cmpswap_b64 v[2:3], v11, v[12:15], s[34:35] offset:32 th:TH_ATOMIC_RETURN scope:SCOPE_SYS
	s_wait_loadcnt 0x0
	v_cmpx_ne_u64_e64 v[2:3], v[14:15]
	s_cbranch_execz .LBB8_398
; %bb.396:
	s_mov_b32 s5, 0
.LBB8_397:                              ; =>This Inner Loop Header: Depth=1
	v_dual_mov_b32 v0, s2 :: v_dual_mov_b32 v1, s1
	s_sleep 1
	global_store_b64 v[9:10], v[2:3], off
	global_wb scope:SCOPE_SYS
	s_wait_storecnt 0x0
	global_atomic_cmpswap_b64 v[0:1], v11, v[0:3], s[34:35] offset:32 th:TH_ATOMIC_RETURN scope:SCOPE_SYS
	s_wait_loadcnt 0x0
	v_cmp_eq_u64_e32 vcc_lo, v[0:1], v[2:3]
	v_dual_mov_b32 v3, v1 :: v_dual_mov_b32 v2, v0
	s_wait_alu 0xfffe
	s_or_b32 s5, vcc_lo, s5
	s_wait_alu 0xfffe
	s_and_not1_b32 exec_lo, exec_lo, s5
	s_cbranch_execnz .LBB8_397
.LBB8_398:
	s_wait_alu 0xfffe
	s_or_b32 exec_lo, exec_lo, s4
	v_mov_b32_e32 v3, 0
	s_mov_b32 s5, exec_lo
	s_mov_b32 s4, exec_lo
	s_wait_alu 0xfffe
	v_mbcnt_lo_u32_b32 v2, s5, 0
	global_load_b64 v[0:1], v3, s[34:35] offset:16
	v_cmpx_eq_u32_e32 0, v2
	s_cbranch_execz .LBB8_400
; %bb.399:
	s_bcnt1_i32_b32 s5, s5
	s_wait_alu 0xfffe
	v_mov_b32_e32 v2, s5
	global_wb scope:SCOPE_SYS
	s_wait_loadcnt 0x0
	global_atomic_add_u64 v[0:1], v[2:3], off offset:8 scope:SCOPE_SYS
.LBB8_400:
	s_or_b32 exec_lo, exec_lo, s4
	s_wait_loadcnt 0x0
	global_load_b64 v[2:3], v[0:1], off offset:16
	s_wait_loadcnt 0x0
	v_cmp_eq_u64_e32 vcc_lo, 0, v[2:3]
	s_cbranch_vccnz .LBB8_402
; %bb.401:
	global_load_b32 v0, v[0:1], off offset:24
	v_mov_b32_e32 v1, 0
	s_wait_loadcnt 0x0
	v_and_b32_e32 v9, 0xffffff, v0
	global_wb scope:SCOPE_SYS
	s_wait_storecnt 0x0
	global_store_b64 v[2:3], v[0:1], off scope:SCOPE_SYS
	v_readfirstlane_b32 m0, v9
	s_sendmsg sendmsg(MSG_INTERRUPT)
.LBB8_402:
	s_wait_alu 0xfffe
	s_or_b32 exec_lo, exec_lo, s3
	s_branch .LBB8_406
.LBB8_403:                              ;   in Loop: Header=BB8_406 Depth=1
	s_wait_alu 0xfffe
	s_or_b32 exec_lo, exec_lo, s3
	s_delay_alu instid0(VALU_DEP_1) | instskip(NEXT) | instid1(VALU_DEP_1)
	v_readfirstlane_b32 s3, v0
	s_cmp_eq_u32 s3, 0
	s_cbranch_scc1 .LBB8_405
; %bb.404:                              ;   in Loop: Header=BB8_406 Depth=1
	s_sleep 1
	s_cbranch_execnz .LBB8_406
	s_branch .LBB8_408
.LBB8_405:
	s_branch .LBB8_408
.LBB8_406:                              ; =>This Inner Loop Header: Depth=1
	v_mov_b32_e32 v0, 1
	s_and_saveexec_b32 s3, s0
	s_cbranch_execz .LBB8_403
; %bb.407:                              ;   in Loop: Header=BB8_406 Depth=1
	global_load_b32 v0, v[6:7], off offset:20 scope:SCOPE_SYS
	s_wait_loadcnt 0x0
	global_inv scope:SCOPE_SYS
	v_and_b32_e32 v0, 1, v0
	s_branch .LBB8_403
.LBB8_408:
	s_and_saveexec_b32 s3, s0
	s_cbranch_execz .LBB8_412
; %bb.409:
	v_mov_b32_e32 v9, 0
	s_clause 0x2
	global_load_b64 v[2:3], v9, s[34:35] offset:40
	global_load_b64 v[10:11], v9, s[34:35] offset:24 scope:SCOPE_SYS
	global_load_b64 v[6:7], v9, s[34:35]
	s_wait_loadcnt 0x2
	v_add_co_u32 v12, vcc_lo, v2, 1
	s_wait_alu 0xfffd
	v_add_co_ci_u32_e32 v13, vcc_lo, 0, v3, vcc_lo
	s_delay_alu instid0(VALU_DEP_2) | instskip(SKIP_1) | instid1(VALU_DEP_2)
	v_add_co_u32 v0, vcc_lo, v12, s2
	s_wait_alu 0xfffd
	v_add_co_ci_u32_e32 v1, vcc_lo, s1, v13, vcc_lo
	s_delay_alu instid0(VALU_DEP_1) | instskip(SKIP_2) | instid1(VALU_DEP_1)
	v_cmp_eq_u64_e32 vcc_lo, 0, v[0:1]
	s_wait_alu 0xfffd
	v_dual_cndmask_b32 v0, v0, v12 :: v_dual_cndmask_b32 v1, v1, v13
	v_and_b32_e32 v2, v0, v2
	s_delay_alu instid0(VALU_DEP_2) | instskip(NEXT) | instid1(VALU_DEP_2)
	v_and_b32_e32 v3, v1, v3
	v_mul_lo_u32 v12, 0, v2
	v_mul_hi_u32 v13, 24, v2
	v_mul_lo_u32 v2, 24, v2
	s_wait_loadcnt 0x0
	s_delay_alu instid0(VALU_DEP_1) | instskip(SKIP_2) | instid1(VALU_DEP_1)
	v_add_co_u32 v6, vcc_lo, v6, v2
	v_mov_b32_e32 v2, v10
	v_mul_lo_u32 v3, 24, v3
	v_add_nc_u32_e32 v3, v3, v12
	s_delay_alu instid0(VALU_DEP_1) | instskip(SKIP_1) | instid1(VALU_DEP_1)
	v_add_nc_u32_e32 v3, v3, v13
	s_wait_alu 0xfffd
	v_add_co_ci_u32_e32 v7, vcc_lo, v7, v3, vcc_lo
	v_mov_b32_e32 v3, v11
	global_store_b64 v[6:7], v[10:11], off
	global_wb scope:SCOPE_SYS
	s_wait_storecnt 0x0
	global_atomic_cmpswap_b64 v[2:3], v9, v[0:3], s[34:35] offset:24 th:TH_ATOMIC_RETURN scope:SCOPE_SYS
	s_wait_loadcnt 0x0
	v_cmp_ne_u64_e32 vcc_lo, v[2:3], v[10:11]
	s_and_b32 exec_lo, exec_lo, vcc_lo
	s_cbranch_execz .LBB8_412
; %bb.410:
	s_mov_b32 s0, 0
.LBB8_411:                              ; =>This Inner Loop Header: Depth=1
	s_sleep 1
	global_store_b64 v[6:7], v[2:3], off
	global_wb scope:SCOPE_SYS
	s_wait_storecnt 0x0
	global_atomic_cmpswap_b64 v[10:11], v9, v[0:3], s[34:35] offset:24 th:TH_ATOMIC_RETURN scope:SCOPE_SYS
	s_wait_loadcnt 0x0
	v_cmp_eq_u64_e32 vcc_lo, v[10:11], v[2:3]
	v_dual_mov_b32 v2, v10 :: v_dual_mov_b32 v3, v11
	s_wait_alu 0xfffe
	s_or_b32 s0, vcc_lo, s0
	s_wait_alu 0xfffe
	s_and_not1_b32 exec_lo, exec_lo, s0
	s_cbranch_execnz .LBB8_411
.LBB8_412:
	s_wait_alu 0xfffe
	s_or_b32 exec_lo, exec_lo, s3
	v_readfirstlane_b32 s0, v52
	v_mov_b32_e32 v6, 0
	v_mov_b32_e32 v7, 0
	s_wait_alu 0xf1ff
	s_delay_alu instid0(VALU_DEP_3) | instskip(NEXT) | instid1(VALU_DEP_1)
	v_cmp_eq_u32_e64 s0, s0, v52
	s_and_saveexec_b32 s1, s0
	s_cbranch_execz .LBB8_418
; %bb.413:
	v_mov_b32_e32 v0, 0
	s_mov_b32 s2, exec_lo
	global_load_b64 v[11:12], v0, s[34:35] offset:24 scope:SCOPE_SYS
	s_wait_loadcnt 0x0
	global_inv scope:SCOPE_SYS
	s_clause 0x1
	global_load_b64 v[1:2], v0, s[34:35] offset:40
	global_load_b64 v[6:7], v0, s[34:35]
	s_wait_loadcnt 0x1
	v_and_b32_e32 v1, v1, v11
	v_and_b32_e32 v2, v2, v12
	s_delay_alu instid0(VALU_DEP_2) | instskip(NEXT) | instid1(VALU_DEP_2)
	v_mul_lo_u32 v3, 0, v1
	v_mul_lo_u32 v2, 24, v2
	v_mul_hi_u32 v9, 24, v1
	v_mul_lo_u32 v1, 24, v1
	s_delay_alu instid0(VALU_DEP_3) | instskip(SKIP_1) | instid1(VALU_DEP_2)
	v_add_nc_u32_e32 v2, v2, v3
	s_wait_loadcnt 0x0
	v_add_co_u32 v1, vcc_lo, v6, v1
	s_delay_alu instid0(VALU_DEP_2) | instskip(SKIP_1) | instid1(VALU_DEP_1)
	v_add_nc_u32_e32 v2, v2, v9
	s_wait_alu 0xfffd
	v_add_co_ci_u32_e32 v2, vcc_lo, v7, v2, vcc_lo
	global_load_b64 v[9:10], v[1:2], off scope:SCOPE_SYS
	s_wait_loadcnt 0x0
	global_atomic_cmpswap_b64 v[6:7], v0, v[9:12], s[34:35] offset:24 th:TH_ATOMIC_RETURN scope:SCOPE_SYS
	s_wait_loadcnt 0x0
	global_inv scope:SCOPE_SYS
	v_cmpx_ne_u64_e64 v[6:7], v[11:12]
	s_cbranch_execz .LBB8_417
; %bb.414:
	s_mov_b32 s3, 0
.LBB8_415:                              ; =>This Inner Loop Header: Depth=1
	s_sleep 1
	s_clause 0x1
	global_load_b64 v[1:2], v0, s[34:35] offset:40
	global_load_b64 v[9:10], v0, s[34:35]
	v_dual_mov_b32 v12, v7 :: v_dual_mov_b32 v11, v6
	s_wait_loadcnt 0x1
	s_delay_alu instid0(VALU_DEP_1) | instskip(SKIP_1) | instid1(VALU_DEP_1)
	v_and_b32_e32 v1, v1, v11
	s_wait_loadcnt 0x0
	v_mad_co_u64_u32 v[6:7], null, v1, 24, v[9:10]
	s_delay_alu instid0(VALU_DEP_1) | instskip(NEXT) | instid1(VALU_DEP_1)
	v_dual_mov_b32 v1, v7 :: v_dual_and_b32 v2, v2, v12
	v_mad_co_u64_u32 v[1:2], null, v2, 24, v[1:2]
	s_delay_alu instid0(VALU_DEP_1)
	v_mov_b32_e32 v7, v1
	global_load_b64 v[9:10], v[6:7], off scope:SCOPE_SYS
	s_wait_loadcnt 0x0
	global_atomic_cmpswap_b64 v[6:7], v0, v[9:12], s[34:35] offset:24 th:TH_ATOMIC_RETURN scope:SCOPE_SYS
	s_wait_loadcnt 0x0
	global_inv scope:SCOPE_SYS
	v_cmp_eq_u64_e32 vcc_lo, v[6:7], v[11:12]
	s_wait_alu 0xfffe
	s_or_b32 s3, vcc_lo, s3
	s_wait_alu 0xfffe
	s_and_not1_b32 exec_lo, exec_lo, s3
	s_cbranch_execnz .LBB8_415
; %bb.416:
	s_or_b32 exec_lo, exec_lo, s3
.LBB8_417:
	s_wait_alu 0xfffe
	s_or_b32 exec_lo, exec_lo, s2
.LBB8_418:
	s_wait_alu 0xfffe
	s_or_b32 exec_lo, exec_lo, s1
	v_readfirstlane_b32 s2, v6
	v_mov_b32_e32 v10, 0
	v_readfirstlane_b32 s1, v7
	s_mov_b32 s3, exec_lo
	s_clause 0x1
	global_load_b64 v[11:12], v10, s[34:35] offset:40
	global_load_b128 v[0:3], v10, s[34:35]
	s_wait_loadcnt 0x1
	s_wait_alu 0xf1ff
	v_and_b32_e32 v13, s2, v11
	v_and_b32_e32 v14, s1, v12
	s_delay_alu instid0(VALU_DEP_2) | instskip(NEXT) | instid1(VALU_DEP_2)
	v_mul_lo_u32 v7, 0, v13
	v_mul_lo_u32 v6, 24, v14
	v_mul_hi_u32 v9, 24, v13
	v_mul_lo_u32 v11, 24, v13
	s_delay_alu instid0(VALU_DEP_3) | instskip(NEXT) | instid1(VALU_DEP_1)
	v_add_nc_u32_e32 v6, v6, v7
	v_add_nc_u32_e32 v7, v6, v9
	s_wait_loadcnt 0x0
	s_delay_alu instid0(VALU_DEP_3) | instskip(SKIP_1) | instid1(VALU_DEP_2)
	v_add_co_u32 v6, vcc_lo, v0, v11
	s_wait_alu 0xfffd
	v_add_co_ci_u32_e32 v7, vcc_lo, v1, v7, vcc_lo
	s_and_saveexec_b32 s4, s0
	s_cbranch_execz .LBB8_420
; %bb.419:
	s_wait_alu 0xfffe
	v_dual_mov_b32 v9, s3 :: v_dual_mov_b32 v12, 1
	v_mov_b32_e32 v11, 2
	global_store_b128 v[6:7], v[9:12], off offset:8
.LBB8_420:
	s_wait_alu 0xfffe
	s_or_b32 exec_lo, exec_lo, s4
	v_lshlrev_b64_e32 v[13:14], 12, v[13:14]
	s_mov_b32 s4, 0
	v_dual_mov_b32 v9, 33 :: v_dual_mov_b32 v12, v10
	s_wait_alu 0xfffe
	s_mov_b32 s7, s4
	s_mov_b32 s5, s4
	v_add_co_u32 v2, vcc_lo, v2, v13
	s_wait_alu 0xfffd
	v_add_co_ci_u32_e32 v3, vcc_lo, v3, v14, vcc_lo
	s_mov_b32 s6, s4
	s_delay_alu instid0(VALU_DEP_2)
	v_add_co_u32 v13, vcc_lo, v2, v51
	s_wait_alu 0xfffe
	v_dual_mov_b32 v11, v10 :: v_dual_mov_b32 v18, s7
	v_readfirstlane_b32 s10, v2
	v_readfirstlane_b32 s11, v3
	s_wait_alu 0xfffd
	v_add_co_ci_u32_e32 v14, vcc_lo, 0, v3, vcc_lo
	v_dual_mov_b32 v17, s6 :: v_dual_mov_b32 v16, s5
	v_mov_b32_e32 v15, s4
	s_clause 0x3
	global_store_b128 v51, v[9:12], s[10:11]
	global_store_b128 v51, v[15:18], s[10:11] offset:16
	global_store_b128 v51, v[15:18], s[10:11] offset:32
	;; [unrolled: 1-line block ×3, first 2 shown]
	s_and_saveexec_b32 s3, s0
	s_cbranch_execz .LBB8_428
; %bb.421:
	v_mov_b32_e32 v11, 0
	v_mov_b32_e32 v15, s2
	s_mov_b32 s4, exec_lo
	s_clause 0x1
	global_load_b64 v[17:18], v11, s[34:35] offset:32 scope:SCOPE_SYS
	global_load_b64 v[2:3], v11, s[34:35] offset:40
	v_mov_b32_e32 v16, s1
	s_wait_loadcnt 0x0
	v_and_b32_e32 v2, s2, v2
	v_and_b32_e32 v3, s1, v3
	s_delay_alu instid0(VALU_DEP_2) | instskip(NEXT) | instid1(VALU_DEP_2)
	v_mul_lo_u32 v9, 0, v2
	v_mul_lo_u32 v3, 24, v3
	v_mul_hi_u32 v10, 24, v2
	v_mul_lo_u32 v2, 24, v2
	s_delay_alu instid0(VALU_DEP_3) | instskip(NEXT) | instid1(VALU_DEP_2)
	v_add_nc_u32_e32 v3, v3, v9
	v_add_co_u32 v9, vcc_lo, v0, v2
	s_delay_alu instid0(VALU_DEP_2) | instskip(SKIP_1) | instid1(VALU_DEP_1)
	v_add_nc_u32_e32 v3, v3, v10
	s_wait_alu 0xfffd
	v_add_co_ci_u32_e32 v10, vcc_lo, v1, v3, vcc_lo
	global_store_b64 v[9:10], v[17:18], off
	global_wb scope:SCOPE_SYS
	s_wait_storecnt 0x0
	global_atomic_cmpswap_b64 v[2:3], v11, v[15:18], s[34:35] offset:32 th:TH_ATOMIC_RETURN scope:SCOPE_SYS
	s_wait_loadcnt 0x0
	v_cmpx_ne_u64_e64 v[2:3], v[17:18]
	s_cbranch_execz .LBB8_424
; %bb.422:
	s_mov_b32 s5, 0
.LBB8_423:                              ; =>This Inner Loop Header: Depth=1
	v_dual_mov_b32 v0, s2 :: v_dual_mov_b32 v1, s1
	s_sleep 1
	global_store_b64 v[9:10], v[2:3], off
	global_wb scope:SCOPE_SYS
	s_wait_storecnt 0x0
	global_atomic_cmpswap_b64 v[0:1], v11, v[0:3], s[34:35] offset:32 th:TH_ATOMIC_RETURN scope:SCOPE_SYS
	s_wait_loadcnt 0x0
	v_cmp_eq_u64_e32 vcc_lo, v[0:1], v[2:3]
	v_dual_mov_b32 v3, v1 :: v_dual_mov_b32 v2, v0
	s_wait_alu 0xfffe
	s_or_b32 s5, vcc_lo, s5
	s_wait_alu 0xfffe
	s_and_not1_b32 exec_lo, exec_lo, s5
	s_cbranch_execnz .LBB8_423
.LBB8_424:
	s_wait_alu 0xfffe
	s_or_b32 exec_lo, exec_lo, s4
	v_mov_b32_e32 v3, 0
	s_mov_b32 s5, exec_lo
	s_mov_b32 s4, exec_lo
	s_wait_alu 0xfffe
	v_mbcnt_lo_u32_b32 v2, s5, 0
	global_load_b64 v[0:1], v3, s[34:35] offset:16
	v_cmpx_eq_u32_e32 0, v2
	s_cbranch_execz .LBB8_426
; %bb.425:
	s_bcnt1_i32_b32 s5, s5
	s_wait_alu 0xfffe
	v_mov_b32_e32 v2, s5
	global_wb scope:SCOPE_SYS
	s_wait_loadcnt 0x0
	global_atomic_add_u64 v[0:1], v[2:3], off offset:8 scope:SCOPE_SYS
.LBB8_426:
	s_or_b32 exec_lo, exec_lo, s4
	s_wait_loadcnt 0x0
	global_load_b64 v[2:3], v[0:1], off offset:16
	s_wait_loadcnt 0x0
	v_cmp_eq_u64_e32 vcc_lo, 0, v[2:3]
	s_cbranch_vccnz .LBB8_428
; %bb.427:
	global_load_b32 v0, v[0:1], off offset:24
	v_mov_b32_e32 v1, 0
	s_wait_loadcnt 0x0
	v_and_b32_e32 v9, 0xffffff, v0
	global_wb scope:SCOPE_SYS
	s_wait_storecnt 0x0
	global_store_b64 v[2:3], v[0:1], off scope:SCOPE_SYS
	v_readfirstlane_b32 m0, v9
	s_sendmsg sendmsg(MSG_INTERRUPT)
.LBB8_428:
	s_wait_alu 0xfffe
	s_or_b32 exec_lo, exec_lo, s3
	s_branch .LBB8_432
.LBB8_429:                              ;   in Loop: Header=BB8_432 Depth=1
	s_wait_alu 0xfffe
	s_or_b32 exec_lo, exec_lo, s3
	s_delay_alu instid0(VALU_DEP_1) | instskip(NEXT) | instid1(VALU_DEP_1)
	v_readfirstlane_b32 s3, v0
	s_cmp_eq_u32 s3, 0
	s_cbranch_scc1 .LBB8_431
; %bb.430:                              ;   in Loop: Header=BB8_432 Depth=1
	s_sleep 1
	s_cbranch_execnz .LBB8_432
	s_branch .LBB8_434
.LBB8_431:
	s_branch .LBB8_434
.LBB8_432:                              ; =>This Inner Loop Header: Depth=1
	v_mov_b32_e32 v0, 1
	s_and_saveexec_b32 s3, s0
	s_cbranch_execz .LBB8_429
; %bb.433:                              ;   in Loop: Header=BB8_432 Depth=1
	global_load_b32 v0, v[6:7], off offset:20 scope:SCOPE_SYS
	s_wait_loadcnt 0x0
	global_inv scope:SCOPE_SYS
	v_and_b32_e32 v0, 1, v0
	s_branch .LBB8_429
.LBB8_434:
	global_load_b64 v[9:10], v[13:14], off
	s_and_saveexec_b32 s3, s0
	s_cbranch_execz .LBB8_438
; %bb.435:
	v_mov_b32_e32 v11, 0
	s_clause 0x2
	global_load_b64 v[2:3], v11, s[34:35] offset:40
	global_load_b64 v[12:13], v11, s[34:35] offset:24 scope:SCOPE_SYS
	global_load_b64 v[6:7], v11, s[34:35]
	s_wait_loadcnt 0x2
	v_add_co_u32 v14, vcc_lo, v2, 1
	s_wait_alu 0xfffd
	v_add_co_ci_u32_e32 v15, vcc_lo, 0, v3, vcc_lo
	s_delay_alu instid0(VALU_DEP_2) | instskip(SKIP_1) | instid1(VALU_DEP_2)
	v_add_co_u32 v0, vcc_lo, v14, s2
	s_wait_alu 0xfffd
	v_add_co_ci_u32_e32 v1, vcc_lo, s1, v15, vcc_lo
	s_delay_alu instid0(VALU_DEP_1) | instskip(SKIP_2) | instid1(VALU_DEP_1)
	v_cmp_eq_u64_e32 vcc_lo, 0, v[0:1]
	s_wait_alu 0xfffd
	v_dual_cndmask_b32 v0, v0, v14 :: v_dual_cndmask_b32 v1, v1, v15
	v_and_b32_e32 v2, v0, v2
	s_delay_alu instid0(VALU_DEP_2) | instskip(NEXT) | instid1(VALU_DEP_2)
	v_and_b32_e32 v3, v1, v3
	v_mul_lo_u32 v14, 0, v2
	v_mul_hi_u32 v15, 24, v2
	v_mul_lo_u32 v2, 24, v2
	s_wait_loadcnt 0x0
	s_delay_alu instid0(VALU_DEP_1) | instskip(SKIP_2) | instid1(VALU_DEP_1)
	v_add_co_u32 v6, vcc_lo, v6, v2
	v_mov_b32_e32 v2, v12
	v_mul_lo_u32 v3, 24, v3
	v_add_nc_u32_e32 v3, v3, v14
	s_delay_alu instid0(VALU_DEP_1) | instskip(SKIP_1) | instid1(VALU_DEP_1)
	v_add_nc_u32_e32 v3, v3, v15
	s_wait_alu 0xfffd
	v_add_co_ci_u32_e32 v7, vcc_lo, v7, v3, vcc_lo
	v_mov_b32_e32 v3, v13
	global_store_b64 v[6:7], v[12:13], off
	global_wb scope:SCOPE_SYS
	s_wait_storecnt 0x0
	global_atomic_cmpswap_b64 v[2:3], v11, v[0:3], s[34:35] offset:24 th:TH_ATOMIC_RETURN scope:SCOPE_SYS
	s_wait_loadcnt 0x0
	v_cmp_ne_u64_e32 vcc_lo, v[2:3], v[12:13]
	s_and_b32 exec_lo, exec_lo, vcc_lo
	s_cbranch_execz .LBB8_438
; %bb.436:
	s_mov_b32 s0, 0
.LBB8_437:                              ; =>This Inner Loop Header: Depth=1
	s_sleep 1
	global_store_b64 v[6:7], v[2:3], off
	global_wb scope:SCOPE_SYS
	s_wait_storecnt 0x0
	global_atomic_cmpswap_b64 v[12:13], v11, v[0:3], s[34:35] offset:24 th:TH_ATOMIC_RETURN scope:SCOPE_SYS
	s_wait_loadcnt 0x0
	v_cmp_eq_u64_e32 vcc_lo, v[12:13], v[2:3]
	v_dual_mov_b32 v2, v12 :: v_dual_mov_b32 v3, v13
	s_wait_alu 0xfffe
	s_or_b32 s0, vcc_lo, s0
	s_wait_alu 0xfffe
	s_and_not1_b32 exec_lo, exec_lo, s0
	s_cbranch_execnz .LBB8_437
.LBB8_438:
	s_wait_alu 0xfffe
	s_or_b32 exec_lo, exec_lo, s3
	s_delay_alu instid0(SALU_CYCLE_1)
	s_and_b32 vcc_lo, exec_lo, s15
	s_wait_alu 0xfffe
	s_cbranch_vccz .LBB8_517
; %bb.439:
	s_wait_loadcnt 0x0
	v_dual_mov_b32 v12, 0 :: v_dual_and_b32 v33, 2, v9
	v_dual_mov_b32 v1, v10 :: v_dual_and_b32 v0, -3, v9
	v_dual_mov_b32 v13, 2 :: v_dual_mov_b32 v14, 1
	s_mov_b64 s[4:5], 3
	s_getpc_b64 s[2:3]
	s_wait_alu 0xfffe
	s_sext_i32_i16 s3, s3
	s_add_co_u32 s2, s2, .str.7@rel32@lo+12
	s_wait_alu 0xfffe
	s_add_co_ci_u32 s3, s3, .str.7@rel32@hi+24
	s_branch .LBB8_441
.LBB8_440:                              ;   in Loop: Header=BB8_441 Depth=1
	s_wait_alu 0xfffe
	s_or_b32 exec_lo, exec_lo, s11
	s_sub_nc_u64 s[4:5], s[4:5], s[6:7]
	s_add_nc_u64 s[2:3], s[2:3], s[6:7]
	s_wait_alu 0xfffe
	s_cmp_lg_u64 s[4:5], 0
	s_cbranch_scc0 .LBB8_516
.LBB8_441:                              ; =>This Loop Header: Depth=1
                                        ;     Child Loop BB8_450 Depth 2
                                        ;     Child Loop BB8_446 Depth 2
	;; [unrolled: 1-line block ×11, first 2 shown]
	v_cmp_lt_u64_e64 s0, s[4:5], 56
	v_cmp_gt_u64_e64 s1, s[4:5], 7
                                        ; implicit-def: $vgpr2_vgpr3
                                        ; implicit-def: $sgpr18
	s_delay_alu instid0(VALU_DEP_2) | instskip(SKIP_2) | instid1(VALU_DEP_1)
	s_and_b32 s0, s0, exec_lo
	s_cselect_b32 s7, s5, 0
	s_cselect_b32 s6, s4, 56
	s_and_b32 vcc_lo, exec_lo, s1
	s_mov_b32 s0, -1
	s_wait_alu 0xfffe
	s_cbranch_vccz .LBB8_448
; %bb.442:                              ;   in Loop: Header=BB8_441 Depth=1
	s_and_not1_b32 vcc_lo, exec_lo, s0
	s_mov_b64 s[0:1], s[2:3]
	s_wait_alu 0xfffe
	s_cbranch_vccz .LBB8_452
.LBB8_443:                              ;   in Loop: Header=BB8_441 Depth=1
	s_wait_alu 0xfffe
	s_cmp_gt_u32 s18, 7
	s_cbranch_scc1 .LBB8_453
.LBB8_444:                              ;   in Loop: Header=BB8_441 Depth=1
	v_mov_b32_e32 v15, 0
	v_mov_b32_e32 v16, 0
	s_cmp_eq_u32 s18, 0
	s_cbranch_scc1 .LBB8_447
; %bb.445:                              ;   in Loop: Header=BB8_441 Depth=1
	s_mov_b64 s[10:11], 0
	s_mov_b64 s[16:17], 0
.LBB8_446:                              ;   Parent Loop BB8_441 Depth=1
                                        ; =>  This Inner Loop Header: Depth=2
	s_wait_alu 0xfffe
	s_add_nc_u64 s[20:21], s[0:1], s[16:17]
	s_add_nc_u64 s[16:17], s[16:17], 1
	global_load_u8 v6, v12, s[20:21]
	s_wait_alu 0xfffe
	s_cmp_lg_u32 s18, s16
	s_wait_loadcnt 0x0
	v_and_b32_e32 v11, 0xffff, v6
	s_delay_alu instid0(VALU_DEP_1) | instskip(SKIP_1) | instid1(VALU_DEP_1)
	v_lshlrev_b64_e32 v[6:7], s10, v[11:12]
	s_add_nc_u64 s[10:11], s[10:11], 8
	v_or_b32_e32 v15, v6, v15
	s_delay_alu instid0(VALU_DEP_2)
	v_or_b32_e32 v16, v7, v16
	s_cbranch_scc1 .LBB8_446
.LBB8_447:                              ;   in Loop: Header=BB8_441 Depth=1
	s_mov_b32 s19, 0
	s_cbranch_execz .LBB8_454
	s_branch .LBB8_455
.LBB8_448:                              ;   in Loop: Header=BB8_441 Depth=1
	s_wait_loadcnt 0x0
	v_mov_b32_e32 v2, 0
	v_mov_b32_e32 v3, 0
	s_cmp_eq_u64 s[4:5], 0
	s_mov_b64 s[0:1], 0
	s_cbranch_scc1 .LBB8_451
; %bb.449:                              ;   in Loop: Header=BB8_441 Depth=1
	v_mov_b32_e32 v2, 0
	v_mov_b32_e32 v3, 0
	s_mov_b64 s[10:11], 0
.LBB8_450:                              ;   Parent Loop BB8_441 Depth=1
                                        ; =>  This Inner Loop Header: Depth=2
	s_wait_alu 0xfffe
	s_add_nc_u64 s[16:17], s[2:3], s[10:11]
	s_add_nc_u64 s[10:11], s[10:11], 1
	global_load_u8 v6, v12, s[16:17]
	s_wait_alu 0xfffe
	s_cmp_lg_u32 s6, s10
	s_wait_loadcnt 0x0
	v_and_b32_e32 v11, 0xffff, v6
	s_delay_alu instid0(VALU_DEP_1) | instskip(SKIP_1) | instid1(VALU_DEP_1)
	v_lshlrev_b64_e32 v[6:7], s0, v[11:12]
	s_add_nc_u64 s[0:1], s[0:1], 8
	v_or_b32_e32 v2, v6, v2
	s_delay_alu instid0(VALU_DEP_2)
	v_or_b32_e32 v3, v7, v3
	s_cbranch_scc1 .LBB8_450
.LBB8_451:                              ;   in Loop: Header=BB8_441 Depth=1
	s_mov_b32 s18, 0
	s_mov_b64 s[0:1], s[2:3]
	s_cbranch_execnz .LBB8_443
.LBB8_452:                              ;   in Loop: Header=BB8_441 Depth=1
	global_load_b64 v[2:3], v12, s[2:3]
	s_add_co_i32 s18, s6, -8
	s_add_nc_u64 s[0:1], s[2:3], 8
	s_wait_alu 0xfffe
	s_cmp_gt_u32 s18, 7
	s_cbranch_scc0 .LBB8_444
.LBB8_453:                              ;   in Loop: Header=BB8_441 Depth=1
                                        ; implicit-def: $vgpr15_vgpr16
                                        ; implicit-def: $sgpr19
.LBB8_454:                              ;   in Loop: Header=BB8_441 Depth=1
	global_load_b64 v[15:16], v12, s[0:1]
	s_add_co_i32 s19, s18, -8
	s_add_nc_u64 s[0:1], s[0:1], 8
.LBB8_455:                              ;   in Loop: Header=BB8_441 Depth=1
	s_wait_alu 0xfffe
	s_cmp_gt_u32 s19, 7
	s_cbranch_scc1 .LBB8_460
; %bb.456:                              ;   in Loop: Header=BB8_441 Depth=1
	v_mov_b32_e32 v17, 0
	v_mov_b32_e32 v18, 0
	s_cmp_eq_u32 s19, 0
	s_cbranch_scc1 .LBB8_459
; %bb.457:                              ;   in Loop: Header=BB8_441 Depth=1
	s_mov_b64 s[10:11], 0
	s_mov_b64 s[16:17], 0
.LBB8_458:                              ;   Parent Loop BB8_441 Depth=1
                                        ; =>  This Inner Loop Header: Depth=2
	s_wait_alu 0xfffe
	s_add_nc_u64 s[20:21], s[0:1], s[16:17]
	s_add_nc_u64 s[16:17], s[16:17], 1
	global_load_u8 v6, v12, s[20:21]
	s_wait_alu 0xfffe
	s_cmp_lg_u32 s19, s16
	s_wait_loadcnt 0x0
	v_and_b32_e32 v11, 0xffff, v6
	s_delay_alu instid0(VALU_DEP_1) | instskip(SKIP_1) | instid1(VALU_DEP_1)
	v_lshlrev_b64_e32 v[6:7], s10, v[11:12]
	s_add_nc_u64 s[10:11], s[10:11], 8
	v_or_b32_e32 v17, v6, v17
	s_delay_alu instid0(VALU_DEP_2)
	v_or_b32_e32 v18, v7, v18
	s_cbranch_scc1 .LBB8_458
.LBB8_459:                              ;   in Loop: Header=BB8_441 Depth=1
	s_mov_b32 s18, 0
	s_cbranch_execz .LBB8_461
	s_branch .LBB8_462
.LBB8_460:                              ;   in Loop: Header=BB8_441 Depth=1
                                        ; implicit-def: $sgpr18
.LBB8_461:                              ;   in Loop: Header=BB8_441 Depth=1
	global_load_b64 v[17:18], v12, s[0:1]
	s_add_co_i32 s18, s19, -8
	s_add_nc_u64 s[0:1], s[0:1], 8
.LBB8_462:                              ;   in Loop: Header=BB8_441 Depth=1
	s_wait_alu 0xfffe
	s_cmp_gt_u32 s18, 7
	s_cbranch_scc1 .LBB8_467
; %bb.463:                              ;   in Loop: Header=BB8_441 Depth=1
	v_mov_b32_e32 v19, 0
	v_mov_b32_e32 v20, 0
	s_cmp_eq_u32 s18, 0
	s_cbranch_scc1 .LBB8_466
; %bb.464:                              ;   in Loop: Header=BB8_441 Depth=1
	s_mov_b64 s[10:11], 0
	s_mov_b64 s[16:17], 0
.LBB8_465:                              ;   Parent Loop BB8_441 Depth=1
                                        ; =>  This Inner Loop Header: Depth=2
	s_wait_alu 0xfffe
	s_add_nc_u64 s[20:21], s[0:1], s[16:17]
	s_add_nc_u64 s[16:17], s[16:17], 1
	global_load_u8 v6, v12, s[20:21]
	s_wait_alu 0xfffe
	s_cmp_lg_u32 s18, s16
	s_wait_loadcnt 0x0
	v_and_b32_e32 v11, 0xffff, v6
	s_delay_alu instid0(VALU_DEP_1) | instskip(SKIP_1) | instid1(VALU_DEP_1)
	v_lshlrev_b64_e32 v[6:7], s10, v[11:12]
	s_add_nc_u64 s[10:11], s[10:11], 8
	v_or_b32_e32 v19, v6, v19
	s_delay_alu instid0(VALU_DEP_2)
	v_or_b32_e32 v20, v7, v20
	s_cbranch_scc1 .LBB8_465
.LBB8_466:                              ;   in Loop: Header=BB8_441 Depth=1
	s_mov_b32 s19, 0
	s_cbranch_execz .LBB8_468
	s_branch .LBB8_469
.LBB8_467:                              ;   in Loop: Header=BB8_441 Depth=1
                                        ; implicit-def: $vgpr19_vgpr20
                                        ; implicit-def: $sgpr19
.LBB8_468:                              ;   in Loop: Header=BB8_441 Depth=1
	global_load_b64 v[19:20], v12, s[0:1]
	s_add_co_i32 s19, s18, -8
	s_add_nc_u64 s[0:1], s[0:1], 8
.LBB8_469:                              ;   in Loop: Header=BB8_441 Depth=1
	s_wait_alu 0xfffe
	s_cmp_gt_u32 s19, 7
	s_cbranch_scc1 .LBB8_474
; %bb.470:                              ;   in Loop: Header=BB8_441 Depth=1
	v_mov_b32_e32 v21, 0
	v_mov_b32_e32 v22, 0
	s_cmp_eq_u32 s19, 0
	s_cbranch_scc1 .LBB8_473
; %bb.471:                              ;   in Loop: Header=BB8_441 Depth=1
	s_mov_b64 s[10:11], 0
	s_mov_b64 s[16:17], 0
.LBB8_472:                              ;   Parent Loop BB8_441 Depth=1
                                        ; =>  This Inner Loop Header: Depth=2
	s_wait_alu 0xfffe
	s_add_nc_u64 s[20:21], s[0:1], s[16:17]
	s_add_nc_u64 s[16:17], s[16:17], 1
	global_load_u8 v6, v12, s[20:21]
	s_wait_alu 0xfffe
	s_cmp_lg_u32 s19, s16
	s_wait_loadcnt 0x0
	v_and_b32_e32 v11, 0xffff, v6
	s_delay_alu instid0(VALU_DEP_1) | instskip(SKIP_1) | instid1(VALU_DEP_1)
	v_lshlrev_b64_e32 v[6:7], s10, v[11:12]
	s_add_nc_u64 s[10:11], s[10:11], 8
	v_or_b32_e32 v21, v6, v21
	s_delay_alu instid0(VALU_DEP_2)
	v_or_b32_e32 v22, v7, v22
	s_cbranch_scc1 .LBB8_472
.LBB8_473:                              ;   in Loop: Header=BB8_441 Depth=1
	s_mov_b32 s18, 0
	s_cbranch_execz .LBB8_475
	s_branch .LBB8_476
.LBB8_474:                              ;   in Loop: Header=BB8_441 Depth=1
                                        ; implicit-def: $sgpr18
.LBB8_475:                              ;   in Loop: Header=BB8_441 Depth=1
	global_load_b64 v[21:22], v12, s[0:1]
	s_add_co_i32 s18, s19, -8
	s_add_nc_u64 s[0:1], s[0:1], 8
.LBB8_476:                              ;   in Loop: Header=BB8_441 Depth=1
	s_wait_alu 0xfffe
	s_cmp_gt_u32 s18, 7
	s_cbranch_scc1 .LBB8_481
; %bb.477:                              ;   in Loop: Header=BB8_441 Depth=1
	v_mov_b32_e32 v23, 0
	v_mov_b32_e32 v24, 0
	s_cmp_eq_u32 s18, 0
	s_cbranch_scc1 .LBB8_480
; %bb.478:                              ;   in Loop: Header=BB8_441 Depth=1
	s_mov_b64 s[10:11], 0
	s_mov_b64 s[16:17], 0
.LBB8_479:                              ;   Parent Loop BB8_441 Depth=1
                                        ; =>  This Inner Loop Header: Depth=2
	s_wait_alu 0xfffe
	s_add_nc_u64 s[20:21], s[0:1], s[16:17]
	s_add_nc_u64 s[16:17], s[16:17], 1
	global_load_u8 v6, v12, s[20:21]
	s_wait_alu 0xfffe
	s_cmp_lg_u32 s18, s16
	s_wait_loadcnt 0x0
	v_and_b32_e32 v11, 0xffff, v6
	s_delay_alu instid0(VALU_DEP_1) | instskip(SKIP_1) | instid1(VALU_DEP_1)
	v_lshlrev_b64_e32 v[6:7], s10, v[11:12]
	s_add_nc_u64 s[10:11], s[10:11], 8
	v_or_b32_e32 v23, v6, v23
	s_delay_alu instid0(VALU_DEP_2)
	v_or_b32_e32 v24, v7, v24
	s_cbranch_scc1 .LBB8_479
.LBB8_480:                              ;   in Loop: Header=BB8_441 Depth=1
	s_mov_b32 s19, 0
	s_cbranch_execz .LBB8_482
	s_branch .LBB8_483
.LBB8_481:                              ;   in Loop: Header=BB8_441 Depth=1
                                        ; implicit-def: $vgpr23_vgpr24
                                        ; implicit-def: $sgpr19
.LBB8_482:                              ;   in Loop: Header=BB8_441 Depth=1
	global_load_b64 v[23:24], v12, s[0:1]
	s_add_co_i32 s19, s18, -8
	s_add_nc_u64 s[0:1], s[0:1], 8
.LBB8_483:                              ;   in Loop: Header=BB8_441 Depth=1
	s_wait_alu 0xfffe
	s_cmp_gt_u32 s19, 7
	s_cbranch_scc1 .LBB8_488
; %bb.484:                              ;   in Loop: Header=BB8_441 Depth=1
	v_mov_b32_e32 v25, 0
	v_mov_b32_e32 v26, 0
	s_cmp_eq_u32 s19, 0
	s_cbranch_scc1 .LBB8_487
; %bb.485:                              ;   in Loop: Header=BB8_441 Depth=1
	s_mov_b64 s[10:11], 0
	s_mov_b64 s[16:17], s[0:1]
.LBB8_486:                              ;   Parent Loop BB8_441 Depth=1
                                        ; =>  This Inner Loop Header: Depth=2
	global_load_u8 v6, v12, s[16:17]
	s_add_co_i32 s19, s19, -1
	s_wait_alu 0xfffe
	s_add_nc_u64 s[16:17], s[16:17], 1
	s_cmp_lg_u32 s19, 0
	s_wait_loadcnt 0x0
	v_and_b32_e32 v11, 0xffff, v6
	s_delay_alu instid0(VALU_DEP_1) | instskip(SKIP_1) | instid1(VALU_DEP_1)
	v_lshlrev_b64_e32 v[6:7], s10, v[11:12]
	s_add_nc_u64 s[10:11], s[10:11], 8
	v_or_b32_e32 v25, v6, v25
	s_delay_alu instid0(VALU_DEP_2)
	v_or_b32_e32 v26, v7, v26
	s_cbranch_scc1 .LBB8_486
.LBB8_487:                              ;   in Loop: Header=BB8_441 Depth=1
	s_cbranch_execz .LBB8_489
	s_branch .LBB8_490
.LBB8_488:                              ;   in Loop: Header=BB8_441 Depth=1
.LBB8_489:                              ;   in Loop: Header=BB8_441 Depth=1
	global_load_b64 v[25:26], v12, s[0:1]
.LBB8_490:                              ;   in Loop: Header=BB8_441 Depth=1
	v_readfirstlane_b32 s0, v52
	v_mov_b32_e32 v6, 0
	v_mov_b32_e32 v7, 0
	s_wait_alu 0xf1ff
	s_delay_alu instid0(VALU_DEP_3) | instskip(NEXT) | instid1(VALU_DEP_1)
	v_cmp_eq_u32_e64 s0, s0, v52
	s_and_saveexec_b32 s1, s0
	s_cbranch_execz .LBB8_496
; %bb.491:                              ;   in Loop: Header=BB8_441 Depth=1
	global_load_b64 v[29:30], v12, s[34:35] offset:24 scope:SCOPE_SYS
	s_wait_loadcnt 0x0
	global_inv scope:SCOPE_SYS
	s_clause 0x1
	global_load_b64 v[6:7], v12, s[34:35] offset:40
	global_load_b64 v[27:28], v12, s[34:35]
	s_mov_b32 s10, exec_lo
	s_wait_loadcnt 0x1
	v_and_b32_e32 v7, v7, v30
	v_and_b32_e32 v6, v6, v29
	s_delay_alu instid0(VALU_DEP_2) | instskip(NEXT) | instid1(VALU_DEP_2)
	v_mul_lo_u32 v7, 24, v7
	v_mul_lo_u32 v11, 0, v6
	v_mul_hi_u32 v31, 24, v6
	v_mul_lo_u32 v6, 24, v6
	s_delay_alu instid0(VALU_DEP_3) | instskip(SKIP_1) | instid1(VALU_DEP_2)
	v_add_nc_u32_e32 v7, v7, v11
	s_wait_loadcnt 0x0
	v_add_co_u32 v6, vcc_lo, v27, v6
	s_delay_alu instid0(VALU_DEP_2) | instskip(SKIP_1) | instid1(VALU_DEP_1)
	v_add_nc_u32_e32 v7, v7, v31
	s_wait_alu 0xfffd
	v_add_co_ci_u32_e32 v7, vcc_lo, v28, v7, vcc_lo
	global_load_b64 v[27:28], v[6:7], off scope:SCOPE_SYS
	s_wait_loadcnt 0x0
	global_atomic_cmpswap_b64 v[6:7], v12, v[27:30], s[34:35] offset:24 th:TH_ATOMIC_RETURN scope:SCOPE_SYS
	s_wait_loadcnt 0x0
	global_inv scope:SCOPE_SYS
	v_cmpx_ne_u64_e64 v[6:7], v[29:30]
	s_cbranch_execz .LBB8_495
; %bb.492:                              ;   in Loop: Header=BB8_441 Depth=1
	s_mov_b32 s11, 0
.LBB8_493:                              ;   Parent Loop BB8_441 Depth=1
                                        ; =>  This Inner Loop Header: Depth=2
	s_sleep 1
	s_clause 0x1
	global_load_b64 v[27:28], v12, s[34:35] offset:40
	global_load_b64 v[31:32], v12, s[34:35]
	v_dual_mov_b32 v30, v7 :: v_dual_mov_b32 v29, v6
	s_wait_loadcnt 0x1
	s_delay_alu instid0(VALU_DEP_1) | instskip(NEXT) | instid1(VALU_DEP_2)
	v_and_b32_e32 v6, v27, v29
	v_and_b32_e32 v11, v28, v30
	s_wait_loadcnt 0x0
	s_delay_alu instid0(VALU_DEP_2) | instskip(NEXT) | instid1(VALU_DEP_1)
	v_mad_co_u64_u32 v[6:7], null, v6, 24, v[31:32]
	v_mad_co_u64_u32 v[27:28], null, v11, 24, v[7:8]
	s_delay_alu instid0(VALU_DEP_1)
	v_mov_b32_e32 v7, v27
	global_load_b64 v[27:28], v[6:7], off scope:SCOPE_SYS
	s_wait_loadcnt 0x0
	global_atomic_cmpswap_b64 v[6:7], v12, v[27:30], s[34:35] offset:24 th:TH_ATOMIC_RETURN scope:SCOPE_SYS
	s_wait_loadcnt 0x0
	global_inv scope:SCOPE_SYS
	v_cmp_eq_u64_e32 vcc_lo, v[6:7], v[29:30]
	s_wait_alu 0xfffe
	s_or_b32 s11, vcc_lo, s11
	s_wait_alu 0xfffe
	s_and_not1_b32 exec_lo, exec_lo, s11
	s_cbranch_execnz .LBB8_493
; %bb.494:                              ;   in Loop: Header=BB8_441 Depth=1
	s_or_b32 exec_lo, exec_lo, s11
.LBB8_495:                              ;   in Loop: Header=BB8_441 Depth=1
	s_wait_alu 0xfffe
	s_or_b32 exec_lo, exec_lo, s10
.LBB8_496:                              ;   in Loop: Header=BB8_441 Depth=1
	s_wait_alu 0xfffe
	s_or_b32 exec_lo, exec_lo, s1
	s_clause 0x1
	global_load_b64 v[31:32], v12, s[34:35] offset:40
	global_load_b128 v[27:30], v12, s[34:35]
	v_readfirstlane_b32 s1, v7
	v_readfirstlane_b32 s10, v6
	s_mov_b32 s11, exec_lo
	s_wait_loadcnt 0x1
	s_wait_alu 0xf1ff
	v_and_b32_e32 v32, s1, v32
	v_and_b32_e32 v31, s10, v31
	s_delay_alu instid0(VALU_DEP_2) | instskip(NEXT) | instid1(VALU_DEP_2)
	v_mul_lo_u32 v6, 24, v32
	v_mul_lo_u32 v7, 0, v31
	v_mul_hi_u32 v11, 24, v31
	v_mul_lo_u32 v34, 24, v31
	s_delay_alu instid0(VALU_DEP_3) | instskip(NEXT) | instid1(VALU_DEP_1)
	v_add_nc_u32_e32 v6, v6, v7
	v_add_nc_u32_e32 v7, v6, v11
	s_wait_loadcnt 0x0
	s_delay_alu instid0(VALU_DEP_3) | instskip(SKIP_1) | instid1(VALU_DEP_2)
	v_add_co_u32 v6, vcc_lo, v27, v34
	s_wait_alu 0xfffd
	v_add_co_ci_u32_e32 v7, vcc_lo, v28, v7, vcc_lo
	s_and_saveexec_b32 s16, s0
	s_cbranch_execz .LBB8_498
; %bb.497:                              ;   in Loop: Header=BB8_441 Depth=1
	s_wait_alu 0xfffe
	v_mov_b32_e32 v11, s11
	global_store_b128 v[6:7], v[11:14], off offset:8
.LBB8_498:                              ;   in Loop: Header=BB8_441 Depth=1
	s_wait_alu 0xfffe
	s_or_b32 exec_lo, exec_lo, s16
	v_cmp_gt_u64_e64 vcc_lo, s[4:5], 56
	v_lshlrev_b64_e32 v[31:32], 12, v[31:32]
	v_or_b32_e32 v11, 0, v1
	v_or_b32_e32 v34, v0, v33
	s_lshl_b32 s11, s6, 2
	s_wait_alu 0xfffe
	s_add_co_i32 s11, s11, 28
	s_wait_alu 0xfffd
	v_dual_cndmask_b32 v1, v11, v1 :: v_dual_cndmask_b32 v0, v34, v0
	v_add_co_u32 v29, vcc_lo, v29, v31
	s_wait_alu 0xfffd
	v_add_co_ci_u32_e32 v30, vcc_lo, v30, v32, vcc_lo
	s_wait_alu 0xfffe
	s_and_b32 s11, s11, 0x1e0
	v_readfirstlane_b32 s16, v29
	s_wait_alu 0xfffe
	v_and_or_b32 v0, 0xffffff1f, v0, s11
	v_readfirstlane_b32 s17, v30
	s_clause 0x3
	global_store_b128 v51, v[0:3], s[16:17]
	global_store_b128 v51, v[15:18], s[16:17] offset:16
	global_store_b128 v51, v[19:22], s[16:17] offset:32
	;; [unrolled: 1-line block ×3, first 2 shown]
	s_and_saveexec_b32 s11, s0
	s_cbranch_execz .LBB8_506
; %bb.499:                              ;   in Loop: Header=BB8_441 Depth=1
	s_clause 0x1
	global_load_b64 v[19:20], v12, s[34:35] offset:32 scope:SCOPE_SYS
	global_load_b64 v[0:1], v12, s[34:35] offset:40
	s_mov_b32 s16, exec_lo
	v_dual_mov_b32 v17, s10 :: v_dual_mov_b32 v18, s1
	s_wait_loadcnt 0x0
	v_and_b32_e32 v1, s1, v1
	v_and_b32_e32 v0, s10, v0
	s_delay_alu instid0(VALU_DEP_2) | instskip(NEXT) | instid1(VALU_DEP_2)
	v_mul_lo_u32 v1, 24, v1
	v_mul_lo_u32 v2, 0, v0
	v_mul_hi_u32 v3, 24, v0
	v_mul_lo_u32 v0, 24, v0
	s_delay_alu instid0(VALU_DEP_3) | instskip(NEXT) | instid1(VALU_DEP_2)
	v_add_nc_u32_e32 v1, v1, v2
	v_add_co_u32 v15, vcc_lo, v27, v0
	s_delay_alu instid0(VALU_DEP_2) | instskip(SKIP_1) | instid1(VALU_DEP_1)
	v_add_nc_u32_e32 v1, v1, v3
	s_wait_alu 0xfffd
	v_add_co_ci_u32_e32 v16, vcc_lo, v28, v1, vcc_lo
	global_store_b64 v[15:16], v[19:20], off
	global_wb scope:SCOPE_SYS
	s_wait_storecnt 0x0
	global_atomic_cmpswap_b64 v[2:3], v12, v[17:20], s[34:35] offset:32 th:TH_ATOMIC_RETURN scope:SCOPE_SYS
	s_wait_loadcnt 0x0
	v_cmpx_ne_u64_e64 v[2:3], v[19:20]
	s_cbranch_execz .LBB8_502
; %bb.500:                              ;   in Loop: Header=BB8_441 Depth=1
	s_mov_b32 s17, 0
.LBB8_501:                              ;   Parent Loop BB8_441 Depth=1
                                        ; =>  This Inner Loop Header: Depth=2
	v_dual_mov_b32 v0, s10 :: v_dual_mov_b32 v1, s1
	s_sleep 1
	global_store_b64 v[15:16], v[2:3], off
	global_wb scope:SCOPE_SYS
	s_wait_storecnt 0x0
	global_atomic_cmpswap_b64 v[0:1], v12, v[0:3], s[34:35] offset:32 th:TH_ATOMIC_RETURN scope:SCOPE_SYS
	s_wait_loadcnt 0x0
	v_cmp_eq_u64_e32 vcc_lo, v[0:1], v[2:3]
	v_dual_mov_b32 v3, v1 :: v_dual_mov_b32 v2, v0
	s_wait_alu 0xfffe
	s_or_b32 s17, vcc_lo, s17
	s_wait_alu 0xfffe
	s_and_not1_b32 exec_lo, exec_lo, s17
	s_cbranch_execnz .LBB8_501
.LBB8_502:                              ;   in Loop: Header=BB8_441 Depth=1
	s_wait_alu 0xfffe
	s_or_b32 exec_lo, exec_lo, s16
	global_load_b64 v[0:1], v12, s[34:35] offset:16
	s_mov_b32 s17, exec_lo
	s_mov_b32 s16, exec_lo
	s_wait_alu 0xfffe
	v_mbcnt_lo_u32_b32 v2, s17, 0
	s_delay_alu instid0(VALU_DEP_1)
	v_cmpx_eq_u32_e32 0, v2
	s_cbranch_execz .LBB8_504
; %bb.503:                              ;   in Loop: Header=BB8_441 Depth=1
	s_bcnt1_i32_b32 s17, s17
	s_wait_alu 0xfffe
	v_mov_b32_e32 v11, s17
	global_wb scope:SCOPE_SYS
	s_wait_loadcnt 0x0
	global_atomic_add_u64 v[0:1], v[11:12], off offset:8 scope:SCOPE_SYS
.LBB8_504:                              ;   in Loop: Header=BB8_441 Depth=1
	s_or_b32 exec_lo, exec_lo, s16
	s_wait_loadcnt 0x0
	global_load_b64 v[2:3], v[0:1], off offset:16
	s_wait_loadcnt 0x0
	v_cmp_eq_u64_e32 vcc_lo, 0, v[2:3]
	s_cbranch_vccnz .LBB8_506
; %bb.505:                              ;   in Loop: Header=BB8_441 Depth=1
	global_load_b32 v11, v[0:1], off offset:24
	s_wait_loadcnt 0x0
	v_and_b32_e32 v0, 0xffffff, v11
	global_wb scope:SCOPE_SYS
	s_wait_storecnt 0x0
	global_store_b64 v[2:3], v[11:12], off scope:SCOPE_SYS
	v_readfirstlane_b32 m0, v0
	s_sendmsg sendmsg(MSG_INTERRUPT)
.LBB8_506:                              ;   in Loop: Header=BB8_441 Depth=1
	s_wait_alu 0xfffe
	s_or_b32 exec_lo, exec_lo, s11
	v_add_co_u32 v0, vcc_lo, v29, v51
	s_wait_alu 0xfffd
	v_add_co_ci_u32_e32 v1, vcc_lo, 0, v30, vcc_lo
	s_branch .LBB8_510
.LBB8_507:                              ;   in Loop: Header=BB8_510 Depth=2
	s_wait_alu 0xfffe
	s_or_b32 exec_lo, exec_lo, s11
	s_delay_alu instid0(VALU_DEP_1) | instskip(NEXT) | instid1(VALU_DEP_1)
	v_readfirstlane_b32 s11, v2
	s_cmp_eq_u32 s11, 0
	s_cbranch_scc1 .LBB8_509
; %bb.508:                              ;   in Loop: Header=BB8_510 Depth=2
	s_sleep 1
	s_cbranch_execnz .LBB8_510
	s_branch .LBB8_512
.LBB8_509:                              ;   in Loop: Header=BB8_441 Depth=1
	s_branch .LBB8_512
.LBB8_510:                              ;   Parent Loop BB8_441 Depth=1
                                        ; =>  This Inner Loop Header: Depth=2
	v_mov_b32_e32 v2, 1
	s_and_saveexec_b32 s11, s0
	s_cbranch_execz .LBB8_507
; %bb.511:                              ;   in Loop: Header=BB8_510 Depth=2
	global_load_b32 v2, v[6:7], off offset:20 scope:SCOPE_SYS
	s_wait_loadcnt 0x0
	global_inv scope:SCOPE_SYS
	v_and_b32_e32 v2, 1, v2
	s_branch .LBB8_507
.LBB8_512:                              ;   in Loop: Header=BB8_441 Depth=1
	global_load_b128 v[0:3], v[0:1], off
	s_and_saveexec_b32 s11, s0
	s_cbranch_execz .LBB8_440
; %bb.513:                              ;   in Loop: Header=BB8_441 Depth=1
	s_clause 0x2
	global_load_b64 v[2:3], v12, s[34:35] offset:40
	global_load_b64 v[6:7], v12, s[34:35] offset:24 scope:SCOPE_SYS
	global_load_b64 v[17:18], v12, s[34:35]
	s_wait_loadcnt 0x2
	v_add_co_u32 v11, vcc_lo, v2, 1
	s_wait_alu 0xfffd
	v_add_co_ci_u32_e32 v19, vcc_lo, 0, v3, vcc_lo
	s_delay_alu instid0(VALU_DEP_2) | instskip(SKIP_1) | instid1(VALU_DEP_2)
	v_add_co_u32 v15, vcc_lo, v11, s10
	s_wait_alu 0xfffd
	v_add_co_ci_u32_e32 v16, vcc_lo, s1, v19, vcc_lo
	s_delay_alu instid0(VALU_DEP_1) | instskip(SKIP_3) | instid1(VALU_DEP_2)
	v_cmp_eq_u64_e32 vcc_lo, 0, v[15:16]
	s_wait_alu 0xfffd
	v_cndmask_b32_e32 v15, v15, v11, vcc_lo
	v_cndmask_b32_e32 v16, v16, v19, vcc_lo
	v_and_b32_e32 v2, v15, v2
	s_delay_alu instid0(VALU_DEP_1) | instskip(SKIP_3) | instid1(VALU_DEP_1)
	v_mul_lo_u32 v11, 0, v2
	v_mul_hi_u32 v19, 24, v2
	v_mul_lo_u32 v2, 24, v2
	s_wait_loadcnt 0x0
	v_add_co_u32 v2, vcc_lo, v17, v2
	v_mov_b32_e32 v17, v6
	v_and_b32_e32 v3, v16, v3
	s_delay_alu instid0(VALU_DEP_1) | instskip(NEXT) | instid1(VALU_DEP_1)
	v_mul_lo_u32 v3, 24, v3
	v_add_nc_u32_e32 v3, v3, v11
	s_delay_alu instid0(VALU_DEP_1) | instskip(SKIP_1) | instid1(VALU_DEP_1)
	v_add_nc_u32_e32 v3, v3, v19
	s_wait_alu 0xfffd
	v_add_co_ci_u32_e32 v3, vcc_lo, v18, v3, vcc_lo
	v_mov_b32_e32 v18, v7
	global_store_b64 v[2:3], v[6:7], off
	global_wb scope:SCOPE_SYS
	s_wait_storecnt 0x0
	global_atomic_cmpswap_b64 v[17:18], v12, v[15:18], s[34:35] offset:24 th:TH_ATOMIC_RETURN scope:SCOPE_SYS
	s_wait_loadcnt 0x0
	v_cmp_ne_u64_e32 vcc_lo, v[17:18], v[6:7]
	s_and_b32 exec_lo, exec_lo, vcc_lo
	s_cbranch_execz .LBB8_440
; %bb.514:                              ;   in Loop: Header=BB8_441 Depth=1
	s_mov_b32 s0, 0
.LBB8_515:                              ;   Parent Loop BB8_441 Depth=1
                                        ; =>  This Inner Loop Header: Depth=2
	s_sleep 1
	global_store_b64 v[2:3], v[17:18], off
	global_wb scope:SCOPE_SYS
	s_wait_storecnt 0x0
	global_atomic_cmpswap_b64 v[6:7], v12, v[15:18], s[34:35] offset:24 th:TH_ATOMIC_RETURN scope:SCOPE_SYS
	s_wait_loadcnt 0x0
	v_cmp_eq_u64_e32 vcc_lo, v[6:7], v[17:18]
	v_dual_mov_b32 v18, v7 :: v_dual_mov_b32 v17, v6
	s_wait_alu 0xfffe
	s_or_b32 s0, vcc_lo, s0
	s_wait_alu 0xfffe
	s_and_not1_b32 exec_lo, exec_lo, s0
	s_cbranch_execnz .LBB8_515
	s_branch .LBB8_440
.LBB8_516:
	s_branch .LBB8_545
.LBB8_517:
                                        ; implicit-def: $vgpr0_vgpr1
	s_cbranch_execz .LBB8_545
; %bb.518:
	v_readfirstlane_b32 s0, v52
	v_mov_b32_e32 v6, 0
	v_mov_b32_e32 v7, 0
	s_wait_alu 0xf1ff
	s_delay_alu instid0(VALU_DEP_3) | instskip(NEXT) | instid1(VALU_DEP_1)
	v_cmp_eq_u32_e64 s0, s0, v52
	s_and_saveexec_b32 s1, s0
	s_cbranch_execz .LBB8_524
; %bb.519:
	s_wait_loadcnt 0x0
	v_mov_b32_e32 v0, 0
	s_mov_b32 s2, exec_lo
	global_load_b64 v[13:14], v0, s[34:35] offset:24 scope:SCOPE_SYS
	s_wait_loadcnt 0x0
	global_inv scope:SCOPE_SYS
	s_clause 0x1
	global_load_b64 v[1:2], v0, s[34:35] offset:40
	global_load_b64 v[6:7], v0, s[34:35]
	s_wait_loadcnt 0x1
	v_and_b32_e32 v1, v1, v13
	v_and_b32_e32 v2, v2, v14
	s_delay_alu instid0(VALU_DEP_2) | instskip(NEXT) | instid1(VALU_DEP_2)
	v_mul_lo_u32 v3, 0, v1
	v_mul_lo_u32 v2, 24, v2
	v_mul_hi_u32 v11, 24, v1
	v_mul_lo_u32 v1, 24, v1
	s_delay_alu instid0(VALU_DEP_3) | instskip(SKIP_1) | instid1(VALU_DEP_2)
	v_add_nc_u32_e32 v2, v2, v3
	s_wait_loadcnt 0x0
	v_add_co_u32 v1, vcc_lo, v6, v1
	s_delay_alu instid0(VALU_DEP_2) | instskip(SKIP_1) | instid1(VALU_DEP_1)
	v_add_nc_u32_e32 v2, v2, v11
	s_wait_alu 0xfffd
	v_add_co_ci_u32_e32 v2, vcc_lo, v7, v2, vcc_lo
	global_load_b64 v[11:12], v[1:2], off scope:SCOPE_SYS
	s_wait_loadcnt 0x0
	global_atomic_cmpswap_b64 v[6:7], v0, v[11:14], s[34:35] offset:24 th:TH_ATOMIC_RETURN scope:SCOPE_SYS
	s_wait_loadcnt 0x0
	global_inv scope:SCOPE_SYS
	v_cmpx_ne_u64_e64 v[6:7], v[13:14]
	s_cbranch_execz .LBB8_523
; %bb.520:
	s_mov_b32 s3, 0
.LBB8_521:                              ; =>This Inner Loop Header: Depth=1
	s_sleep 1
	s_clause 0x1
	global_load_b64 v[1:2], v0, s[34:35] offset:40
	global_load_b64 v[11:12], v0, s[34:35]
	v_dual_mov_b32 v14, v7 :: v_dual_mov_b32 v13, v6
	s_wait_loadcnt 0x1
	s_delay_alu instid0(VALU_DEP_1) | instskip(SKIP_1) | instid1(VALU_DEP_1)
	v_and_b32_e32 v1, v1, v13
	s_wait_loadcnt 0x0
	v_mad_co_u64_u32 v[6:7], null, v1, 24, v[11:12]
	s_delay_alu instid0(VALU_DEP_1) | instskip(NEXT) | instid1(VALU_DEP_1)
	v_dual_mov_b32 v1, v7 :: v_dual_and_b32 v2, v2, v14
	v_mad_co_u64_u32 v[1:2], null, v2, 24, v[1:2]
	s_delay_alu instid0(VALU_DEP_1)
	v_mov_b32_e32 v7, v1
	global_load_b64 v[11:12], v[6:7], off scope:SCOPE_SYS
	s_wait_loadcnt 0x0
	global_atomic_cmpswap_b64 v[6:7], v0, v[11:14], s[34:35] offset:24 th:TH_ATOMIC_RETURN scope:SCOPE_SYS
	s_wait_loadcnt 0x0
	global_inv scope:SCOPE_SYS
	v_cmp_eq_u64_e32 vcc_lo, v[6:7], v[13:14]
	s_wait_alu 0xfffe
	s_or_b32 s3, vcc_lo, s3
	s_wait_alu 0xfffe
	s_and_not1_b32 exec_lo, exec_lo, s3
	s_cbranch_execnz .LBB8_521
; %bb.522:
	s_or_b32 exec_lo, exec_lo, s3
.LBB8_523:
	s_wait_alu 0xfffe
	s_or_b32 exec_lo, exec_lo, s2
.LBB8_524:
	s_wait_alu 0xfffe
	s_or_b32 exec_lo, exec_lo, s1
	v_readfirstlane_b32 s2, v6
	v_mov_b32_e32 v11, 0
	v_readfirstlane_b32 s1, v7
	s_mov_b32 s3, exec_lo
	s_clause 0x1
	global_load_b64 v[12:13], v11, s[34:35] offset:40
	global_load_b128 v[0:3], v11, s[34:35]
	s_wait_loadcnt 0x1
	s_wait_alu 0xf1ff
	v_and_b32_e32 v12, s2, v12
	v_and_b32_e32 v13, s1, v13
	s_delay_alu instid0(VALU_DEP_2) | instskip(NEXT) | instid1(VALU_DEP_2)
	v_mul_lo_u32 v7, 0, v12
	v_mul_lo_u32 v6, 24, v13
	v_mul_hi_u32 v14, 24, v12
	v_mul_lo_u32 v15, 24, v12
	s_delay_alu instid0(VALU_DEP_3) | instskip(NEXT) | instid1(VALU_DEP_1)
	v_add_nc_u32_e32 v6, v6, v7
	v_add_nc_u32_e32 v7, v6, v14
	s_wait_loadcnt 0x0
	s_delay_alu instid0(VALU_DEP_3) | instskip(SKIP_1) | instid1(VALU_DEP_2)
	v_add_co_u32 v6, vcc_lo, v0, v15
	s_wait_alu 0xfffd
	v_add_co_ci_u32_e32 v7, vcc_lo, v1, v7, vcc_lo
	s_and_saveexec_b32 s4, s0
	s_cbranch_execz .LBB8_526
; %bb.525:
	s_wait_alu 0xfffe
	v_dual_mov_b32 v14, s3 :: v_dual_mov_b32 v15, v11
	v_dual_mov_b32 v16, 2 :: v_dual_mov_b32 v17, 1
	global_store_b128 v[6:7], v[14:17], off offset:8
.LBB8_526:
	s_wait_alu 0xfffe
	s_or_b32 exec_lo, exec_lo, s4
	v_lshlrev_b64_e32 v[13:14], 12, v[12:13]
	s_mov_b32 s4, 0
	v_and_or_b32 v9, 0xffffff1f, v9, 32
	s_wait_alu 0xfffe
	s_mov_b32 s7, s4
	s_mov_b32 s5, s4
	;; [unrolled: 1-line block ×3, first 2 shown]
	v_add_co_u32 v2, vcc_lo, v2, v13
	s_wait_alu 0xfffd
	v_add_co_ci_u32_e32 v3, vcc_lo, v3, v14, vcc_lo
	v_mov_b32_e32 v12, v11
	s_delay_alu instid0(VALU_DEP_3) | instskip(SKIP_1) | instid1(VALU_DEP_4)
	v_add_co_u32 v13, vcc_lo, v2, v51
	v_readfirstlane_b32 s10, v2
	v_readfirstlane_b32 s11, v3
	s_wait_alu 0xfffe
	v_dual_mov_b32 v18, s7 :: v_dual_mov_b32 v15, s4
	s_wait_alu 0xfffd
	v_add_co_ci_u32_e32 v14, vcc_lo, 0, v3, vcc_lo
	v_dual_mov_b32 v17, s6 :: v_dual_mov_b32 v16, s5
	s_clause 0x3
	global_store_b128 v51, v[9:12], s[10:11]
	global_store_b128 v51, v[15:18], s[10:11] offset:16
	global_store_b128 v51, v[15:18], s[10:11] offset:32
	;; [unrolled: 1-line block ×3, first 2 shown]
	s_and_saveexec_b32 s3, s0
	s_cbranch_execz .LBB8_534
; %bb.527:
	v_mov_b32_e32 v11, 0
	v_mov_b32_e32 v15, s2
	s_mov_b32 s4, exec_lo
	s_clause 0x1
	global_load_b64 v[17:18], v11, s[34:35] offset:32 scope:SCOPE_SYS
	global_load_b64 v[2:3], v11, s[34:35] offset:40
	v_mov_b32_e32 v16, s1
	s_wait_loadcnt 0x0
	v_and_b32_e32 v2, s2, v2
	v_and_b32_e32 v3, s1, v3
	s_delay_alu instid0(VALU_DEP_2) | instskip(NEXT) | instid1(VALU_DEP_2)
	v_mul_lo_u32 v9, 0, v2
	v_mul_lo_u32 v3, 24, v3
	v_mul_hi_u32 v10, 24, v2
	v_mul_lo_u32 v2, 24, v2
	s_delay_alu instid0(VALU_DEP_3) | instskip(NEXT) | instid1(VALU_DEP_2)
	v_add_nc_u32_e32 v3, v3, v9
	v_add_co_u32 v9, vcc_lo, v0, v2
	s_delay_alu instid0(VALU_DEP_2) | instskip(SKIP_1) | instid1(VALU_DEP_1)
	v_add_nc_u32_e32 v3, v3, v10
	s_wait_alu 0xfffd
	v_add_co_ci_u32_e32 v10, vcc_lo, v1, v3, vcc_lo
	global_store_b64 v[9:10], v[17:18], off
	global_wb scope:SCOPE_SYS
	s_wait_storecnt 0x0
	global_atomic_cmpswap_b64 v[2:3], v11, v[15:18], s[34:35] offset:32 th:TH_ATOMIC_RETURN scope:SCOPE_SYS
	s_wait_loadcnt 0x0
	v_cmpx_ne_u64_e64 v[2:3], v[17:18]
	s_cbranch_execz .LBB8_530
; %bb.528:
	s_mov_b32 s5, 0
.LBB8_529:                              ; =>This Inner Loop Header: Depth=1
	v_dual_mov_b32 v0, s2 :: v_dual_mov_b32 v1, s1
	s_sleep 1
	global_store_b64 v[9:10], v[2:3], off
	global_wb scope:SCOPE_SYS
	s_wait_storecnt 0x0
	global_atomic_cmpswap_b64 v[0:1], v11, v[0:3], s[34:35] offset:32 th:TH_ATOMIC_RETURN scope:SCOPE_SYS
	s_wait_loadcnt 0x0
	v_cmp_eq_u64_e32 vcc_lo, v[0:1], v[2:3]
	v_dual_mov_b32 v3, v1 :: v_dual_mov_b32 v2, v0
	s_wait_alu 0xfffe
	s_or_b32 s5, vcc_lo, s5
	s_wait_alu 0xfffe
	s_and_not1_b32 exec_lo, exec_lo, s5
	s_cbranch_execnz .LBB8_529
.LBB8_530:
	s_wait_alu 0xfffe
	s_or_b32 exec_lo, exec_lo, s4
	v_mov_b32_e32 v3, 0
	s_mov_b32 s5, exec_lo
	s_mov_b32 s4, exec_lo
	s_wait_alu 0xfffe
	v_mbcnt_lo_u32_b32 v2, s5, 0
	global_load_b64 v[0:1], v3, s[34:35] offset:16
	v_cmpx_eq_u32_e32 0, v2
	s_cbranch_execz .LBB8_532
; %bb.531:
	s_bcnt1_i32_b32 s5, s5
	s_wait_alu 0xfffe
	v_mov_b32_e32 v2, s5
	global_wb scope:SCOPE_SYS
	s_wait_loadcnt 0x0
	global_atomic_add_u64 v[0:1], v[2:3], off offset:8 scope:SCOPE_SYS
.LBB8_532:
	s_or_b32 exec_lo, exec_lo, s4
	s_wait_loadcnt 0x0
	global_load_b64 v[2:3], v[0:1], off offset:16
	s_wait_loadcnt 0x0
	v_cmp_eq_u64_e32 vcc_lo, 0, v[2:3]
	s_cbranch_vccnz .LBB8_534
; %bb.533:
	global_load_b32 v0, v[0:1], off offset:24
	v_mov_b32_e32 v1, 0
	s_wait_loadcnt 0x0
	v_and_b32_e32 v9, 0xffffff, v0
	global_wb scope:SCOPE_SYS
	s_wait_storecnt 0x0
	global_store_b64 v[2:3], v[0:1], off scope:SCOPE_SYS
	v_readfirstlane_b32 m0, v9
	s_sendmsg sendmsg(MSG_INTERRUPT)
.LBB8_534:
	s_wait_alu 0xfffe
	s_or_b32 exec_lo, exec_lo, s3
	s_branch .LBB8_538
.LBB8_535:                              ;   in Loop: Header=BB8_538 Depth=1
	s_wait_alu 0xfffe
	s_or_b32 exec_lo, exec_lo, s3
	s_delay_alu instid0(VALU_DEP_1) | instskip(NEXT) | instid1(VALU_DEP_1)
	v_readfirstlane_b32 s3, v0
	s_cmp_eq_u32 s3, 0
	s_cbranch_scc1 .LBB8_537
; %bb.536:                              ;   in Loop: Header=BB8_538 Depth=1
	s_sleep 1
	s_cbranch_execnz .LBB8_538
	s_branch .LBB8_540
.LBB8_537:
	s_branch .LBB8_540
.LBB8_538:                              ; =>This Inner Loop Header: Depth=1
	v_mov_b32_e32 v0, 1
	s_and_saveexec_b32 s3, s0
	s_cbranch_execz .LBB8_535
; %bb.539:                              ;   in Loop: Header=BB8_538 Depth=1
	global_load_b32 v0, v[6:7], off offset:20 scope:SCOPE_SYS
	s_wait_loadcnt 0x0
	global_inv scope:SCOPE_SYS
	v_and_b32_e32 v0, 1, v0
	s_branch .LBB8_535
.LBB8_540:
	global_load_b64 v[0:1], v[13:14], off
	s_and_saveexec_b32 s3, s0
	s_cbranch_execz .LBB8_544
; %bb.541:
	v_mov_b32_e32 v6, 0
	s_clause 0x2
	global_load_b64 v[2:3], v6, s[34:35] offset:40
	global_load_b64 v[13:14], v6, s[34:35] offset:24 scope:SCOPE_SYS
	global_load_b64 v[11:12], v6, s[34:35]
	s_wait_loadcnt 0x2
	v_add_co_u32 v7, vcc_lo, v2, 1
	s_wait_alu 0xfffd
	v_add_co_ci_u32_e32 v15, vcc_lo, 0, v3, vcc_lo
	s_delay_alu instid0(VALU_DEP_2) | instskip(SKIP_1) | instid1(VALU_DEP_2)
	v_add_co_u32 v9, vcc_lo, v7, s2
	s_wait_alu 0xfffd
	v_add_co_ci_u32_e32 v10, vcc_lo, s1, v15, vcc_lo
	s_delay_alu instid0(VALU_DEP_1) | instskip(SKIP_3) | instid1(VALU_DEP_2)
	v_cmp_eq_u64_e32 vcc_lo, 0, v[9:10]
	s_wait_alu 0xfffd
	v_cndmask_b32_e32 v9, v9, v7, vcc_lo
	v_cndmask_b32_e32 v10, v10, v15, vcc_lo
	v_and_b32_e32 v2, v9, v2
	s_delay_alu instid0(VALU_DEP_1) | instskip(SKIP_3) | instid1(VALU_DEP_1)
	v_mul_lo_u32 v7, 0, v2
	v_mul_hi_u32 v15, 24, v2
	v_mul_lo_u32 v2, 24, v2
	s_wait_loadcnt 0x0
	v_add_co_u32 v2, vcc_lo, v11, v2
	v_mov_b32_e32 v11, v13
	v_and_b32_e32 v3, v10, v3
	s_delay_alu instid0(VALU_DEP_1) | instskip(NEXT) | instid1(VALU_DEP_1)
	v_mul_lo_u32 v3, 24, v3
	v_add_nc_u32_e32 v3, v3, v7
	s_delay_alu instid0(VALU_DEP_1) | instskip(SKIP_1) | instid1(VALU_DEP_1)
	v_add_nc_u32_e32 v3, v3, v15
	s_wait_alu 0xfffd
	v_add_co_ci_u32_e32 v3, vcc_lo, v12, v3, vcc_lo
	v_mov_b32_e32 v12, v14
	global_store_b64 v[2:3], v[13:14], off
	global_wb scope:SCOPE_SYS
	s_wait_storecnt 0x0
	global_atomic_cmpswap_b64 v[11:12], v6, v[9:12], s[34:35] offset:24 th:TH_ATOMIC_RETURN scope:SCOPE_SYS
	s_wait_loadcnt 0x0
	v_cmp_ne_u64_e32 vcc_lo, v[11:12], v[13:14]
	s_and_b32 exec_lo, exec_lo, vcc_lo
	s_cbranch_execz .LBB8_544
; %bb.542:
	s_mov_b32 s0, 0
.LBB8_543:                              ; =>This Inner Loop Header: Depth=1
	s_sleep 1
	global_store_b64 v[2:3], v[11:12], off
	global_wb scope:SCOPE_SYS
	s_wait_storecnt 0x0
	global_atomic_cmpswap_b64 v[13:14], v6, v[9:12], s[34:35] offset:24 th:TH_ATOMIC_RETURN scope:SCOPE_SYS
	s_wait_loadcnt 0x0
	v_cmp_eq_u64_e32 vcc_lo, v[13:14], v[11:12]
	v_dual_mov_b32 v11, v13 :: v_dual_mov_b32 v12, v14
	s_wait_alu 0xfffe
	s_or_b32 s0, vcc_lo, s0
	s_wait_alu 0xfffe
	s_and_not1_b32 exec_lo, exec_lo, s0
	s_cbranch_execnz .LBB8_543
.LBB8_544:
	s_wait_alu 0xfffe
	s_or_b32 exec_lo, exec_lo, s3
.LBB8_545:
	s_getpc_b64 s[2:3]
	s_wait_alu 0xfffe
	s_sext_i32_i16 s3, s3
	s_add_co_u32 s2, s2, .str.1@rel32@lo+12
	s_wait_alu 0xfffe
	s_add_co_ci_u32 s3, s3, .str.1@rel32@hi+24
	s_wait_alu 0xfffe
	s_cmp_lg_u64 s[2:3], 0
	s_cbranch_scc0 .LBB8_624
; %bb.546:
	s_wait_loadcnt 0x0
	v_dual_mov_b32 v14, v1 :: v_dual_and_b32 v13, -3, v0
	v_dual_mov_b32 v10, 0 :: v_dual_mov_b32 v11, 2
	v_mov_b32_e32 v12, 1
	s_mov_b64 s[4:5], 0x4f
	s_branch .LBB8_548
.LBB8_547:                              ;   in Loop: Header=BB8_548 Depth=1
	s_wait_alu 0xfffe
	s_or_b32 exec_lo, exec_lo, s11
	s_sub_nc_u64 s[4:5], s[4:5], s[6:7]
	s_add_nc_u64 s[2:3], s[2:3], s[6:7]
	s_wait_alu 0xfffe
	s_cmp_lg_u64 s[4:5], 0
	s_cbranch_scc0 .LBB8_623
.LBB8_548:                              ; =>This Loop Header: Depth=1
                                        ;     Child Loop BB8_557 Depth 2
                                        ;     Child Loop BB8_553 Depth 2
	;; [unrolled: 1-line block ×11, first 2 shown]
	s_wait_alu 0xfffe
	v_cmp_lt_u64_e64 s0, s[4:5], 56
	v_cmp_gt_u64_e64 s1, s[4:5], 7
                                        ; implicit-def: $sgpr18
	s_delay_alu instid0(VALU_DEP_2) | instskip(SKIP_2) | instid1(VALU_DEP_1)
	s_and_b32 s0, s0, exec_lo
	s_cselect_b32 s7, s5, 0
	s_cselect_b32 s6, s4, 56
	s_and_b32 vcc_lo, exec_lo, s1
	s_mov_b32 s0, -1
	s_wait_alu 0xfffe
	s_cbranch_vccz .LBB8_555
; %bb.549:                              ;   in Loop: Header=BB8_548 Depth=1
	s_and_not1_b32 vcc_lo, exec_lo, s0
	s_mov_b64 s[0:1], s[2:3]
	s_wait_alu 0xfffe
	s_cbranch_vccz .LBB8_559
.LBB8_550:                              ;   in Loop: Header=BB8_548 Depth=1
	s_wait_alu 0xfffe
	s_cmp_gt_u32 s18, 7
	s_cbranch_scc1 .LBB8_560
.LBB8_551:                              ;   in Loop: Header=BB8_548 Depth=1
	v_mov_b32_e32 v17, 0
	v_mov_b32_e32 v18, 0
	s_cmp_eq_u32 s18, 0
	s_cbranch_scc1 .LBB8_554
; %bb.552:                              ;   in Loop: Header=BB8_548 Depth=1
	s_mov_b64 s[10:11], 0
	s_mov_b64 s[16:17], 0
.LBB8_553:                              ;   Parent Loop BB8_548 Depth=1
                                        ; =>  This Inner Loop Header: Depth=2
	s_wait_alu 0xfffe
	s_add_nc_u64 s[20:21], s[0:1], s[16:17]
	s_add_nc_u64 s[16:17], s[16:17], 1
	global_load_u8 v2, v10, s[20:21]
	s_wait_alu 0xfffe
	s_cmp_lg_u32 s18, s16
	s_wait_loadcnt 0x0
	v_and_b32_e32 v9, 0xffff, v2
	s_delay_alu instid0(VALU_DEP_1) | instskip(SKIP_1) | instid1(VALU_DEP_1)
	v_lshlrev_b64_e32 v[2:3], s10, v[9:10]
	s_add_nc_u64 s[10:11], s[10:11], 8
	v_or_b32_e32 v17, v2, v17
	s_delay_alu instid0(VALU_DEP_2)
	v_or_b32_e32 v18, v3, v18
	s_cbranch_scc1 .LBB8_553
.LBB8_554:                              ;   in Loop: Header=BB8_548 Depth=1
	s_mov_b32 s19, 0
	s_cbranch_execz .LBB8_561
	s_branch .LBB8_562
.LBB8_555:                              ;   in Loop: Header=BB8_548 Depth=1
	s_wait_loadcnt 0x0
	v_mov_b32_e32 v15, 0
	v_mov_b32_e32 v16, 0
	s_cmp_eq_u64 s[4:5], 0
	s_mov_b64 s[0:1], 0
	s_cbranch_scc1 .LBB8_558
; %bb.556:                              ;   in Loop: Header=BB8_548 Depth=1
	v_mov_b32_e32 v15, 0
	v_mov_b32_e32 v16, 0
	s_mov_b64 s[10:11], 0
.LBB8_557:                              ;   Parent Loop BB8_548 Depth=1
                                        ; =>  This Inner Loop Header: Depth=2
	s_wait_alu 0xfffe
	s_add_nc_u64 s[16:17], s[2:3], s[10:11]
	s_add_nc_u64 s[10:11], s[10:11], 1
	global_load_u8 v2, v10, s[16:17]
	s_wait_alu 0xfffe
	s_cmp_lg_u32 s6, s10
	s_wait_loadcnt 0x0
	v_and_b32_e32 v9, 0xffff, v2
	s_delay_alu instid0(VALU_DEP_1) | instskip(SKIP_1) | instid1(VALU_DEP_1)
	v_lshlrev_b64_e32 v[2:3], s0, v[9:10]
	s_add_nc_u64 s[0:1], s[0:1], 8
	v_or_b32_e32 v15, v2, v15
	s_delay_alu instid0(VALU_DEP_2)
	v_or_b32_e32 v16, v3, v16
	s_cbranch_scc1 .LBB8_557
.LBB8_558:                              ;   in Loop: Header=BB8_548 Depth=1
	s_mov_b32 s18, 0
	s_mov_b64 s[0:1], s[2:3]
	s_cbranch_execnz .LBB8_550
.LBB8_559:                              ;   in Loop: Header=BB8_548 Depth=1
	global_load_b64 v[15:16], v10, s[2:3]
	s_add_co_i32 s18, s6, -8
	s_add_nc_u64 s[0:1], s[2:3], 8
	s_wait_alu 0xfffe
	s_cmp_gt_u32 s18, 7
	s_cbranch_scc0 .LBB8_551
.LBB8_560:                              ;   in Loop: Header=BB8_548 Depth=1
                                        ; implicit-def: $vgpr17_vgpr18
                                        ; implicit-def: $sgpr19
.LBB8_561:                              ;   in Loop: Header=BB8_548 Depth=1
	global_load_b64 v[17:18], v10, s[0:1]
	s_add_co_i32 s19, s18, -8
	s_add_nc_u64 s[0:1], s[0:1], 8
.LBB8_562:                              ;   in Loop: Header=BB8_548 Depth=1
	s_wait_alu 0xfffe
	s_cmp_gt_u32 s19, 7
	s_cbranch_scc1 .LBB8_567
; %bb.563:                              ;   in Loop: Header=BB8_548 Depth=1
	v_mov_b32_e32 v19, 0
	v_mov_b32_e32 v20, 0
	s_cmp_eq_u32 s19, 0
	s_cbranch_scc1 .LBB8_566
; %bb.564:                              ;   in Loop: Header=BB8_548 Depth=1
	s_mov_b64 s[10:11], 0
	s_mov_b64 s[16:17], 0
.LBB8_565:                              ;   Parent Loop BB8_548 Depth=1
                                        ; =>  This Inner Loop Header: Depth=2
	s_wait_alu 0xfffe
	s_add_nc_u64 s[20:21], s[0:1], s[16:17]
	s_add_nc_u64 s[16:17], s[16:17], 1
	global_load_u8 v2, v10, s[20:21]
	s_wait_alu 0xfffe
	s_cmp_lg_u32 s19, s16
	s_wait_loadcnt 0x0
	v_and_b32_e32 v9, 0xffff, v2
	s_delay_alu instid0(VALU_DEP_1) | instskip(SKIP_1) | instid1(VALU_DEP_1)
	v_lshlrev_b64_e32 v[2:3], s10, v[9:10]
	s_add_nc_u64 s[10:11], s[10:11], 8
	v_or_b32_e32 v19, v2, v19
	s_delay_alu instid0(VALU_DEP_2)
	v_or_b32_e32 v20, v3, v20
	s_cbranch_scc1 .LBB8_565
.LBB8_566:                              ;   in Loop: Header=BB8_548 Depth=1
	s_mov_b32 s18, 0
	s_cbranch_execz .LBB8_568
	s_branch .LBB8_569
.LBB8_567:                              ;   in Loop: Header=BB8_548 Depth=1
                                        ; implicit-def: $sgpr18
.LBB8_568:                              ;   in Loop: Header=BB8_548 Depth=1
	global_load_b64 v[19:20], v10, s[0:1]
	s_add_co_i32 s18, s19, -8
	s_add_nc_u64 s[0:1], s[0:1], 8
.LBB8_569:                              ;   in Loop: Header=BB8_548 Depth=1
	s_wait_alu 0xfffe
	s_cmp_gt_u32 s18, 7
	s_cbranch_scc1 .LBB8_574
; %bb.570:                              ;   in Loop: Header=BB8_548 Depth=1
	v_mov_b32_e32 v21, 0
	v_mov_b32_e32 v22, 0
	s_cmp_eq_u32 s18, 0
	s_cbranch_scc1 .LBB8_573
; %bb.571:                              ;   in Loop: Header=BB8_548 Depth=1
	s_mov_b64 s[10:11], 0
	s_mov_b64 s[16:17], 0
.LBB8_572:                              ;   Parent Loop BB8_548 Depth=1
                                        ; =>  This Inner Loop Header: Depth=2
	s_wait_alu 0xfffe
	s_add_nc_u64 s[20:21], s[0:1], s[16:17]
	s_add_nc_u64 s[16:17], s[16:17], 1
	global_load_u8 v2, v10, s[20:21]
	s_wait_alu 0xfffe
	s_cmp_lg_u32 s18, s16
	s_wait_loadcnt 0x0
	v_and_b32_e32 v9, 0xffff, v2
	s_delay_alu instid0(VALU_DEP_1) | instskip(SKIP_1) | instid1(VALU_DEP_1)
	v_lshlrev_b64_e32 v[2:3], s10, v[9:10]
	s_add_nc_u64 s[10:11], s[10:11], 8
	v_or_b32_e32 v21, v2, v21
	s_delay_alu instid0(VALU_DEP_2)
	v_or_b32_e32 v22, v3, v22
	s_cbranch_scc1 .LBB8_572
.LBB8_573:                              ;   in Loop: Header=BB8_548 Depth=1
	s_mov_b32 s19, 0
	s_cbranch_execz .LBB8_575
	s_branch .LBB8_576
.LBB8_574:                              ;   in Loop: Header=BB8_548 Depth=1
                                        ; implicit-def: $vgpr21_vgpr22
                                        ; implicit-def: $sgpr19
.LBB8_575:                              ;   in Loop: Header=BB8_548 Depth=1
	global_load_b64 v[21:22], v10, s[0:1]
	s_add_co_i32 s19, s18, -8
	s_add_nc_u64 s[0:1], s[0:1], 8
.LBB8_576:                              ;   in Loop: Header=BB8_548 Depth=1
	s_wait_alu 0xfffe
	s_cmp_gt_u32 s19, 7
	s_cbranch_scc1 .LBB8_581
; %bb.577:                              ;   in Loop: Header=BB8_548 Depth=1
	v_mov_b32_e32 v23, 0
	v_mov_b32_e32 v24, 0
	s_cmp_eq_u32 s19, 0
	s_cbranch_scc1 .LBB8_580
; %bb.578:                              ;   in Loop: Header=BB8_548 Depth=1
	s_mov_b64 s[10:11], 0
	s_mov_b64 s[16:17], 0
.LBB8_579:                              ;   Parent Loop BB8_548 Depth=1
                                        ; =>  This Inner Loop Header: Depth=2
	s_wait_alu 0xfffe
	s_add_nc_u64 s[20:21], s[0:1], s[16:17]
	s_add_nc_u64 s[16:17], s[16:17], 1
	global_load_u8 v2, v10, s[20:21]
	s_wait_alu 0xfffe
	s_cmp_lg_u32 s19, s16
	s_wait_loadcnt 0x0
	v_and_b32_e32 v9, 0xffff, v2
	s_delay_alu instid0(VALU_DEP_1) | instskip(SKIP_1) | instid1(VALU_DEP_1)
	v_lshlrev_b64_e32 v[2:3], s10, v[9:10]
	s_add_nc_u64 s[10:11], s[10:11], 8
	v_or_b32_e32 v23, v2, v23
	s_delay_alu instid0(VALU_DEP_2)
	v_or_b32_e32 v24, v3, v24
	s_cbranch_scc1 .LBB8_579
.LBB8_580:                              ;   in Loop: Header=BB8_548 Depth=1
	s_mov_b32 s18, 0
	s_cbranch_execz .LBB8_582
	s_branch .LBB8_583
.LBB8_581:                              ;   in Loop: Header=BB8_548 Depth=1
                                        ; implicit-def: $sgpr18
.LBB8_582:                              ;   in Loop: Header=BB8_548 Depth=1
	global_load_b64 v[23:24], v10, s[0:1]
	s_add_co_i32 s18, s19, -8
	s_add_nc_u64 s[0:1], s[0:1], 8
.LBB8_583:                              ;   in Loop: Header=BB8_548 Depth=1
	s_wait_alu 0xfffe
	s_cmp_gt_u32 s18, 7
	s_cbranch_scc1 .LBB8_588
; %bb.584:                              ;   in Loop: Header=BB8_548 Depth=1
	v_mov_b32_e32 v25, 0
	v_mov_b32_e32 v26, 0
	s_cmp_eq_u32 s18, 0
	s_cbranch_scc1 .LBB8_587
; %bb.585:                              ;   in Loop: Header=BB8_548 Depth=1
	s_mov_b64 s[10:11], 0
	s_mov_b64 s[16:17], 0
.LBB8_586:                              ;   Parent Loop BB8_548 Depth=1
                                        ; =>  This Inner Loop Header: Depth=2
	s_wait_alu 0xfffe
	s_add_nc_u64 s[20:21], s[0:1], s[16:17]
	s_add_nc_u64 s[16:17], s[16:17], 1
	global_load_u8 v2, v10, s[20:21]
	s_wait_alu 0xfffe
	s_cmp_lg_u32 s18, s16
	s_wait_loadcnt 0x0
	v_and_b32_e32 v9, 0xffff, v2
	s_delay_alu instid0(VALU_DEP_1) | instskip(SKIP_1) | instid1(VALU_DEP_1)
	v_lshlrev_b64_e32 v[2:3], s10, v[9:10]
	s_add_nc_u64 s[10:11], s[10:11], 8
	v_or_b32_e32 v25, v2, v25
	s_delay_alu instid0(VALU_DEP_2)
	v_or_b32_e32 v26, v3, v26
	s_cbranch_scc1 .LBB8_586
.LBB8_587:                              ;   in Loop: Header=BB8_548 Depth=1
	s_mov_b32 s19, 0
	s_cbranch_execz .LBB8_589
	s_branch .LBB8_590
.LBB8_588:                              ;   in Loop: Header=BB8_548 Depth=1
                                        ; implicit-def: $vgpr25_vgpr26
                                        ; implicit-def: $sgpr19
.LBB8_589:                              ;   in Loop: Header=BB8_548 Depth=1
	global_load_b64 v[25:26], v10, s[0:1]
	s_add_co_i32 s19, s18, -8
	s_add_nc_u64 s[0:1], s[0:1], 8
.LBB8_590:                              ;   in Loop: Header=BB8_548 Depth=1
	s_wait_alu 0xfffe
	s_cmp_gt_u32 s19, 7
	s_cbranch_scc1 .LBB8_595
; %bb.591:                              ;   in Loop: Header=BB8_548 Depth=1
	v_mov_b32_e32 v27, 0
	v_mov_b32_e32 v28, 0
	s_cmp_eq_u32 s19, 0
	s_cbranch_scc1 .LBB8_594
; %bb.592:                              ;   in Loop: Header=BB8_548 Depth=1
	s_mov_b64 s[10:11], 0
	s_mov_b64 s[16:17], s[0:1]
.LBB8_593:                              ;   Parent Loop BB8_548 Depth=1
                                        ; =>  This Inner Loop Header: Depth=2
	global_load_u8 v2, v10, s[16:17]
	s_add_co_i32 s19, s19, -1
	s_wait_alu 0xfffe
	s_add_nc_u64 s[16:17], s[16:17], 1
	s_cmp_lg_u32 s19, 0
	s_wait_loadcnt 0x0
	v_and_b32_e32 v9, 0xffff, v2
	s_delay_alu instid0(VALU_DEP_1) | instskip(SKIP_1) | instid1(VALU_DEP_1)
	v_lshlrev_b64_e32 v[2:3], s10, v[9:10]
	s_add_nc_u64 s[10:11], s[10:11], 8
	v_or_b32_e32 v27, v2, v27
	s_delay_alu instid0(VALU_DEP_2)
	v_or_b32_e32 v28, v3, v28
	s_cbranch_scc1 .LBB8_593
.LBB8_594:                              ;   in Loop: Header=BB8_548 Depth=1
	s_cbranch_execz .LBB8_596
	s_branch .LBB8_597
.LBB8_595:                              ;   in Loop: Header=BB8_548 Depth=1
.LBB8_596:                              ;   in Loop: Header=BB8_548 Depth=1
	global_load_b64 v[27:28], v10, s[0:1]
.LBB8_597:                              ;   in Loop: Header=BB8_548 Depth=1
	v_readfirstlane_b32 s0, v52
	v_mov_b32_e32 v2, 0
	v_mov_b32_e32 v3, 0
	s_wait_alu 0xf1ff
	s_delay_alu instid0(VALU_DEP_3) | instskip(NEXT) | instid1(VALU_DEP_1)
	v_cmp_eq_u32_e64 s0, s0, v52
	s_and_saveexec_b32 s1, s0
	s_cbranch_execz .LBB8_603
; %bb.598:                              ;   in Loop: Header=BB8_548 Depth=1
	global_load_b64 v[31:32], v10, s[34:35] offset:24 scope:SCOPE_SYS
	s_wait_loadcnt 0x0
	global_inv scope:SCOPE_SYS
	s_clause 0x1
	global_load_b64 v[2:3], v10, s[34:35] offset:40
	global_load_b64 v[6:7], v10, s[34:35]
	s_mov_b32 s10, exec_lo
	s_wait_loadcnt 0x1
	v_and_b32_e32 v3, v3, v32
	v_and_b32_e32 v2, v2, v31
	s_delay_alu instid0(VALU_DEP_2) | instskip(NEXT) | instid1(VALU_DEP_2)
	v_mul_lo_u32 v3, 24, v3
	v_mul_lo_u32 v9, 0, v2
	v_mul_hi_u32 v29, 24, v2
	v_mul_lo_u32 v2, 24, v2
	s_delay_alu instid0(VALU_DEP_3) | instskip(SKIP_1) | instid1(VALU_DEP_2)
	v_add_nc_u32_e32 v3, v3, v9
	s_wait_loadcnt 0x0
	v_add_co_u32 v2, vcc_lo, v6, v2
	s_delay_alu instid0(VALU_DEP_2) | instskip(SKIP_1) | instid1(VALU_DEP_1)
	v_add_nc_u32_e32 v3, v3, v29
	s_wait_alu 0xfffd
	v_add_co_ci_u32_e32 v3, vcc_lo, v7, v3, vcc_lo
	global_load_b64 v[29:30], v[2:3], off scope:SCOPE_SYS
	s_wait_loadcnt 0x0
	global_atomic_cmpswap_b64 v[2:3], v10, v[29:32], s[34:35] offset:24 th:TH_ATOMIC_RETURN scope:SCOPE_SYS
	s_wait_loadcnt 0x0
	global_inv scope:SCOPE_SYS
	v_cmpx_ne_u64_e64 v[2:3], v[31:32]
	s_cbranch_execz .LBB8_602
; %bb.599:                              ;   in Loop: Header=BB8_548 Depth=1
	s_mov_b32 s11, 0
.LBB8_600:                              ;   Parent Loop BB8_548 Depth=1
                                        ; =>  This Inner Loop Header: Depth=2
	s_sleep 1
	s_clause 0x1
	global_load_b64 v[6:7], v10, s[34:35] offset:40
	global_load_b64 v[29:30], v10, s[34:35]
	v_dual_mov_b32 v32, v3 :: v_dual_mov_b32 v31, v2
	s_wait_loadcnt 0x1
	s_delay_alu instid0(VALU_DEP_1) | instskip(NEXT) | instid1(VALU_DEP_2)
	v_and_b32_e32 v2, v6, v31
	v_and_b32_e32 v6, v7, v32
	s_wait_loadcnt 0x0
	s_delay_alu instid0(VALU_DEP_2) | instskip(NEXT) | instid1(VALU_DEP_1)
	v_mad_co_u64_u32 v[2:3], null, v2, 24, v[29:30]
	v_mad_co_u64_u32 v[6:7], null, v6, 24, v[3:4]
	s_delay_alu instid0(VALU_DEP_1)
	v_mov_b32_e32 v3, v6
	global_load_b64 v[29:30], v[2:3], off scope:SCOPE_SYS
	s_wait_loadcnt 0x0
	global_atomic_cmpswap_b64 v[2:3], v10, v[29:32], s[34:35] offset:24 th:TH_ATOMIC_RETURN scope:SCOPE_SYS
	s_wait_loadcnt 0x0
	global_inv scope:SCOPE_SYS
	v_cmp_eq_u64_e32 vcc_lo, v[2:3], v[31:32]
	s_wait_alu 0xfffe
	s_or_b32 s11, vcc_lo, s11
	s_wait_alu 0xfffe
	s_and_not1_b32 exec_lo, exec_lo, s11
	s_cbranch_execnz .LBB8_600
; %bb.601:                              ;   in Loop: Header=BB8_548 Depth=1
	s_or_b32 exec_lo, exec_lo, s11
.LBB8_602:                              ;   in Loop: Header=BB8_548 Depth=1
	s_wait_alu 0xfffe
	s_or_b32 exec_lo, exec_lo, s10
.LBB8_603:                              ;   in Loop: Header=BB8_548 Depth=1
	s_wait_alu 0xfffe
	s_or_b32 exec_lo, exec_lo, s1
	s_clause 0x1
	global_load_b64 v[6:7], v10, s[34:35] offset:40
	global_load_b128 v[29:32], v10, s[34:35]
	v_readfirstlane_b32 s1, v3
	v_readfirstlane_b32 s10, v2
	s_mov_b32 s11, exec_lo
	s_wait_loadcnt 0x1
	s_wait_alu 0xf1ff
	v_and_b32_e32 v7, s1, v7
	v_and_b32_e32 v6, s10, v6
	s_delay_alu instid0(VALU_DEP_2) | instskip(NEXT) | instid1(VALU_DEP_2)
	v_mul_lo_u32 v2, 24, v7
	v_mul_lo_u32 v3, 0, v6
	v_mul_hi_u32 v9, 24, v6
	v_mul_lo_u32 v33, 24, v6
	s_delay_alu instid0(VALU_DEP_3) | instskip(NEXT) | instid1(VALU_DEP_1)
	v_add_nc_u32_e32 v2, v2, v3
	v_add_nc_u32_e32 v3, v2, v9
	s_wait_loadcnt 0x0
	s_delay_alu instid0(VALU_DEP_3) | instskip(SKIP_1) | instid1(VALU_DEP_2)
	v_add_co_u32 v2, vcc_lo, v29, v33
	s_wait_alu 0xfffd
	v_add_co_ci_u32_e32 v3, vcc_lo, v30, v3, vcc_lo
	s_and_saveexec_b32 s16, s0
	s_cbranch_execz .LBB8_605
; %bb.604:                              ;   in Loop: Header=BB8_548 Depth=1
	s_wait_alu 0xfffe
	v_mov_b32_e32 v9, s11
	global_store_b128 v[2:3], v[9:12], off offset:8
.LBB8_605:                              ;   in Loop: Header=BB8_548 Depth=1
	s_wait_alu 0xfffe
	s_or_b32 exec_lo, exec_lo, s16
	v_lshlrev_b64_e32 v[6:7], 12, v[6:7]
	v_cmp_gt_u64_e64 vcc_lo, s[4:5], 56
	v_or_b32_e32 v9, 2, v13
	s_lshl_b32 s11, s6, 2
	s_wait_alu 0xfffe
	s_add_co_i32 s11, s11, 28
	s_wait_alu 0xfffd
	v_cndmask_b32_e32 v9, v9, v13, vcc_lo
	v_add_co_u32 v31, vcc_lo, v31, v6
	s_wait_alu 0xfffd
	v_add_co_ci_u32_e32 v32, vcc_lo, v32, v7, vcc_lo
	s_wait_alu 0xfffe
	s_and_b32 s11, s11, 0x1e0
	v_readfirstlane_b32 s16, v31
	s_wait_alu 0xfffe
	v_and_or_b32 v13, 0xffffff1f, v9, s11
	v_readfirstlane_b32 s17, v32
	s_clause 0x3
	global_store_b128 v51, v[13:16], s[16:17]
	global_store_b128 v51, v[17:20], s[16:17] offset:16
	global_store_b128 v51, v[21:24], s[16:17] offset:32
	;; [unrolled: 1-line block ×3, first 2 shown]
	s_and_saveexec_b32 s11, s0
	s_cbranch_execz .LBB8_613
; %bb.606:                              ;   in Loop: Header=BB8_548 Depth=1
	s_clause 0x1
	global_load_b64 v[17:18], v10, s[34:35] offset:32 scope:SCOPE_SYS
	global_load_b64 v[6:7], v10, s[34:35] offset:40
	s_mov_b32 s16, exec_lo
	v_dual_mov_b32 v15, s10 :: v_dual_mov_b32 v16, s1
	s_wait_loadcnt 0x0
	v_and_b32_e32 v7, s1, v7
	v_and_b32_e32 v6, s10, v6
	s_delay_alu instid0(VALU_DEP_2) | instskip(NEXT) | instid1(VALU_DEP_2)
	v_mul_lo_u32 v7, 24, v7
	v_mul_lo_u32 v9, 0, v6
	v_mul_hi_u32 v13, 24, v6
	v_mul_lo_u32 v6, 24, v6
	s_delay_alu instid0(VALU_DEP_3) | instskip(NEXT) | instid1(VALU_DEP_2)
	v_add_nc_u32_e32 v7, v7, v9
	v_add_co_u32 v6, vcc_lo, v29, v6
	s_delay_alu instid0(VALU_DEP_2) | instskip(SKIP_1) | instid1(VALU_DEP_1)
	v_add_nc_u32_e32 v7, v7, v13
	s_wait_alu 0xfffd
	v_add_co_ci_u32_e32 v7, vcc_lo, v30, v7, vcc_lo
	global_store_b64 v[6:7], v[17:18], off
	global_wb scope:SCOPE_SYS
	s_wait_storecnt 0x0
	global_atomic_cmpswap_b64 v[15:16], v10, v[15:18], s[34:35] offset:32 th:TH_ATOMIC_RETURN scope:SCOPE_SYS
	s_wait_loadcnt 0x0
	v_cmpx_ne_u64_e64 v[15:16], v[17:18]
	s_cbranch_execz .LBB8_609
; %bb.607:                              ;   in Loop: Header=BB8_548 Depth=1
	s_mov_b32 s17, 0
.LBB8_608:                              ;   Parent Loop BB8_548 Depth=1
                                        ; =>  This Inner Loop Header: Depth=2
	v_dual_mov_b32 v13, s10 :: v_dual_mov_b32 v14, s1
	s_sleep 1
	global_store_b64 v[6:7], v[15:16], off
	global_wb scope:SCOPE_SYS
	s_wait_storecnt 0x0
	global_atomic_cmpswap_b64 v[13:14], v10, v[13:16], s[34:35] offset:32 th:TH_ATOMIC_RETURN scope:SCOPE_SYS
	s_wait_loadcnt 0x0
	v_cmp_eq_u64_e32 vcc_lo, v[13:14], v[15:16]
	v_dual_mov_b32 v16, v14 :: v_dual_mov_b32 v15, v13
	s_wait_alu 0xfffe
	s_or_b32 s17, vcc_lo, s17
	s_wait_alu 0xfffe
	s_and_not1_b32 exec_lo, exec_lo, s17
	s_cbranch_execnz .LBB8_608
.LBB8_609:                              ;   in Loop: Header=BB8_548 Depth=1
	s_wait_alu 0xfffe
	s_or_b32 exec_lo, exec_lo, s16
	global_load_b64 v[6:7], v10, s[34:35] offset:16
	s_mov_b32 s17, exec_lo
	s_mov_b32 s16, exec_lo
	s_wait_alu 0xfffe
	v_mbcnt_lo_u32_b32 v9, s17, 0
	s_delay_alu instid0(VALU_DEP_1)
	v_cmpx_eq_u32_e32 0, v9
	s_cbranch_execz .LBB8_611
; %bb.610:                              ;   in Loop: Header=BB8_548 Depth=1
	s_bcnt1_i32_b32 s17, s17
	s_wait_alu 0xfffe
	v_mov_b32_e32 v9, s17
	global_wb scope:SCOPE_SYS
	s_wait_loadcnt 0x0
	global_atomic_add_u64 v[6:7], v[9:10], off offset:8 scope:SCOPE_SYS
.LBB8_611:                              ;   in Loop: Header=BB8_548 Depth=1
	s_or_b32 exec_lo, exec_lo, s16
	s_wait_loadcnt 0x0
	global_load_b64 v[13:14], v[6:7], off offset:16
	s_wait_loadcnt 0x0
	v_cmp_eq_u64_e32 vcc_lo, 0, v[13:14]
	s_cbranch_vccnz .LBB8_613
; %bb.612:                              ;   in Loop: Header=BB8_548 Depth=1
	global_load_b32 v9, v[6:7], off offset:24
	s_wait_loadcnt 0x0
	v_and_b32_e32 v6, 0xffffff, v9
	global_wb scope:SCOPE_SYS
	s_wait_storecnt 0x0
	global_store_b64 v[13:14], v[9:10], off scope:SCOPE_SYS
	v_readfirstlane_b32 m0, v6
	s_sendmsg sendmsg(MSG_INTERRUPT)
.LBB8_613:                              ;   in Loop: Header=BB8_548 Depth=1
	s_wait_alu 0xfffe
	s_or_b32 exec_lo, exec_lo, s11
	v_add_co_u32 v6, vcc_lo, v31, v51
	s_wait_alu 0xfffd
	v_add_co_ci_u32_e32 v7, vcc_lo, 0, v32, vcc_lo
	s_branch .LBB8_617
.LBB8_614:                              ;   in Loop: Header=BB8_617 Depth=2
	s_wait_alu 0xfffe
	s_or_b32 exec_lo, exec_lo, s11
	s_delay_alu instid0(VALU_DEP_1) | instskip(NEXT) | instid1(VALU_DEP_1)
	v_readfirstlane_b32 s11, v9
	s_cmp_eq_u32 s11, 0
	s_cbranch_scc1 .LBB8_616
; %bb.615:                              ;   in Loop: Header=BB8_617 Depth=2
	s_sleep 1
	s_cbranch_execnz .LBB8_617
	s_branch .LBB8_619
.LBB8_616:                              ;   in Loop: Header=BB8_548 Depth=1
	s_branch .LBB8_619
.LBB8_617:                              ;   Parent Loop BB8_548 Depth=1
                                        ; =>  This Inner Loop Header: Depth=2
	v_mov_b32_e32 v9, 1
	s_and_saveexec_b32 s11, s0
	s_cbranch_execz .LBB8_614
; %bb.618:                              ;   in Loop: Header=BB8_617 Depth=2
	global_load_b32 v9, v[2:3], off offset:20 scope:SCOPE_SYS
	s_wait_loadcnt 0x0
	global_inv scope:SCOPE_SYS
	v_and_b32_e32 v9, 1, v9
	s_branch .LBB8_614
.LBB8_619:                              ;   in Loop: Header=BB8_548 Depth=1
	global_load_b128 v[13:16], v[6:7], off
	s_and_saveexec_b32 s11, s0
	s_cbranch_execz .LBB8_547
; %bb.620:                              ;   in Loop: Header=BB8_548 Depth=1
	s_clause 0x2
	global_load_b64 v[2:3], v10, s[34:35] offset:40
	global_load_b64 v[6:7], v10, s[34:35] offset:24 scope:SCOPE_SYS
	global_load_b64 v[17:18], v10, s[34:35]
	s_wait_loadcnt 0x2
	v_add_co_u32 v9, vcc_lo, v2, 1
	s_wait_alu 0xfffd
	v_add_co_ci_u32_e32 v19, vcc_lo, 0, v3, vcc_lo
	s_delay_alu instid0(VALU_DEP_2) | instskip(SKIP_1) | instid1(VALU_DEP_2)
	v_add_co_u32 v15, vcc_lo, v9, s10
	s_wait_alu 0xfffd
	v_add_co_ci_u32_e32 v16, vcc_lo, s1, v19, vcc_lo
	s_delay_alu instid0(VALU_DEP_1) | instskip(SKIP_2) | instid1(VALU_DEP_1)
	v_cmp_eq_u64_e32 vcc_lo, 0, v[15:16]
	s_wait_alu 0xfffd
	v_dual_cndmask_b32 v16, v16, v19 :: v_dual_cndmask_b32 v15, v15, v9
	v_and_b32_e32 v3, v16, v3
	s_delay_alu instid0(VALU_DEP_2) | instskip(NEXT) | instid1(VALU_DEP_2)
	v_and_b32_e32 v2, v15, v2
	v_mul_lo_u32 v3, 24, v3
	s_delay_alu instid0(VALU_DEP_2) | instskip(SKIP_2) | instid1(VALU_DEP_3)
	v_mul_lo_u32 v9, 0, v2
	v_mul_hi_u32 v19, 24, v2
	v_mul_lo_u32 v2, 24, v2
	v_add_nc_u32_e32 v3, v3, v9
	s_wait_loadcnt 0x0
	s_delay_alu instid0(VALU_DEP_2) | instskip(SKIP_1) | instid1(VALU_DEP_3)
	v_add_co_u32 v2, vcc_lo, v17, v2
	v_mov_b32_e32 v17, v6
	v_add_nc_u32_e32 v3, v3, v19
	s_wait_alu 0xfffd
	s_delay_alu instid0(VALU_DEP_1)
	v_add_co_ci_u32_e32 v3, vcc_lo, v18, v3, vcc_lo
	v_mov_b32_e32 v18, v7
	global_store_b64 v[2:3], v[6:7], off
	global_wb scope:SCOPE_SYS
	s_wait_storecnt 0x0
	global_atomic_cmpswap_b64 v[17:18], v10, v[15:18], s[34:35] offset:24 th:TH_ATOMIC_RETURN scope:SCOPE_SYS
	s_wait_loadcnt 0x0
	v_cmp_ne_u64_e32 vcc_lo, v[17:18], v[6:7]
	s_and_b32 exec_lo, exec_lo, vcc_lo
	s_cbranch_execz .LBB8_547
; %bb.621:                              ;   in Loop: Header=BB8_548 Depth=1
	s_mov_b32 s0, 0
.LBB8_622:                              ;   Parent Loop BB8_548 Depth=1
                                        ; =>  This Inner Loop Header: Depth=2
	s_sleep 1
	global_store_b64 v[2:3], v[17:18], off
	global_wb scope:SCOPE_SYS
	s_wait_storecnt 0x0
	global_atomic_cmpswap_b64 v[6:7], v10, v[15:18], s[34:35] offset:24 th:TH_ATOMIC_RETURN scope:SCOPE_SYS
	s_wait_loadcnt 0x0
	v_cmp_eq_u64_e32 vcc_lo, v[6:7], v[17:18]
	v_dual_mov_b32 v18, v7 :: v_dual_mov_b32 v17, v6
	s_wait_alu 0xfffe
	s_or_b32 s0, vcc_lo, s0
	s_wait_alu 0xfffe
	s_and_not1_b32 exec_lo, exec_lo, s0
	s_cbranch_execnz .LBB8_622
	s_branch .LBB8_547
.LBB8_623:
	s_branch .LBB8_652
.LBB8_624:
	s_cbranch_execz .LBB8_652
; %bb.625:
	v_readfirstlane_b32 s0, v52
	v_mov_b32_e32 v6, 0
	v_mov_b32_e32 v7, 0
	s_wait_alu 0xf1ff
	s_delay_alu instid0(VALU_DEP_3) | instskip(NEXT) | instid1(VALU_DEP_1)
	v_cmp_eq_u32_e64 s0, s0, v52
	s_and_saveexec_b32 s1, s0
	s_cbranch_execz .LBB8_631
; %bb.626:
	s_wait_loadcnt 0x0
	v_mov_b32_e32 v2, 0
	s_mov_b32 s2, exec_lo
	global_load_b64 v[11:12], v2, s[34:35] offset:24 scope:SCOPE_SYS
	s_wait_loadcnt 0x0
	global_inv scope:SCOPE_SYS
	s_clause 0x1
	global_load_b64 v[6:7], v2, s[34:35] offset:40
	global_load_b64 v[9:10], v2, s[34:35]
	s_wait_loadcnt 0x1
	v_and_b32_e32 v3, v7, v12
	v_and_b32_e32 v6, v6, v11
	s_delay_alu instid0(VALU_DEP_2) | instskip(NEXT) | instid1(VALU_DEP_2)
	v_mul_lo_u32 v3, 24, v3
	v_mul_lo_u32 v7, 0, v6
	v_mul_hi_u32 v13, 24, v6
	v_mul_lo_u32 v6, 24, v6
	s_delay_alu instid0(VALU_DEP_3) | instskip(SKIP_1) | instid1(VALU_DEP_2)
	v_add_nc_u32_e32 v3, v3, v7
	s_wait_loadcnt 0x0
	v_add_co_u32 v6, vcc_lo, v9, v6
	s_delay_alu instid0(VALU_DEP_2) | instskip(SKIP_1) | instid1(VALU_DEP_1)
	v_add_nc_u32_e32 v3, v3, v13
	s_wait_alu 0xfffd
	v_add_co_ci_u32_e32 v7, vcc_lo, v10, v3, vcc_lo
	global_load_b64 v[9:10], v[6:7], off scope:SCOPE_SYS
	s_wait_loadcnt 0x0
	global_atomic_cmpswap_b64 v[6:7], v2, v[9:12], s[34:35] offset:24 th:TH_ATOMIC_RETURN scope:SCOPE_SYS
	s_wait_loadcnt 0x0
	global_inv scope:SCOPE_SYS
	v_cmpx_ne_u64_e64 v[6:7], v[11:12]
	s_cbranch_execz .LBB8_630
; %bb.627:
	s_mov_b32 s3, 0
.LBB8_628:                              ; =>This Inner Loop Header: Depth=1
	s_sleep 1
	s_clause 0x1
	global_load_b64 v[9:10], v2, s[34:35] offset:40
	global_load_b64 v[13:14], v2, s[34:35]
	v_dual_mov_b32 v12, v7 :: v_dual_mov_b32 v11, v6
	s_wait_loadcnt 0x1
	s_delay_alu instid0(VALU_DEP_1) | instskip(NEXT) | instid1(VALU_DEP_2)
	v_and_b32_e32 v3, v9, v11
	v_and_b32_e32 v9, v10, v12
	s_wait_loadcnt 0x0
	s_delay_alu instid0(VALU_DEP_2) | instskip(NEXT) | instid1(VALU_DEP_1)
	v_mad_co_u64_u32 v[6:7], null, v3, 24, v[13:14]
	v_mov_b32_e32 v3, v7
	s_delay_alu instid0(VALU_DEP_1) | instskip(NEXT) | instid1(VALU_DEP_1)
	v_mad_co_u64_u32 v[9:10], null, v9, 24, v[3:4]
	v_mov_b32_e32 v7, v9
	global_load_b64 v[9:10], v[6:7], off scope:SCOPE_SYS
	s_wait_loadcnt 0x0
	global_atomic_cmpswap_b64 v[6:7], v2, v[9:12], s[34:35] offset:24 th:TH_ATOMIC_RETURN scope:SCOPE_SYS
	s_wait_loadcnt 0x0
	global_inv scope:SCOPE_SYS
	v_cmp_eq_u64_e32 vcc_lo, v[6:7], v[11:12]
	s_wait_alu 0xfffe
	s_or_b32 s3, vcc_lo, s3
	s_wait_alu 0xfffe
	s_and_not1_b32 exec_lo, exec_lo, s3
	s_cbranch_execnz .LBB8_628
; %bb.629:
	s_or_b32 exec_lo, exec_lo, s3
.LBB8_630:
	s_wait_alu 0xfffe
	s_or_b32 exec_lo, exec_lo, s2
.LBB8_631:
	s_wait_alu 0xfffe
	s_or_b32 exec_lo, exec_lo, s1
	v_readfirstlane_b32 s2, v6
	s_wait_loadcnt 0x0
	v_mov_b32_e32 v2, 0
	v_readfirstlane_b32 s1, v7
	s_mov_b32 s3, exec_lo
	s_clause 0x1
	global_load_b64 v[13:14], v2, s[34:35] offset:40
	global_load_b128 v[9:12], v2, s[34:35]
	s_wait_loadcnt 0x1
	s_wait_alu 0xf1ff
	v_and_b32_e32 v13, s2, v13
	v_and_b32_e32 v14, s1, v14
	s_delay_alu instid0(VALU_DEP_2) | instskip(NEXT) | instid1(VALU_DEP_2)
	v_mul_lo_u32 v6, 0, v13
	v_mul_lo_u32 v3, 24, v14
	v_mul_hi_u32 v7, 24, v13
	v_mul_lo_u32 v15, 24, v13
	s_delay_alu instid0(VALU_DEP_3) | instskip(SKIP_1) | instid1(VALU_DEP_2)
	v_add_nc_u32_e32 v3, v3, v6
	s_wait_loadcnt 0x0
	v_add_co_u32 v6, vcc_lo, v9, v15
	s_delay_alu instid0(VALU_DEP_2) | instskip(SKIP_1) | instid1(VALU_DEP_1)
	v_add_nc_u32_e32 v3, v3, v7
	s_wait_alu 0xfffd
	v_add_co_ci_u32_e32 v7, vcc_lo, v10, v3, vcc_lo
	s_and_saveexec_b32 s4, s0
	s_cbranch_execz .LBB8_633
; %bb.632:
	s_wait_alu 0xfffe
	v_dual_mov_b32 v15, s3 :: v_dual_mov_b32 v16, v2
	v_dual_mov_b32 v17, 2 :: v_dual_mov_b32 v18, 1
	global_store_b128 v[6:7], v[15:18], off offset:8
.LBB8_633:
	s_wait_alu 0xfffe
	s_or_b32 exec_lo, exec_lo, s4
	v_lshlrev_b64_e32 v[13:14], 12, v[13:14]
	s_mov_b32 s4, 0
	v_and_or_b32 v0, 0xffffff1d, v0, 34
	s_wait_alu 0xfffe
	s_mov_b32 s7, s4
	s_mov_b32 s5, s4
	;; [unrolled: 1-line block ×3, first 2 shown]
	v_add_co_u32 v11, vcc_lo, v11, v13
	s_wait_alu 0xfffd
	v_add_co_ci_u32_e32 v12, vcc_lo, v12, v14, vcc_lo
	v_mov_b32_e32 v3, v2
	s_delay_alu instid0(VALU_DEP_3) | instskip(NEXT) | instid1(VALU_DEP_3)
	v_readfirstlane_b32 s10, v11
	v_readfirstlane_b32 s11, v12
	s_wait_alu 0xfffe
	v_dual_mov_b32 v14, s7 :: v_dual_mov_b32 v13, s6
	v_dual_mov_b32 v12, s5 :: v_dual_mov_b32 v11, s4
	s_clause 0x3
	global_store_b128 v51, v[0:3], s[10:11]
	global_store_b128 v51, v[11:14], s[10:11] offset:16
	global_store_b128 v51, v[11:14], s[10:11] offset:32
	;; [unrolled: 1-line block ×3, first 2 shown]
	s_and_saveexec_b32 s3, s0
	s_cbranch_execz .LBB8_641
; %bb.634:
	v_mov_b32_e32 v11, 0
	v_mov_b32_e32 v13, s1
	s_mov_b32 s4, exec_lo
	s_clause 0x1
	global_load_b64 v[14:15], v11, s[34:35] offset:32 scope:SCOPE_SYS
	global_load_b64 v[0:1], v11, s[34:35] offset:40
	v_mov_b32_e32 v12, s2
	s_wait_loadcnt 0x0
	v_and_b32_e32 v0, s2, v0
	v_and_b32_e32 v1, s1, v1
	s_delay_alu instid0(VALU_DEP_2) | instskip(NEXT) | instid1(VALU_DEP_2)
	v_mul_lo_u32 v2, 0, v0
	v_mul_lo_u32 v1, 24, v1
	v_mul_hi_u32 v3, 24, v0
	v_mul_lo_u32 v0, 24, v0
	s_delay_alu instid0(VALU_DEP_3) | instskip(NEXT) | instid1(VALU_DEP_2)
	v_add_nc_u32_e32 v1, v1, v2
	v_add_co_u32 v9, vcc_lo, v9, v0
	s_delay_alu instid0(VALU_DEP_2) | instskip(SKIP_1) | instid1(VALU_DEP_1)
	v_add_nc_u32_e32 v1, v1, v3
	s_wait_alu 0xfffd
	v_add_co_ci_u32_e32 v10, vcc_lo, v10, v1, vcc_lo
	global_store_b64 v[9:10], v[14:15], off
	global_wb scope:SCOPE_SYS
	s_wait_storecnt 0x0
	global_atomic_cmpswap_b64 v[2:3], v11, v[12:15], s[34:35] offset:32 th:TH_ATOMIC_RETURN scope:SCOPE_SYS
	s_wait_loadcnt 0x0
	v_cmpx_ne_u64_e64 v[2:3], v[14:15]
	s_cbranch_execz .LBB8_637
; %bb.635:
	s_mov_b32 s5, 0
.LBB8_636:                              ; =>This Inner Loop Header: Depth=1
	v_dual_mov_b32 v0, s2 :: v_dual_mov_b32 v1, s1
	s_sleep 1
	global_store_b64 v[9:10], v[2:3], off
	global_wb scope:SCOPE_SYS
	s_wait_storecnt 0x0
	global_atomic_cmpswap_b64 v[0:1], v11, v[0:3], s[34:35] offset:32 th:TH_ATOMIC_RETURN scope:SCOPE_SYS
	s_wait_loadcnt 0x0
	v_cmp_eq_u64_e32 vcc_lo, v[0:1], v[2:3]
	v_dual_mov_b32 v3, v1 :: v_dual_mov_b32 v2, v0
	s_wait_alu 0xfffe
	s_or_b32 s5, vcc_lo, s5
	s_wait_alu 0xfffe
	s_and_not1_b32 exec_lo, exec_lo, s5
	s_cbranch_execnz .LBB8_636
.LBB8_637:
	s_wait_alu 0xfffe
	s_or_b32 exec_lo, exec_lo, s4
	v_mov_b32_e32 v3, 0
	s_mov_b32 s5, exec_lo
	s_mov_b32 s4, exec_lo
	s_wait_alu 0xfffe
	v_mbcnt_lo_u32_b32 v2, s5, 0
	global_load_b64 v[0:1], v3, s[34:35] offset:16
	v_cmpx_eq_u32_e32 0, v2
	s_cbranch_execz .LBB8_639
; %bb.638:
	s_bcnt1_i32_b32 s5, s5
	s_wait_alu 0xfffe
	v_mov_b32_e32 v2, s5
	global_wb scope:SCOPE_SYS
	s_wait_loadcnt 0x0
	global_atomic_add_u64 v[0:1], v[2:3], off offset:8 scope:SCOPE_SYS
.LBB8_639:
	s_or_b32 exec_lo, exec_lo, s4
	s_wait_loadcnt 0x0
	global_load_b64 v[2:3], v[0:1], off offset:16
	s_wait_loadcnt 0x0
	v_cmp_eq_u64_e32 vcc_lo, 0, v[2:3]
	s_cbranch_vccnz .LBB8_641
; %bb.640:
	global_load_b32 v0, v[0:1], off offset:24
	v_mov_b32_e32 v1, 0
	s_wait_loadcnt 0x0
	v_and_b32_e32 v9, 0xffffff, v0
	global_wb scope:SCOPE_SYS
	s_wait_storecnt 0x0
	global_store_b64 v[2:3], v[0:1], off scope:SCOPE_SYS
	v_readfirstlane_b32 m0, v9
	s_sendmsg sendmsg(MSG_INTERRUPT)
.LBB8_641:
	s_wait_alu 0xfffe
	s_or_b32 exec_lo, exec_lo, s3
	s_branch .LBB8_645
.LBB8_642:                              ;   in Loop: Header=BB8_645 Depth=1
	s_wait_alu 0xfffe
	s_or_b32 exec_lo, exec_lo, s3
	s_delay_alu instid0(VALU_DEP_1) | instskip(NEXT) | instid1(VALU_DEP_1)
	v_readfirstlane_b32 s3, v0
	s_cmp_eq_u32 s3, 0
	s_cbranch_scc1 .LBB8_644
; %bb.643:                              ;   in Loop: Header=BB8_645 Depth=1
	s_sleep 1
	s_cbranch_execnz .LBB8_645
	s_branch .LBB8_647
.LBB8_644:
	s_branch .LBB8_647
.LBB8_645:                              ; =>This Inner Loop Header: Depth=1
	v_mov_b32_e32 v0, 1
	s_and_saveexec_b32 s3, s0
	s_cbranch_execz .LBB8_642
; %bb.646:                              ;   in Loop: Header=BB8_645 Depth=1
	global_load_b32 v0, v[6:7], off offset:20 scope:SCOPE_SYS
	s_wait_loadcnt 0x0
	global_inv scope:SCOPE_SYS
	v_and_b32_e32 v0, 1, v0
	s_branch .LBB8_642
.LBB8_647:
	s_and_saveexec_b32 s3, s0
	s_cbranch_execz .LBB8_651
; %bb.648:
	v_mov_b32_e32 v9, 0
	s_clause 0x2
	global_load_b64 v[2:3], v9, s[34:35] offset:40
	global_load_b64 v[10:11], v9, s[34:35] offset:24 scope:SCOPE_SYS
	global_load_b64 v[6:7], v9, s[34:35]
	s_wait_loadcnt 0x2
	v_add_co_u32 v12, vcc_lo, v2, 1
	s_wait_alu 0xfffd
	v_add_co_ci_u32_e32 v13, vcc_lo, 0, v3, vcc_lo
	s_delay_alu instid0(VALU_DEP_2) | instskip(SKIP_1) | instid1(VALU_DEP_2)
	v_add_co_u32 v0, vcc_lo, v12, s2
	s_wait_alu 0xfffd
	v_add_co_ci_u32_e32 v1, vcc_lo, s1, v13, vcc_lo
	s_delay_alu instid0(VALU_DEP_1) | instskip(SKIP_2) | instid1(VALU_DEP_1)
	v_cmp_eq_u64_e32 vcc_lo, 0, v[0:1]
	s_wait_alu 0xfffd
	v_dual_cndmask_b32 v0, v0, v12 :: v_dual_cndmask_b32 v1, v1, v13
	v_and_b32_e32 v2, v0, v2
	s_delay_alu instid0(VALU_DEP_2) | instskip(NEXT) | instid1(VALU_DEP_2)
	v_and_b32_e32 v3, v1, v3
	v_mul_lo_u32 v12, 0, v2
	v_mul_hi_u32 v13, 24, v2
	v_mul_lo_u32 v2, 24, v2
	s_wait_loadcnt 0x0
	s_delay_alu instid0(VALU_DEP_1) | instskip(SKIP_2) | instid1(VALU_DEP_1)
	v_add_co_u32 v6, vcc_lo, v6, v2
	v_mov_b32_e32 v2, v10
	v_mul_lo_u32 v3, 24, v3
	v_add_nc_u32_e32 v3, v3, v12
	s_delay_alu instid0(VALU_DEP_1) | instskip(SKIP_1) | instid1(VALU_DEP_1)
	v_add_nc_u32_e32 v3, v3, v13
	s_wait_alu 0xfffd
	v_add_co_ci_u32_e32 v7, vcc_lo, v7, v3, vcc_lo
	v_mov_b32_e32 v3, v11
	global_store_b64 v[6:7], v[10:11], off
	global_wb scope:SCOPE_SYS
	s_wait_storecnt 0x0
	global_atomic_cmpswap_b64 v[2:3], v9, v[0:3], s[34:35] offset:24 th:TH_ATOMIC_RETURN scope:SCOPE_SYS
	s_wait_loadcnt 0x0
	v_cmp_ne_u64_e32 vcc_lo, v[2:3], v[10:11]
	s_and_b32 exec_lo, exec_lo, vcc_lo
	s_cbranch_execz .LBB8_651
; %bb.649:
	s_mov_b32 s0, 0
.LBB8_650:                              ; =>This Inner Loop Header: Depth=1
	s_sleep 1
	global_store_b64 v[6:7], v[2:3], off
	global_wb scope:SCOPE_SYS
	s_wait_storecnt 0x0
	global_atomic_cmpswap_b64 v[10:11], v9, v[0:3], s[34:35] offset:24 th:TH_ATOMIC_RETURN scope:SCOPE_SYS
	s_wait_loadcnt 0x0
	v_cmp_eq_u64_e32 vcc_lo, v[10:11], v[2:3]
	v_dual_mov_b32 v2, v10 :: v_dual_mov_b32 v3, v11
	s_wait_alu 0xfffe
	s_or_b32 s0, vcc_lo, s0
	s_wait_alu 0xfffe
	s_and_not1_b32 exec_lo, exec_lo, s0
	s_cbranch_execnz .LBB8_650
.LBB8_651:
	s_wait_alu 0xfffe
	s_or_b32 exec_lo, exec_lo, s3
.LBB8_652:
	v_readfirstlane_b32 s0, v52
	v_mov_b32_e32 v6, 0
	v_mov_b32_e32 v7, 0
	s_wait_alu 0xf1ff
	s_delay_alu instid0(VALU_DEP_3) | instskip(NEXT) | instid1(VALU_DEP_1)
	v_cmp_eq_u32_e64 s0, s0, v52
	s_and_saveexec_b32 s1, s0
	s_cbranch_execz .LBB8_658
; %bb.653:
	s_wait_loadcnt 0x0
	v_mov_b32_e32 v0, 0
	s_mov_b32 s2, exec_lo
	global_load_b64 v[11:12], v0, s[34:35] offset:24 scope:SCOPE_SYS
	s_wait_loadcnt 0x0
	global_inv scope:SCOPE_SYS
	s_clause 0x1
	global_load_b64 v[1:2], v0, s[34:35] offset:40
	global_load_b64 v[6:7], v0, s[34:35]
	s_wait_loadcnt 0x1
	v_and_b32_e32 v1, v1, v11
	v_and_b32_e32 v2, v2, v12
	s_delay_alu instid0(VALU_DEP_2) | instskip(NEXT) | instid1(VALU_DEP_2)
	v_mul_lo_u32 v3, 0, v1
	v_mul_lo_u32 v2, 24, v2
	v_mul_hi_u32 v9, 24, v1
	v_mul_lo_u32 v1, 24, v1
	s_delay_alu instid0(VALU_DEP_3) | instskip(SKIP_1) | instid1(VALU_DEP_2)
	v_add_nc_u32_e32 v2, v2, v3
	s_wait_loadcnt 0x0
	v_add_co_u32 v1, vcc_lo, v6, v1
	s_delay_alu instid0(VALU_DEP_2) | instskip(SKIP_1) | instid1(VALU_DEP_1)
	v_add_nc_u32_e32 v2, v2, v9
	s_wait_alu 0xfffd
	v_add_co_ci_u32_e32 v2, vcc_lo, v7, v2, vcc_lo
	global_load_b64 v[9:10], v[1:2], off scope:SCOPE_SYS
	s_wait_loadcnt 0x0
	global_atomic_cmpswap_b64 v[6:7], v0, v[9:12], s[34:35] offset:24 th:TH_ATOMIC_RETURN scope:SCOPE_SYS
	s_wait_loadcnt 0x0
	global_inv scope:SCOPE_SYS
	v_cmpx_ne_u64_e64 v[6:7], v[11:12]
	s_cbranch_execz .LBB8_657
; %bb.654:
	s_mov_b32 s3, 0
.LBB8_655:                              ; =>This Inner Loop Header: Depth=1
	s_sleep 1
	s_clause 0x1
	global_load_b64 v[1:2], v0, s[34:35] offset:40
	global_load_b64 v[9:10], v0, s[34:35]
	v_dual_mov_b32 v12, v7 :: v_dual_mov_b32 v11, v6
	s_wait_loadcnt 0x1
	s_delay_alu instid0(VALU_DEP_1) | instskip(SKIP_1) | instid1(VALU_DEP_1)
	v_and_b32_e32 v1, v1, v11
	s_wait_loadcnt 0x0
	v_mad_co_u64_u32 v[6:7], null, v1, 24, v[9:10]
	s_delay_alu instid0(VALU_DEP_1) | instskip(NEXT) | instid1(VALU_DEP_1)
	v_dual_mov_b32 v1, v7 :: v_dual_and_b32 v2, v2, v12
	v_mad_co_u64_u32 v[1:2], null, v2, 24, v[1:2]
	s_delay_alu instid0(VALU_DEP_1)
	v_mov_b32_e32 v7, v1
	global_load_b64 v[9:10], v[6:7], off scope:SCOPE_SYS
	s_wait_loadcnt 0x0
	global_atomic_cmpswap_b64 v[6:7], v0, v[9:12], s[34:35] offset:24 th:TH_ATOMIC_RETURN scope:SCOPE_SYS
	s_wait_loadcnt 0x0
	global_inv scope:SCOPE_SYS
	v_cmp_eq_u64_e32 vcc_lo, v[6:7], v[11:12]
	s_wait_alu 0xfffe
	s_or_b32 s3, vcc_lo, s3
	s_wait_alu 0xfffe
	s_and_not1_b32 exec_lo, exec_lo, s3
	s_cbranch_execnz .LBB8_655
; %bb.656:
	s_or_b32 exec_lo, exec_lo, s3
.LBB8_657:
	s_wait_alu 0xfffe
	s_or_b32 exec_lo, exec_lo, s2
.LBB8_658:
	s_wait_alu 0xfffe
	s_or_b32 exec_lo, exec_lo, s1
	v_readfirstlane_b32 s2, v6
	s_wait_loadcnt 0x0
	v_mov_b32_e32 v10, 0
	v_readfirstlane_b32 s1, v7
	s_mov_b32 s3, exec_lo
	s_clause 0x1
	global_load_b64 v[11:12], v10, s[34:35] offset:40
	global_load_b128 v[0:3], v10, s[34:35]
	s_wait_loadcnt 0x1
	s_wait_alu 0xf1ff
	v_and_b32_e32 v13, s2, v11
	v_and_b32_e32 v14, s1, v12
	s_delay_alu instid0(VALU_DEP_2) | instskip(NEXT) | instid1(VALU_DEP_2)
	v_mul_lo_u32 v7, 0, v13
	v_mul_lo_u32 v6, 24, v14
	v_mul_hi_u32 v9, 24, v13
	v_mul_lo_u32 v11, 24, v13
	s_delay_alu instid0(VALU_DEP_3) | instskip(NEXT) | instid1(VALU_DEP_1)
	v_add_nc_u32_e32 v6, v6, v7
	v_add_nc_u32_e32 v7, v6, v9
	s_wait_loadcnt 0x0
	s_delay_alu instid0(VALU_DEP_3) | instskip(SKIP_1) | instid1(VALU_DEP_2)
	v_add_co_u32 v6, vcc_lo, v0, v11
	s_wait_alu 0xfffd
	v_add_co_ci_u32_e32 v7, vcc_lo, v1, v7, vcc_lo
	s_and_saveexec_b32 s4, s0
	s_cbranch_execz .LBB8_660
; %bb.659:
	s_wait_alu 0xfffe
	v_dual_mov_b32 v9, s3 :: v_dual_mov_b32 v12, 1
	v_mov_b32_e32 v11, 2
	global_store_b128 v[6:7], v[9:12], off offset:8
.LBB8_660:
	s_wait_alu 0xfffe
	s_or_b32 exec_lo, exec_lo, s4
	v_lshlrev_b64_e32 v[13:14], 12, v[13:14]
	s_mov_b32 s4, 0
	v_dual_mov_b32 v9, 33 :: v_dual_mov_b32 v12, v10
	s_wait_alu 0xfffe
	s_mov_b32 s7, s4
	s_mov_b32 s5, s4
	v_add_co_u32 v2, vcc_lo, v2, v13
	s_wait_alu 0xfffd
	v_add_co_ci_u32_e32 v3, vcc_lo, v3, v14, vcc_lo
	s_mov_b32 s6, s4
	s_delay_alu instid0(VALU_DEP_2)
	v_add_co_u32 v13, vcc_lo, v2, v51
	s_wait_alu 0xfffe
	v_dual_mov_b32 v11, v10 :: v_dual_mov_b32 v18, s7
	v_readfirstlane_b32 s10, v2
	v_readfirstlane_b32 s11, v3
	s_wait_alu 0xfffd
	v_add_co_ci_u32_e32 v14, vcc_lo, 0, v3, vcc_lo
	v_dual_mov_b32 v17, s6 :: v_dual_mov_b32 v16, s5
	v_mov_b32_e32 v15, s4
	s_clause 0x3
	global_store_b128 v51, v[9:12], s[10:11]
	global_store_b128 v51, v[15:18], s[10:11] offset:16
	global_store_b128 v51, v[15:18], s[10:11] offset:32
	;; [unrolled: 1-line block ×3, first 2 shown]
	s_and_saveexec_b32 s3, s0
	s_cbranch_execz .LBB8_668
; %bb.661:
	v_mov_b32_e32 v11, 0
	v_mov_b32_e32 v15, s2
	s_mov_b32 s4, exec_lo
	s_clause 0x1
	global_load_b64 v[17:18], v11, s[34:35] offset:32 scope:SCOPE_SYS
	global_load_b64 v[2:3], v11, s[34:35] offset:40
	v_mov_b32_e32 v16, s1
	s_wait_loadcnt 0x0
	v_and_b32_e32 v2, s2, v2
	v_and_b32_e32 v3, s1, v3
	s_delay_alu instid0(VALU_DEP_2) | instskip(NEXT) | instid1(VALU_DEP_2)
	v_mul_lo_u32 v9, 0, v2
	v_mul_lo_u32 v3, 24, v3
	v_mul_hi_u32 v10, 24, v2
	v_mul_lo_u32 v2, 24, v2
	s_delay_alu instid0(VALU_DEP_3) | instskip(NEXT) | instid1(VALU_DEP_2)
	v_add_nc_u32_e32 v3, v3, v9
	v_add_co_u32 v9, vcc_lo, v0, v2
	s_delay_alu instid0(VALU_DEP_2) | instskip(SKIP_1) | instid1(VALU_DEP_1)
	v_add_nc_u32_e32 v3, v3, v10
	s_wait_alu 0xfffd
	v_add_co_ci_u32_e32 v10, vcc_lo, v1, v3, vcc_lo
	global_store_b64 v[9:10], v[17:18], off
	global_wb scope:SCOPE_SYS
	s_wait_storecnt 0x0
	global_atomic_cmpswap_b64 v[2:3], v11, v[15:18], s[34:35] offset:32 th:TH_ATOMIC_RETURN scope:SCOPE_SYS
	s_wait_loadcnt 0x0
	v_cmpx_ne_u64_e64 v[2:3], v[17:18]
	s_cbranch_execz .LBB8_664
; %bb.662:
	s_mov_b32 s5, 0
.LBB8_663:                              ; =>This Inner Loop Header: Depth=1
	v_dual_mov_b32 v0, s2 :: v_dual_mov_b32 v1, s1
	s_sleep 1
	global_store_b64 v[9:10], v[2:3], off
	global_wb scope:SCOPE_SYS
	s_wait_storecnt 0x0
	global_atomic_cmpswap_b64 v[0:1], v11, v[0:3], s[34:35] offset:32 th:TH_ATOMIC_RETURN scope:SCOPE_SYS
	s_wait_loadcnt 0x0
	v_cmp_eq_u64_e32 vcc_lo, v[0:1], v[2:3]
	v_dual_mov_b32 v3, v1 :: v_dual_mov_b32 v2, v0
	s_wait_alu 0xfffe
	s_or_b32 s5, vcc_lo, s5
	s_wait_alu 0xfffe
	s_and_not1_b32 exec_lo, exec_lo, s5
	s_cbranch_execnz .LBB8_663
.LBB8_664:
	s_wait_alu 0xfffe
	s_or_b32 exec_lo, exec_lo, s4
	v_mov_b32_e32 v3, 0
	s_mov_b32 s5, exec_lo
	s_mov_b32 s4, exec_lo
	s_wait_alu 0xfffe
	v_mbcnt_lo_u32_b32 v2, s5, 0
	global_load_b64 v[0:1], v3, s[34:35] offset:16
	v_cmpx_eq_u32_e32 0, v2
	s_cbranch_execz .LBB8_666
; %bb.665:
	s_bcnt1_i32_b32 s5, s5
	s_wait_alu 0xfffe
	v_mov_b32_e32 v2, s5
	global_wb scope:SCOPE_SYS
	s_wait_loadcnt 0x0
	global_atomic_add_u64 v[0:1], v[2:3], off offset:8 scope:SCOPE_SYS
.LBB8_666:
	s_or_b32 exec_lo, exec_lo, s4
	s_wait_loadcnt 0x0
	global_load_b64 v[2:3], v[0:1], off offset:16
	s_wait_loadcnt 0x0
	v_cmp_eq_u64_e32 vcc_lo, 0, v[2:3]
	s_cbranch_vccnz .LBB8_668
; %bb.667:
	global_load_b32 v0, v[0:1], off offset:24
	v_mov_b32_e32 v1, 0
	s_wait_loadcnt 0x0
	v_and_b32_e32 v9, 0xffffff, v0
	global_wb scope:SCOPE_SYS
	s_wait_storecnt 0x0
	global_store_b64 v[2:3], v[0:1], off scope:SCOPE_SYS
	v_readfirstlane_b32 m0, v9
	s_sendmsg sendmsg(MSG_INTERRUPT)
.LBB8_668:
	s_wait_alu 0xfffe
	s_or_b32 exec_lo, exec_lo, s3
	s_branch .LBB8_672
.LBB8_669:                              ;   in Loop: Header=BB8_672 Depth=1
	s_wait_alu 0xfffe
	s_or_b32 exec_lo, exec_lo, s3
	s_delay_alu instid0(VALU_DEP_1) | instskip(NEXT) | instid1(VALU_DEP_1)
	v_readfirstlane_b32 s3, v0
	s_cmp_eq_u32 s3, 0
	s_cbranch_scc1 .LBB8_671
; %bb.670:                              ;   in Loop: Header=BB8_672 Depth=1
	s_sleep 1
	s_cbranch_execnz .LBB8_672
	s_branch .LBB8_674
.LBB8_671:
	s_branch .LBB8_674
.LBB8_672:                              ; =>This Inner Loop Header: Depth=1
	v_mov_b32_e32 v0, 1
	s_and_saveexec_b32 s3, s0
	s_cbranch_execz .LBB8_669
; %bb.673:                              ;   in Loop: Header=BB8_672 Depth=1
	global_load_b32 v0, v[6:7], off offset:20 scope:SCOPE_SYS
	s_wait_loadcnt 0x0
	global_inv scope:SCOPE_SYS
	v_and_b32_e32 v0, 1, v0
	s_branch .LBB8_669
.LBB8_674:
	global_load_b64 v[0:1], v[13:14], off
	s_and_saveexec_b32 s3, s0
	s_cbranch_execz .LBB8_678
; %bb.675:
	v_mov_b32_e32 v6, 0
	s_clause 0x2
	global_load_b64 v[2:3], v6, s[34:35] offset:40
	global_load_b64 v[13:14], v6, s[34:35] offset:24 scope:SCOPE_SYS
	global_load_b64 v[11:12], v6, s[34:35]
	s_wait_loadcnt 0x2
	v_add_co_u32 v7, vcc_lo, v2, 1
	s_wait_alu 0xfffd
	v_add_co_ci_u32_e32 v15, vcc_lo, 0, v3, vcc_lo
	s_delay_alu instid0(VALU_DEP_2) | instskip(SKIP_1) | instid1(VALU_DEP_2)
	v_add_co_u32 v9, vcc_lo, v7, s2
	s_wait_alu 0xfffd
	v_add_co_ci_u32_e32 v10, vcc_lo, s1, v15, vcc_lo
	s_delay_alu instid0(VALU_DEP_1) | instskip(SKIP_3) | instid1(VALU_DEP_2)
	v_cmp_eq_u64_e32 vcc_lo, 0, v[9:10]
	s_wait_alu 0xfffd
	v_cndmask_b32_e32 v9, v9, v7, vcc_lo
	v_cndmask_b32_e32 v10, v10, v15, vcc_lo
	v_and_b32_e32 v2, v9, v2
	s_delay_alu instid0(VALU_DEP_1) | instskip(SKIP_3) | instid1(VALU_DEP_1)
	v_mul_lo_u32 v7, 0, v2
	v_mul_hi_u32 v15, 24, v2
	v_mul_lo_u32 v2, 24, v2
	s_wait_loadcnt 0x0
	v_add_co_u32 v2, vcc_lo, v11, v2
	v_mov_b32_e32 v11, v13
	v_and_b32_e32 v3, v10, v3
	s_delay_alu instid0(VALU_DEP_1) | instskip(NEXT) | instid1(VALU_DEP_1)
	v_mul_lo_u32 v3, 24, v3
	v_add_nc_u32_e32 v3, v3, v7
	s_delay_alu instid0(VALU_DEP_1) | instskip(SKIP_1) | instid1(VALU_DEP_1)
	v_add_nc_u32_e32 v3, v3, v15
	s_wait_alu 0xfffd
	v_add_co_ci_u32_e32 v3, vcc_lo, v12, v3, vcc_lo
	v_mov_b32_e32 v12, v14
	global_store_b64 v[2:3], v[13:14], off
	global_wb scope:SCOPE_SYS
	s_wait_storecnt 0x0
	global_atomic_cmpswap_b64 v[11:12], v6, v[9:12], s[34:35] offset:24 th:TH_ATOMIC_RETURN scope:SCOPE_SYS
	s_wait_loadcnt 0x0
	v_cmp_ne_u64_e32 vcc_lo, v[11:12], v[13:14]
	s_and_b32 exec_lo, exec_lo, vcc_lo
	s_cbranch_execz .LBB8_678
; %bb.676:
	s_mov_b32 s0, 0
.LBB8_677:                              ; =>This Inner Loop Header: Depth=1
	s_sleep 1
	global_store_b64 v[2:3], v[11:12], off
	global_wb scope:SCOPE_SYS
	s_wait_storecnt 0x0
	global_atomic_cmpswap_b64 v[13:14], v6, v[9:12], s[34:35] offset:24 th:TH_ATOMIC_RETURN scope:SCOPE_SYS
	s_wait_loadcnt 0x0
	v_cmp_eq_u64_e32 vcc_lo, v[13:14], v[11:12]
	v_dual_mov_b32 v11, v13 :: v_dual_mov_b32 v12, v14
	s_wait_alu 0xfffe
	s_or_b32 s0, vcc_lo, s0
	s_wait_alu 0xfffe
	s_and_not1_b32 exec_lo, exec_lo, s0
	s_cbranch_execnz .LBB8_677
.LBB8_678:
	s_wait_alu 0xfffe
	s_or_b32 exec_lo, exec_lo, s3
	s_delay_alu instid0(SALU_CYCLE_1)
	s_and_b32 vcc_lo, exec_lo, s38
	s_wait_alu 0xfffe
	s_cbranch_vccz .LBB8_757
; %bb.679:
	s_wait_loadcnt 0x0
	v_dual_mov_b32 v13, 0 :: v_dual_and_b32 v36, 2, v0
	v_dual_mov_b32 v10, v1 :: v_dual_and_b32 v9, -3, v0
	v_dual_mov_b32 v14, 2 :: v_dual_mov_b32 v15, 1
	s_mov_b64 s[4:5], 3
	s_getpc_b64 s[2:3]
	s_wait_alu 0xfffe
	s_sext_i32_i16 s3, s3
	s_add_co_u32 s2, s2, .str.8@rel32@lo+12
	s_wait_alu 0xfffe
	s_add_co_ci_u32 s3, s3, .str.8@rel32@hi+24
	s_branch .LBB8_681
.LBB8_680:                              ;   in Loop: Header=BB8_681 Depth=1
	s_wait_alu 0xfffe
	s_or_b32 exec_lo, exec_lo, s11
	s_sub_nc_u64 s[4:5], s[4:5], s[6:7]
	s_add_nc_u64 s[2:3], s[2:3], s[6:7]
	s_wait_alu 0xfffe
	s_cmp_lg_u64 s[4:5], 0
	s_cbranch_scc0 .LBB8_756
.LBB8_681:                              ; =>This Loop Header: Depth=1
                                        ;     Child Loop BB8_690 Depth 2
                                        ;     Child Loop BB8_686 Depth 2
	;; [unrolled: 1-line block ×11, first 2 shown]
	v_cmp_lt_u64_e64 s0, s[4:5], 56
	v_cmp_gt_u64_e64 s1, s[4:5], 7
                                        ; implicit-def: $vgpr18_vgpr19
                                        ; implicit-def: $sgpr18
	s_delay_alu instid0(VALU_DEP_2) | instskip(SKIP_2) | instid1(VALU_DEP_1)
	s_and_b32 s0, s0, exec_lo
	s_cselect_b32 s7, s5, 0
	s_cselect_b32 s6, s4, 56
	s_and_b32 vcc_lo, exec_lo, s1
	s_mov_b32 s0, -1
	s_wait_alu 0xfffe
	s_cbranch_vccz .LBB8_688
; %bb.682:                              ;   in Loop: Header=BB8_681 Depth=1
	s_and_not1_b32 vcc_lo, exec_lo, s0
	s_mov_b64 s[0:1], s[2:3]
	s_wait_alu 0xfffe
	s_cbranch_vccz .LBB8_692
.LBB8_683:                              ;   in Loop: Header=BB8_681 Depth=1
	s_wait_alu 0xfffe
	s_cmp_gt_u32 s18, 7
	s_cbranch_scc1 .LBB8_693
.LBB8_684:                              ;   in Loop: Header=BB8_681 Depth=1
	v_mov_b32_e32 v20, 0
	v_mov_b32_e32 v21, 0
	s_cmp_eq_u32 s18, 0
	s_cbranch_scc1 .LBB8_687
; %bb.685:                              ;   in Loop: Header=BB8_681 Depth=1
	s_mov_b64 s[10:11], 0
	s_mov_b64 s[16:17], 0
.LBB8_686:                              ;   Parent Loop BB8_681 Depth=1
                                        ; =>  This Inner Loop Header: Depth=2
	s_wait_alu 0xfffe
	s_add_nc_u64 s[20:21], s[0:1], s[16:17]
	s_add_nc_u64 s[16:17], s[16:17], 1
	global_load_u8 v2, v13, s[20:21]
	s_wait_alu 0xfffe
	s_cmp_lg_u32 s18, s16
	s_wait_loadcnt 0x0
	v_and_b32_e32 v12, 0xffff, v2
	s_delay_alu instid0(VALU_DEP_1) | instskip(SKIP_1) | instid1(VALU_DEP_1)
	v_lshlrev_b64_e32 v[2:3], s10, v[12:13]
	s_add_nc_u64 s[10:11], s[10:11], 8
	v_or_b32_e32 v20, v2, v20
	s_delay_alu instid0(VALU_DEP_2)
	v_or_b32_e32 v21, v3, v21
	s_cbranch_scc1 .LBB8_686
.LBB8_687:                              ;   in Loop: Header=BB8_681 Depth=1
	s_mov_b32 s19, 0
	s_cbranch_execz .LBB8_694
	s_branch .LBB8_695
.LBB8_688:                              ;   in Loop: Header=BB8_681 Depth=1
	v_mov_b32_e32 v18, 0
	v_mov_b32_e32 v19, 0
	s_cmp_eq_u64 s[4:5], 0
	s_mov_b64 s[0:1], 0
	s_cbranch_scc1 .LBB8_691
; %bb.689:                              ;   in Loop: Header=BB8_681 Depth=1
	v_mov_b32_e32 v18, 0
	v_mov_b32_e32 v19, 0
	s_mov_b64 s[10:11], 0
.LBB8_690:                              ;   Parent Loop BB8_681 Depth=1
                                        ; =>  This Inner Loop Header: Depth=2
	s_wait_alu 0xfffe
	s_add_nc_u64 s[16:17], s[2:3], s[10:11]
	s_add_nc_u64 s[10:11], s[10:11], 1
	global_load_u8 v2, v13, s[16:17]
	s_wait_alu 0xfffe
	s_cmp_lg_u32 s6, s10
	s_wait_loadcnt 0x0
	v_and_b32_e32 v12, 0xffff, v2
	s_delay_alu instid0(VALU_DEP_1) | instskip(SKIP_1) | instid1(VALU_DEP_1)
	v_lshlrev_b64_e32 v[2:3], s0, v[12:13]
	s_add_nc_u64 s[0:1], s[0:1], 8
	v_or_b32_e32 v18, v2, v18
	s_delay_alu instid0(VALU_DEP_2)
	v_or_b32_e32 v19, v3, v19
	s_cbranch_scc1 .LBB8_690
.LBB8_691:                              ;   in Loop: Header=BB8_681 Depth=1
	s_mov_b32 s18, 0
	s_mov_b64 s[0:1], s[2:3]
	s_cbranch_execnz .LBB8_683
.LBB8_692:                              ;   in Loop: Header=BB8_681 Depth=1
	global_load_b64 v[18:19], v13, s[2:3]
	s_add_co_i32 s18, s6, -8
	s_add_nc_u64 s[0:1], s[2:3], 8
	s_wait_alu 0xfffe
	s_cmp_gt_u32 s18, 7
	s_cbranch_scc0 .LBB8_684
.LBB8_693:                              ;   in Loop: Header=BB8_681 Depth=1
                                        ; implicit-def: $vgpr20_vgpr21
                                        ; implicit-def: $sgpr19
.LBB8_694:                              ;   in Loop: Header=BB8_681 Depth=1
	global_load_b64 v[20:21], v13, s[0:1]
	s_add_co_i32 s19, s18, -8
	s_add_nc_u64 s[0:1], s[0:1], 8
.LBB8_695:                              ;   in Loop: Header=BB8_681 Depth=1
	s_wait_alu 0xfffe
	s_cmp_gt_u32 s19, 7
	s_cbranch_scc1 .LBB8_700
; %bb.696:                              ;   in Loop: Header=BB8_681 Depth=1
	v_mov_b32_e32 v22, 0
	v_mov_b32_e32 v23, 0
	s_cmp_eq_u32 s19, 0
	s_cbranch_scc1 .LBB8_699
; %bb.697:                              ;   in Loop: Header=BB8_681 Depth=1
	s_mov_b64 s[10:11], 0
	s_mov_b64 s[16:17], 0
.LBB8_698:                              ;   Parent Loop BB8_681 Depth=1
                                        ; =>  This Inner Loop Header: Depth=2
	s_wait_alu 0xfffe
	s_add_nc_u64 s[20:21], s[0:1], s[16:17]
	s_add_nc_u64 s[16:17], s[16:17], 1
	global_load_u8 v2, v13, s[20:21]
	s_wait_alu 0xfffe
	s_cmp_lg_u32 s19, s16
	s_wait_loadcnt 0x0
	v_and_b32_e32 v12, 0xffff, v2
	s_delay_alu instid0(VALU_DEP_1) | instskip(SKIP_1) | instid1(VALU_DEP_1)
	v_lshlrev_b64_e32 v[2:3], s10, v[12:13]
	s_add_nc_u64 s[10:11], s[10:11], 8
	v_or_b32_e32 v22, v2, v22
	s_delay_alu instid0(VALU_DEP_2)
	v_or_b32_e32 v23, v3, v23
	s_cbranch_scc1 .LBB8_698
.LBB8_699:                              ;   in Loop: Header=BB8_681 Depth=1
	s_mov_b32 s18, 0
	s_cbranch_execz .LBB8_701
	s_branch .LBB8_702
.LBB8_700:                              ;   in Loop: Header=BB8_681 Depth=1
                                        ; implicit-def: $sgpr18
.LBB8_701:                              ;   in Loop: Header=BB8_681 Depth=1
	global_load_b64 v[22:23], v13, s[0:1]
	s_add_co_i32 s18, s19, -8
	s_add_nc_u64 s[0:1], s[0:1], 8
.LBB8_702:                              ;   in Loop: Header=BB8_681 Depth=1
	s_wait_alu 0xfffe
	s_cmp_gt_u32 s18, 7
	s_cbranch_scc1 .LBB8_707
; %bb.703:                              ;   in Loop: Header=BB8_681 Depth=1
	v_mov_b32_e32 v24, 0
	v_mov_b32_e32 v25, 0
	s_cmp_eq_u32 s18, 0
	s_cbranch_scc1 .LBB8_706
; %bb.704:                              ;   in Loop: Header=BB8_681 Depth=1
	s_mov_b64 s[10:11], 0
	s_mov_b64 s[16:17], 0
.LBB8_705:                              ;   Parent Loop BB8_681 Depth=1
                                        ; =>  This Inner Loop Header: Depth=2
	s_wait_alu 0xfffe
	s_add_nc_u64 s[20:21], s[0:1], s[16:17]
	s_add_nc_u64 s[16:17], s[16:17], 1
	global_load_u8 v2, v13, s[20:21]
	s_wait_alu 0xfffe
	s_cmp_lg_u32 s18, s16
	s_wait_loadcnt 0x0
	v_and_b32_e32 v12, 0xffff, v2
	s_delay_alu instid0(VALU_DEP_1) | instskip(SKIP_1) | instid1(VALU_DEP_1)
	v_lshlrev_b64_e32 v[2:3], s10, v[12:13]
	s_add_nc_u64 s[10:11], s[10:11], 8
	v_or_b32_e32 v24, v2, v24
	s_delay_alu instid0(VALU_DEP_2)
	v_or_b32_e32 v25, v3, v25
	s_cbranch_scc1 .LBB8_705
.LBB8_706:                              ;   in Loop: Header=BB8_681 Depth=1
	s_mov_b32 s19, 0
	s_cbranch_execz .LBB8_708
	s_branch .LBB8_709
.LBB8_707:                              ;   in Loop: Header=BB8_681 Depth=1
                                        ; implicit-def: $vgpr24_vgpr25
                                        ; implicit-def: $sgpr19
.LBB8_708:                              ;   in Loop: Header=BB8_681 Depth=1
	global_load_b64 v[24:25], v13, s[0:1]
	s_add_co_i32 s19, s18, -8
	s_add_nc_u64 s[0:1], s[0:1], 8
.LBB8_709:                              ;   in Loop: Header=BB8_681 Depth=1
	s_wait_alu 0xfffe
	s_cmp_gt_u32 s19, 7
	s_cbranch_scc1 .LBB8_714
; %bb.710:                              ;   in Loop: Header=BB8_681 Depth=1
	v_mov_b32_e32 v26, 0
	v_mov_b32_e32 v27, 0
	s_cmp_eq_u32 s19, 0
	s_cbranch_scc1 .LBB8_713
; %bb.711:                              ;   in Loop: Header=BB8_681 Depth=1
	s_mov_b64 s[10:11], 0
	s_mov_b64 s[16:17], 0
.LBB8_712:                              ;   Parent Loop BB8_681 Depth=1
                                        ; =>  This Inner Loop Header: Depth=2
	s_wait_alu 0xfffe
	s_add_nc_u64 s[20:21], s[0:1], s[16:17]
	s_add_nc_u64 s[16:17], s[16:17], 1
	global_load_u8 v2, v13, s[20:21]
	s_wait_alu 0xfffe
	s_cmp_lg_u32 s19, s16
	s_wait_loadcnt 0x0
	v_and_b32_e32 v12, 0xffff, v2
	s_delay_alu instid0(VALU_DEP_1) | instskip(SKIP_1) | instid1(VALU_DEP_1)
	v_lshlrev_b64_e32 v[2:3], s10, v[12:13]
	s_add_nc_u64 s[10:11], s[10:11], 8
	v_or_b32_e32 v26, v2, v26
	s_delay_alu instid0(VALU_DEP_2)
	v_or_b32_e32 v27, v3, v27
	s_cbranch_scc1 .LBB8_712
.LBB8_713:                              ;   in Loop: Header=BB8_681 Depth=1
	s_mov_b32 s18, 0
	s_cbranch_execz .LBB8_715
	s_branch .LBB8_716
.LBB8_714:                              ;   in Loop: Header=BB8_681 Depth=1
                                        ; implicit-def: $sgpr18
.LBB8_715:                              ;   in Loop: Header=BB8_681 Depth=1
	global_load_b64 v[26:27], v13, s[0:1]
	s_add_co_i32 s18, s19, -8
	s_add_nc_u64 s[0:1], s[0:1], 8
.LBB8_716:                              ;   in Loop: Header=BB8_681 Depth=1
	s_wait_alu 0xfffe
	s_cmp_gt_u32 s18, 7
	s_cbranch_scc1 .LBB8_721
; %bb.717:                              ;   in Loop: Header=BB8_681 Depth=1
	v_mov_b32_e32 v28, 0
	v_mov_b32_e32 v29, 0
	s_cmp_eq_u32 s18, 0
	s_cbranch_scc1 .LBB8_720
; %bb.718:                              ;   in Loop: Header=BB8_681 Depth=1
	s_mov_b64 s[10:11], 0
	s_mov_b64 s[16:17], 0
.LBB8_719:                              ;   Parent Loop BB8_681 Depth=1
                                        ; =>  This Inner Loop Header: Depth=2
	s_wait_alu 0xfffe
	s_add_nc_u64 s[20:21], s[0:1], s[16:17]
	s_add_nc_u64 s[16:17], s[16:17], 1
	global_load_u8 v2, v13, s[20:21]
	s_wait_alu 0xfffe
	s_cmp_lg_u32 s18, s16
	s_wait_loadcnt 0x0
	v_and_b32_e32 v12, 0xffff, v2
	s_delay_alu instid0(VALU_DEP_1) | instskip(SKIP_1) | instid1(VALU_DEP_1)
	v_lshlrev_b64_e32 v[2:3], s10, v[12:13]
	s_add_nc_u64 s[10:11], s[10:11], 8
	v_or_b32_e32 v28, v2, v28
	s_delay_alu instid0(VALU_DEP_2)
	v_or_b32_e32 v29, v3, v29
	s_cbranch_scc1 .LBB8_719
.LBB8_720:                              ;   in Loop: Header=BB8_681 Depth=1
	s_mov_b32 s19, 0
	s_cbranch_execz .LBB8_722
	s_branch .LBB8_723
.LBB8_721:                              ;   in Loop: Header=BB8_681 Depth=1
                                        ; implicit-def: $vgpr28_vgpr29
                                        ; implicit-def: $sgpr19
.LBB8_722:                              ;   in Loop: Header=BB8_681 Depth=1
	global_load_b64 v[28:29], v13, s[0:1]
	s_add_co_i32 s19, s18, -8
	s_add_nc_u64 s[0:1], s[0:1], 8
.LBB8_723:                              ;   in Loop: Header=BB8_681 Depth=1
	s_wait_alu 0xfffe
	s_cmp_gt_u32 s19, 7
	s_cbranch_scc1 .LBB8_728
; %bb.724:                              ;   in Loop: Header=BB8_681 Depth=1
	v_mov_b32_e32 v30, 0
	v_mov_b32_e32 v31, 0
	s_cmp_eq_u32 s19, 0
	s_cbranch_scc1 .LBB8_727
; %bb.725:                              ;   in Loop: Header=BB8_681 Depth=1
	s_mov_b64 s[10:11], 0
	s_mov_b64 s[16:17], s[0:1]
.LBB8_726:                              ;   Parent Loop BB8_681 Depth=1
                                        ; =>  This Inner Loop Header: Depth=2
	global_load_u8 v2, v13, s[16:17]
	s_add_co_i32 s19, s19, -1
	s_wait_alu 0xfffe
	s_add_nc_u64 s[16:17], s[16:17], 1
	s_cmp_lg_u32 s19, 0
	s_wait_loadcnt 0x0
	v_and_b32_e32 v12, 0xffff, v2
	s_delay_alu instid0(VALU_DEP_1) | instskip(SKIP_1) | instid1(VALU_DEP_1)
	v_lshlrev_b64_e32 v[2:3], s10, v[12:13]
	s_add_nc_u64 s[10:11], s[10:11], 8
	v_or_b32_e32 v30, v2, v30
	s_delay_alu instid0(VALU_DEP_2)
	v_or_b32_e32 v31, v3, v31
	s_cbranch_scc1 .LBB8_726
.LBB8_727:                              ;   in Loop: Header=BB8_681 Depth=1
	s_cbranch_execz .LBB8_729
	s_branch .LBB8_730
.LBB8_728:                              ;   in Loop: Header=BB8_681 Depth=1
.LBB8_729:                              ;   in Loop: Header=BB8_681 Depth=1
	global_load_b64 v[30:31], v13, s[0:1]
.LBB8_730:                              ;   in Loop: Header=BB8_681 Depth=1
	v_readfirstlane_b32 s0, v52
	v_mov_b32_e32 v2, 0
	v_mov_b32_e32 v3, 0
	s_wait_alu 0xf1ff
	s_delay_alu instid0(VALU_DEP_3) | instskip(NEXT) | instid1(VALU_DEP_1)
	v_cmp_eq_u32_e64 s0, s0, v52
	s_and_saveexec_b32 s1, s0
	s_cbranch_execz .LBB8_736
; %bb.731:                              ;   in Loop: Header=BB8_681 Depth=1
	global_load_b64 v[34:35], v13, s[34:35] offset:24 scope:SCOPE_SYS
	s_wait_loadcnt 0x0
	global_inv scope:SCOPE_SYS
	s_clause 0x1
	global_load_b64 v[2:3], v13, s[34:35] offset:40
	global_load_b64 v[6:7], v13, s[34:35]
	s_mov_b32 s10, exec_lo
	s_wait_loadcnt 0x1
	v_and_b32_e32 v3, v3, v35
	v_and_b32_e32 v2, v2, v34
	s_delay_alu instid0(VALU_DEP_2) | instskip(NEXT) | instid1(VALU_DEP_2)
	v_mul_lo_u32 v3, 24, v3
	v_mul_lo_u32 v11, 0, v2
	v_mul_hi_u32 v12, 24, v2
	v_mul_lo_u32 v2, 24, v2
	s_delay_alu instid0(VALU_DEP_3) | instskip(SKIP_1) | instid1(VALU_DEP_2)
	v_add_nc_u32_e32 v3, v3, v11
	s_wait_loadcnt 0x0
	v_add_co_u32 v2, vcc_lo, v6, v2
	s_delay_alu instid0(VALU_DEP_2) | instskip(SKIP_1) | instid1(VALU_DEP_1)
	v_add_nc_u32_e32 v3, v3, v12
	s_wait_alu 0xfffd
	v_add_co_ci_u32_e32 v3, vcc_lo, v7, v3, vcc_lo
	global_load_b64 v[32:33], v[2:3], off scope:SCOPE_SYS
	s_wait_loadcnt 0x0
	global_atomic_cmpswap_b64 v[2:3], v13, v[32:35], s[34:35] offset:24 th:TH_ATOMIC_RETURN scope:SCOPE_SYS
	s_wait_loadcnt 0x0
	global_inv scope:SCOPE_SYS
	v_cmpx_ne_u64_e64 v[2:3], v[34:35]
	s_cbranch_execz .LBB8_735
; %bb.732:                              ;   in Loop: Header=BB8_681 Depth=1
	s_mov_b32 s11, 0
.LBB8_733:                              ;   Parent Loop BB8_681 Depth=1
                                        ; =>  This Inner Loop Header: Depth=2
	s_sleep 1
	s_clause 0x1
	global_load_b64 v[6:7], v13, s[34:35] offset:40
	global_load_b64 v[11:12], v13, s[34:35]
	v_dual_mov_b32 v35, v3 :: v_dual_mov_b32 v34, v2
	s_wait_loadcnt 0x1
	s_delay_alu instid0(VALU_DEP_1) | instskip(NEXT) | instid1(VALU_DEP_2)
	v_and_b32_e32 v2, v6, v34
	v_and_b32_e32 v6, v7, v35
	s_wait_loadcnt 0x0
	s_delay_alu instid0(VALU_DEP_2) | instskip(NEXT) | instid1(VALU_DEP_1)
	v_mad_co_u64_u32 v[2:3], null, v2, 24, v[11:12]
	v_mad_co_u64_u32 v[6:7], null, v6, 24, v[3:4]
	s_delay_alu instid0(VALU_DEP_1)
	v_mov_b32_e32 v3, v6
	global_load_b64 v[32:33], v[2:3], off scope:SCOPE_SYS
	s_wait_loadcnt 0x0
	global_atomic_cmpswap_b64 v[2:3], v13, v[32:35], s[34:35] offset:24 th:TH_ATOMIC_RETURN scope:SCOPE_SYS
	s_wait_loadcnt 0x0
	global_inv scope:SCOPE_SYS
	v_cmp_eq_u64_e32 vcc_lo, v[2:3], v[34:35]
	s_wait_alu 0xfffe
	s_or_b32 s11, vcc_lo, s11
	s_wait_alu 0xfffe
	s_and_not1_b32 exec_lo, exec_lo, s11
	s_cbranch_execnz .LBB8_733
; %bb.734:                              ;   in Loop: Header=BB8_681 Depth=1
	s_or_b32 exec_lo, exec_lo, s11
.LBB8_735:                              ;   in Loop: Header=BB8_681 Depth=1
	s_wait_alu 0xfffe
	s_or_b32 exec_lo, exec_lo, s10
.LBB8_736:                              ;   in Loop: Header=BB8_681 Depth=1
	s_wait_alu 0xfffe
	s_or_b32 exec_lo, exec_lo, s1
	s_clause 0x1
	global_load_b64 v[6:7], v13, s[34:35] offset:40
	global_load_b128 v[32:35], v13, s[34:35]
	v_readfirstlane_b32 s1, v3
	v_readfirstlane_b32 s10, v2
	s_mov_b32 s11, exec_lo
	s_wait_loadcnt 0x1
	s_wait_alu 0xf1ff
	v_and_b32_e32 v7, s1, v7
	v_and_b32_e32 v6, s10, v6
	s_delay_alu instid0(VALU_DEP_2) | instskip(NEXT) | instid1(VALU_DEP_2)
	v_mul_lo_u32 v2, 24, v7
	v_mul_lo_u32 v3, 0, v6
	v_mul_hi_u32 v11, 24, v6
	v_mul_lo_u32 v12, 24, v6
	s_delay_alu instid0(VALU_DEP_3) | instskip(NEXT) | instid1(VALU_DEP_1)
	v_add_nc_u32_e32 v2, v2, v3
	v_add_nc_u32_e32 v3, v2, v11
	s_wait_loadcnt 0x0
	s_delay_alu instid0(VALU_DEP_3) | instskip(SKIP_1) | instid1(VALU_DEP_2)
	v_add_co_u32 v2, vcc_lo, v32, v12
	s_wait_alu 0xfffd
	v_add_co_ci_u32_e32 v3, vcc_lo, v33, v3, vcc_lo
	s_and_saveexec_b32 s16, s0
	s_cbranch_execz .LBB8_738
; %bb.737:                              ;   in Loop: Header=BB8_681 Depth=1
	s_wait_alu 0xfffe
	v_mov_b32_e32 v12, s11
	global_store_b128 v[2:3], v[12:15], off offset:8
.LBB8_738:                              ;   in Loop: Header=BB8_681 Depth=1
	s_wait_alu 0xfffe
	s_or_b32 exec_lo, exec_lo, s16
	v_cmp_gt_u64_e64 vcc_lo, s[4:5], 56
	v_lshlrev_b64_e32 v[6:7], 12, v[6:7]
	v_or_b32_e32 v11, 0, v10
	v_or_b32_e32 v12, v9, v36
	s_lshl_b32 s11, s6, 2
	s_wait_alu 0xfffe
	s_add_co_i32 s11, s11, 28
	s_wait_alu 0xfffd
	v_cndmask_b32_e32 v17, v11, v10, vcc_lo
	v_cndmask_b32_e32 v9, v12, v9, vcc_lo
	v_add_co_u32 v34, vcc_lo, v34, v6
	s_wait_alu 0xfffd
	v_add_co_ci_u32_e32 v35, vcc_lo, v35, v7, vcc_lo
	s_wait_alu 0xfffe
	s_and_b32 s11, s11, 0x1e0
	v_readfirstlane_b32 s16, v34
	s_wait_alu 0xfffe
	v_and_or_b32 v16, 0xffffff1f, v9, s11
	v_readfirstlane_b32 s17, v35
	s_clause 0x3
	global_store_b128 v51, v[16:19], s[16:17]
	global_store_b128 v51, v[20:23], s[16:17] offset:16
	global_store_b128 v51, v[24:27], s[16:17] offset:32
	;; [unrolled: 1-line block ×3, first 2 shown]
	s_and_saveexec_b32 s11, s0
	s_cbranch_execz .LBB8_746
; %bb.739:                              ;   in Loop: Header=BB8_681 Depth=1
	s_clause 0x1
	global_load_b64 v[18:19], v13, s[34:35] offset:32 scope:SCOPE_SYS
	global_load_b64 v[6:7], v13, s[34:35] offset:40
	s_mov_b32 s16, exec_lo
	v_dual_mov_b32 v16, s10 :: v_dual_mov_b32 v17, s1
	s_wait_loadcnt 0x0
	v_and_b32_e32 v7, s1, v7
	v_and_b32_e32 v6, s10, v6
	s_delay_alu instid0(VALU_DEP_2) | instskip(NEXT) | instid1(VALU_DEP_2)
	v_mul_lo_u32 v7, 24, v7
	v_mul_lo_u32 v9, 0, v6
	v_mul_hi_u32 v10, 24, v6
	v_mul_lo_u32 v6, 24, v6
	s_delay_alu instid0(VALU_DEP_3) | instskip(NEXT) | instid1(VALU_DEP_2)
	v_add_nc_u32_e32 v7, v7, v9
	v_add_co_u32 v6, vcc_lo, v32, v6
	s_delay_alu instid0(VALU_DEP_2) | instskip(SKIP_1) | instid1(VALU_DEP_1)
	v_add_nc_u32_e32 v7, v7, v10
	s_wait_alu 0xfffd
	v_add_co_ci_u32_e32 v7, vcc_lo, v33, v7, vcc_lo
	global_store_b64 v[6:7], v[18:19], off
	global_wb scope:SCOPE_SYS
	s_wait_storecnt 0x0
	global_atomic_cmpswap_b64 v[11:12], v13, v[16:19], s[34:35] offset:32 th:TH_ATOMIC_RETURN scope:SCOPE_SYS
	s_wait_loadcnt 0x0
	v_cmpx_ne_u64_e64 v[11:12], v[18:19]
	s_cbranch_execz .LBB8_742
; %bb.740:                              ;   in Loop: Header=BB8_681 Depth=1
	s_mov_b32 s17, 0
.LBB8_741:                              ;   Parent Loop BB8_681 Depth=1
                                        ; =>  This Inner Loop Header: Depth=2
	v_dual_mov_b32 v9, s10 :: v_dual_mov_b32 v10, s1
	s_sleep 1
	global_store_b64 v[6:7], v[11:12], off
	global_wb scope:SCOPE_SYS
	s_wait_storecnt 0x0
	global_atomic_cmpswap_b64 v[9:10], v13, v[9:12], s[34:35] offset:32 th:TH_ATOMIC_RETURN scope:SCOPE_SYS
	s_wait_loadcnt 0x0
	v_cmp_eq_u64_e32 vcc_lo, v[9:10], v[11:12]
	v_dual_mov_b32 v12, v10 :: v_dual_mov_b32 v11, v9
	s_wait_alu 0xfffe
	s_or_b32 s17, vcc_lo, s17
	s_wait_alu 0xfffe
	s_and_not1_b32 exec_lo, exec_lo, s17
	s_cbranch_execnz .LBB8_741
.LBB8_742:                              ;   in Loop: Header=BB8_681 Depth=1
	s_wait_alu 0xfffe
	s_or_b32 exec_lo, exec_lo, s16
	global_load_b64 v[6:7], v13, s[34:35] offset:16
	s_mov_b32 s17, exec_lo
	s_mov_b32 s16, exec_lo
	s_wait_alu 0xfffe
	v_mbcnt_lo_u32_b32 v9, s17, 0
	s_delay_alu instid0(VALU_DEP_1)
	v_cmpx_eq_u32_e32 0, v9
	s_cbranch_execz .LBB8_744
; %bb.743:                              ;   in Loop: Header=BB8_681 Depth=1
	s_bcnt1_i32_b32 s17, s17
	s_wait_alu 0xfffe
	v_mov_b32_e32 v12, s17
	global_wb scope:SCOPE_SYS
	s_wait_loadcnt 0x0
	global_atomic_add_u64 v[6:7], v[12:13], off offset:8 scope:SCOPE_SYS
.LBB8_744:                              ;   in Loop: Header=BB8_681 Depth=1
	s_or_b32 exec_lo, exec_lo, s16
	s_wait_loadcnt 0x0
	global_load_b64 v[9:10], v[6:7], off offset:16
	s_wait_loadcnt 0x0
	v_cmp_eq_u64_e32 vcc_lo, 0, v[9:10]
	s_cbranch_vccnz .LBB8_746
; %bb.745:                              ;   in Loop: Header=BB8_681 Depth=1
	global_load_b32 v12, v[6:7], off offset:24
	s_wait_loadcnt 0x0
	v_and_b32_e32 v6, 0xffffff, v12
	global_wb scope:SCOPE_SYS
	s_wait_storecnt 0x0
	global_store_b64 v[9:10], v[12:13], off scope:SCOPE_SYS
	v_readfirstlane_b32 m0, v6
	s_sendmsg sendmsg(MSG_INTERRUPT)
.LBB8_746:                              ;   in Loop: Header=BB8_681 Depth=1
	s_wait_alu 0xfffe
	s_or_b32 exec_lo, exec_lo, s11
	v_add_co_u32 v6, vcc_lo, v34, v51
	s_wait_alu 0xfffd
	v_add_co_ci_u32_e32 v7, vcc_lo, 0, v35, vcc_lo
	s_branch .LBB8_750
.LBB8_747:                              ;   in Loop: Header=BB8_750 Depth=2
	s_wait_alu 0xfffe
	s_or_b32 exec_lo, exec_lo, s11
	s_delay_alu instid0(VALU_DEP_1) | instskip(NEXT) | instid1(VALU_DEP_1)
	v_readfirstlane_b32 s11, v9
	s_cmp_eq_u32 s11, 0
	s_cbranch_scc1 .LBB8_749
; %bb.748:                              ;   in Loop: Header=BB8_750 Depth=2
	s_sleep 1
	s_cbranch_execnz .LBB8_750
	s_branch .LBB8_752
.LBB8_749:                              ;   in Loop: Header=BB8_681 Depth=1
	s_branch .LBB8_752
.LBB8_750:                              ;   Parent Loop BB8_681 Depth=1
                                        ; =>  This Inner Loop Header: Depth=2
	v_mov_b32_e32 v9, 1
	s_and_saveexec_b32 s11, s0
	s_cbranch_execz .LBB8_747
; %bb.751:                              ;   in Loop: Header=BB8_750 Depth=2
	global_load_b32 v9, v[2:3], off offset:20 scope:SCOPE_SYS
	s_wait_loadcnt 0x0
	global_inv scope:SCOPE_SYS
	v_and_b32_e32 v9, 1, v9
	s_branch .LBB8_747
.LBB8_752:                              ;   in Loop: Header=BB8_681 Depth=1
	global_load_b128 v[9:12], v[6:7], off
	s_and_saveexec_b32 s11, s0
	s_cbranch_execz .LBB8_680
; %bb.753:                              ;   in Loop: Header=BB8_681 Depth=1
	s_clause 0x2
	global_load_b64 v[2:3], v13, s[34:35] offset:40
	global_load_b64 v[6:7], v13, s[34:35] offset:24 scope:SCOPE_SYS
	global_load_b64 v[11:12], v13, s[34:35]
	s_wait_loadcnt 0x2
	v_add_co_u32 v18, vcc_lo, v2, 1
	s_wait_alu 0xfffd
	v_add_co_ci_u32_e32 v19, vcc_lo, 0, v3, vcc_lo
	s_delay_alu instid0(VALU_DEP_2) | instskip(SKIP_1) | instid1(VALU_DEP_2)
	v_add_co_u32 v16, vcc_lo, v18, s10
	s_wait_alu 0xfffd
	v_add_co_ci_u32_e32 v17, vcc_lo, s1, v19, vcc_lo
	s_delay_alu instid0(VALU_DEP_1) | instskip(SKIP_2) | instid1(VALU_DEP_1)
	v_cmp_eq_u64_e32 vcc_lo, 0, v[16:17]
	s_wait_alu 0xfffd
	v_dual_cndmask_b32 v17, v17, v19 :: v_dual_cndmask_b32 v16, v16, v18
	v_and_b32_e32 v3, v17, v3
	s_delay_alu instid0(VALU_DEP_2) | instskip(NEXT) | instid1(VALU_DEP_2)
	v_and_b32_e32 v2, v16, v2
	v_mul_lo_u32 v3, 24, v3
	s_delay_alu instid0(VALU_DEP_2) | instskip(SKIP_2) | instid1(VALU_DEP_2)
	v_mul_lo_u32 v18, 0, v2
	v_mul_hi_u32 v19, 24, v2
	s_wait_loadcnt 0x1
	v_dual_mov_b32 v18, v6 :: v_dual_add_nc_u32 v3, v3, v18
	s_delay_alu instid0(VALU_DEP_1) | instskip(SKIP_3) | instid1(VALU_DEP_1)
	v_add_nc_u32_e32 v3, v3, v19
	v_mov_b32_e32 v19, v7
	v_mul_lo_u32 v2, 24, v2
	s_wait_loadcnt 0x0
	v_add_co_u32 v2, vcc_lo, v11, v2
	s_wait_alu 0xfffd
	v_add_co_ci_u32_e32 v3, vcc_lo, v12, v3, vcc_lo
	global_store_b64 v[2:3], v[6:7], off
	global_wb scope:SCOPE_SYS
	s_wait_storecnt 0x0
	global_atomic_cmpswap_b64 v[18:19], v13, v[16:19], s[34:35] offset:24 th:TH_ATOMIC_RETURN scope:SCOPE_SYS
	s_wait_loadcnt 0x0
	v_cmp_ne_u64_e32 vcc_lo, v[18:19], v[6:7]
	s_and_b32 exec_lo, exec_lo, vcc_lo
	s_cbranch_execz .LBB8_680
; %bb.754:                              ;   in Loop: Header=BB8_681 Depth=1
	s_mov_b32 s0, 0
.LBB8_755:                              ;   Parent Loop BB8_681 Depth=1
                                        ; =>  This Inner Loop Header: Depth=2
	s_sleep 1
	global_store_b64 v[2:3], v[18:19], off
	global_wb scope:SCOPE_SYS
	s_wait_storecnt 0x0
	global_atomic_cmpswap_b64 v[6:7], v13, v[16:19], s[34:35] offset:24 th:TH_ATOMIC_RETURN scope:SCOPE_SYS
	s_wait_loadcnt 0x0
	v_cmp_eq_u64_e32 vcc_lo, v[6:7], v[18:19]
	v_dual_mov_b32 v19, v7 :: v_dual_mov_b32 v18, v6
	s_wait_alu 0xfffe
	s_or_b32 s0, vcc_lo, s0
	s_wait_alu 0xfffe
	s_and_not1_b32 exec_lo, exec_lo, s0
	s_cbranch_execnz .LBB8_755
	s_branch .LBB8_680
.LBB8_756:
	s_branch .LBB8_785
.LBB8_757:
                                        ; implicit-def: $vgpr9_vgpr10
	s_cbranch_execz .LBB8_785
; %bb.758:
	v_readfirstlane_b32 s0, v52
	v_mov_b32_e32 v6, 0
	v_mov_b32_e32 v7, 0
	s_wait_alu 0xf1ff
	s_delay_alu instid0(VALU_DEP_3) | instskip(NEXT) | instid1(VALU_DEP_1)
	v_cmp_eq_u32_e64 s0, s0, v52
	s_and_saveexec_b32 s1, s0
	s_cbranch_execz .LBB8_764
; %bb.759:
	v_mov_b32_e32 v2, 0
	s_mov_b32 s2, exec_lo
	global_load_b64 v[11:12], v2, s[34:35] offset:24 scope:SCOPE_SYS
	s_wait_loadcnt 0x0
	global_inv scope:SCOPE_SYS
	s_clause 0x1
	global_load_b64 v[6:7], v2, s[34:35] offset:40
	global_load_b64 v[9:10], v2, s[34:35]
	s_wait_loadcnt 0x1
	v_and_b32_e32 v3, v7, v12
	v_and_b32_e32 v6, v6, v11
	s_delay_alu instid0(VALU_DEP_2) | instskip(NEXT) | instid1(VALU_DEP_2)
	v_mul_lo_u32 v3, 24, v3
	v_mul_lo_u32 v7, 0, v6
	v_mul_hi_u32 v13, 24, v6
	v_mul_lo_u32 v6, 24, v6
	s_delay_alu instid0(VALU_DEP_3) | instskip(SKIP_1) | instid1(VALU_DEP_2)
	v_add_nc_u32_e32 v3, v3, v7
	s_wait_loadcnt 0x0
	v_add_co_u32 v6, vcc_lo, v9, v6
	s_delay_alu instid0(VALU_DEP_2) | instskip(SKIP_1) | instid1(VALU_DEP_1)
	v_add_nc_u32_e32 v3, v3, v13
	s_wait_alu 0xfffd
	v_add_co_ci_u32_e32 v7, vcc_lo, v10, v3, vcc_lo
	global_load_b64 v[9:10], v[6:7], off scope:SCOPE_SYS
	s_wait_loadcnt 0x0
	global_atomic_cmpswap_b64 v[6:7], v2, v[9:12], s[34:35] offset:24 th:TH_ATOMIC_RETURN scope:SCOPE_SYS
	s_wait_loadcnt 0x0
	global_inv scope:SCOPE_SYS
	v_cmpx_ne_u64_e64 v[6:7], v[11:12]
	s_cbranch_execz .LBB8_763
; %bb.760:
	s_mov_b32 s3, 0
.LBB8_761:                              ; =>This Inner Loop Header: Depth=1
	s_sleep 1
	s_clause 0x1
	global_load_b64 v[9:10], v2, s[34:35] offset:40
	global_load_b64 v[13:14], v2, s[34:35]
	v_dual_mov_b32 v12, v7 :: v_dual_mov_b32 v11, v6
	s_wait_loadcnt 0x1
	s_delay_alu instid0(VALU_DEP_1) | instskip(NEXT) | instid1(VALU_DEP_2)
	v_and_b32_e32 v3, v9, v11
	v_and_b32_e32 v9, v10, v12
	s_wait_loadcnt 0x0
	s_delay_alu instid0(VALU_DEP_2) | instskip(NEXT) | instid1(VALU_DEP_1)
	v_mad_co_u64_u32 v[6:7], null, v3, 24, v[13:14]
	v_mov_b32_e32 v3, v7
	s_delay_alu instid0(VALU_DEP_1) | instskip(NEXT) | instid1(VALU_DEP_1)
	v_mad_co_u64_u32 v[9:10], null, v9, 24, v[3:4]
	v_mov_b32_e32 v7, v9
	global_load_b64 v[9:10], v[6:7], off scope:SCOPE_SYS
	s_wait_loadcnt 0x0
	global_atomic_cmpswap_b64 v[6:7], v2, v[9:12], s[34:35] offset:24 th:TH_ATOMIC_RETURN scope:SCOPE_SYS
	s_wait_loadcnt 0x0
	global_inv scope:SCOPE_SYS
	v_cmp_eq_u64_e32 vcc_lo, v[6:7], v[11:12]
	s_wait_alu 0xfffe
	s_or_b32 s3, vcc_lo, s3
	s_wait_alu 0xfffe
	s_and_not1_b32 exec_lo, exec_lo, s3
	s_cbranch_execnz .LBB8_761
; %bb.762:
	s_or_b32 exec_lo, exec_lo, s3
.LBB8_763:
	s_wait_alu 0xfffe
	s_or_b32 exec_lo, exec_lo, s2
.LBB8_764:
	s_wait_alu 0xfffe
	s_or_b32 exec_lo, exec_lo, s1
	v_readfirstlane_b32 s2, v6
	v_mov_b32_e32 v2, 0
	v_readfirstlane_b32 s1, v7
	s_mov_b32 s3, exec_lo
	s_clause 0x1
	global_load_b64 v[13:14], v2, s[34:35] offset:40
	global_load_b128 v[9:12], v2, s[34:35]
	s_wait_loadcnt 0x1
	s_wait_alu 0xf1ff
	v_and_b32_e32 v13, s2, v13
	v_and_b32_e32 v14, s1, v14
	s_delay_alu instid0(VALU_DEP_2) | instskip(NEXT) | instid1(VALU_DEP_2)
	v_mul_lo_u32 v6, 0, v13
	v_mul_lo_u32 v3, 24, v14
	v_mul_hi_u32 v7, 24, v13
	v_mul_lo_u32 v15, 24, v13
	s_delay_alu instid0(VALU_DEP_3) | instskip(SKIP_1) | instid1(VALU_DEP_2)
	v_add_nc_u32_e32 v3, v3, v6
	s_wait_loadcnt 0x0
	v_add_co_u32 v6, vcc_lo, v9, v15
	s_delay_alu instid0(VALU_DEP_2) | instskip(SKIP_1) | instid1(VALU_DEP_1)
	v_add_nc_u32_e32 v3, v3, v7
	s_wait_alu 0xfffd
	v_add_co_ci_u32_e32 v7, vcc_lo, v10, v3, vcc_lo
	s_and_saveexec_b32 s4, s0
	s_cbranch_execz .LBB8_766
; %bb.765:
	s_wait_alu 0xfffe
	v_dual_mov_b32 v15, s3 :: v_dual_mov_b32 v16, v2
	v_dual_mov_b32 v17, 2 :: v_dual_mov_b32 v18, 1
	global_store_b128 v[6:7], v[15:18], off offset:8
.LBB8_766:
	s_wait_alu 0xfffe
	s_or_b32 exec_lo, exec_lo, s4
	v_lshlrev_b64_e32 v[13:14], 12, v[13:14]
	s_mov_b32 s4, 0
	v_and_or_b32 v0, 0xffffff1f, v0, 32
	s_wait_alu 0xfffe
	s_mov_b32 s7, s4
	s_mov_b32 s5, s4
	;; [unrolled: 1-line block ×3, first 2 shown]
	v_add_co_u32 v11, vcc_lo, v11, v13
	s_wait_alu 0xfffd
	v_add_co_ci_u32_e32 v12, vcc_lo, v12, v14, vcc_lo
	s_wait_alu 0xfffe
	v_dual_mov_b32 v3, v2 :: v_dual_mov_b32 v16, s7
	v_readfirstlane_b32 s10, v11
	v_add_co_u32 v11, vcc_lo, v11, v51
	v_readfirstlane_b32 s11, v12
	s_wait_alu 0xfffd
	v_add_co_ci_u32_e32 v12, vcc_lo, 0, v12, vcc_lo
	v_dual_mov_b32 v15, s6 :: v_dual_mov_b32 v14, s5
	v_mov_b32_e32 v13, s4
	s_clause 0x3
	global_store_b128 v51, v[0:3], s[10:11]
	global_store_b128 v51, v[13:16], s[10:11] offset:16
	global_store_b128 v51, v[13:16], s[10:11] offset:32
	;; [unrolled: 1-line block ×3, first 2 shown]
	s_and_saveexec_b32 s3, s0
	s_cbranch_execz .LBB8_774
; %bb.767:
	v_mov_b32_e32 v13, 0
	v_mov_b32_e32 v15, s1
	s_mov_b32 s4, exec_lo
	s_clause 0x1
	global_load_b64 v[16:17], v13, s[34:35] offset:32 scope:SCOPE_SYS
	global_load_b64 v[0:1], v13, s[34:35] offset:40
	v_mov_b32_e32 v14, s2
	s_wait_loadcnt 0x0
	v_and_b32_e32 v0, s2, v0
	v_and_b32_e32 v1, s1, v1
	s_delay_alu instid0(VALU_DEP_2) | instskip(NEXT) | instid1(VALU_DEP_2)
	v_mul_lo_u32 v2, 0, v0
	v_mul_lo_u32 v1, 24, v1
	v_mul_hi_u32 v3, 24, v0
	v_mul_lo_u32 v0, 24, v0
	s_delay_alu instid0(VALU_DEP_3) | instskip(NEXT) | instid1(VALU_DEP_2)
	v_add_nc_u32_e32 v1, v1, v2
	v_add_co_u32 v9, vcc_lo, v9, v0
	s_delay_alu instid0(VALU_DEP_2) | instskip(SKIP_1) | instid1(VALU_DEP_1)
	v_add_nc_u32_e32 v1, v1, v3
	s_wait_alu 0xfffd
	v_add_co_ci_u32_e32 v10, vcc_lo, v10, v1, vcc_lo
	global_store_b64 v[9:10], v[16:17], off
	global_wb scope:SCOPE_SYS
	s_wait_storecnt 0x0
	global_atomic_cmpswap_b64 v[2:3], v13, v[14:17], s[34:35] offset:32 th:TH_ATOMIC_RETURN scope:SCOPE_SYS
	s_wait_loadcnt 0x0
	v_cmpx_ne_u64_e64 v[2:3], v[16:17]
	s_cbranch_execz .LBB8_770
; %bb.768:
	s_mov_b32 s5, 0
.LBB8_769:                              ; =>This Inner Loop Header: Depth=1
	v_dual_mov_b32 v0, s2 :: v_dual_mov_b32 v1, s1
	s_sleep 1
	global_store_b64 v[9:10], v[2:3], off
	global_wb scope:SCOPE_SYS
	s_wait_storecnt 0x0
	global_atomic_cmpswap_b64 v[0:1], v13, v[0:3], s[34:35] offset:32 th:TH_ATOMIC_RETURN scope:SCOPE_SYS
	s_wait_loadcnt 0x0
	v_cmp_eq_u64_e32 vcc_lo, v[0:1], v[2:3]
	v_dual_mov_b32 v3, v1 :: v_dual_mov_b32 v2, v0
	s_wait_alu 0xfffe
	s_or_b32 s5, vcc_lo, s5
	s_wait_alu 0xfffe
	s_and_not1_b32 exec_lo, exec_lo, s5
	s_cbranch_execnz .LBB8_769
.LBB8_770:
	s_wait_alu 0xfffe
	s_or_b32 exec_lo, exec_lo, s4
	v_mov_b32_e32 v3, 0
	s_mov_b32 s5, exec_lo
	s_mov_b32 s4, exec_lo
	s_wait_alu 0xfffe
	v_mbcnt_lo_u32_b32 v2, s5, 0
	global_load_b64 v[0:1], v3, s[34:35] offset:16
	v_cmpx_eq_u32_e32 0, v2
	s_cbranch_execz .LBB8_772
; %bb.771:
	s_bcnt1_i32_b32 s5, s5
	s_wait_alu 0xfffe
	v_mov_b32_e32 v2, s5
	global_wb scope:SCOPE_SYS
	s_wait_loadcnt 0x0
	global_atomic_add_u64 v[0:1], v[2:3], off offset:8 scope:SCOPE_SYS
.LBB8_772:
	s_or_b32 exec_lo, exec_lo, s4
	s_wait_loadcnt 0x0
	global_load_b64 v[2:3], v[0:1], off offset:16
	s_wait_loadcnt 0x0
	v_cmp_eq_u64_e32 vcc_lo, 0, v[2:3]
	s_cbranch_vccnz .LBB8_774
; %bb.773:
	global_load_b32 v0, v[0:1], off offset:24
	v_mov_b32_e32 v1, 0
	s_wait_loadcnt 0x0
	v_and_b32_e32 v9, 0xffffff, v0
	global_wb scope:SCOPE_SYS
	s_wait_storecnt 0x0
	global_store_b64 v[2:3], v[0:1], off scope:SCOPE_SYS
	v_readfirstlane_b32 m0, v9
	s_sendmsg sendmsg(MSG_INTERRUPT)
.LBB8_774:
	s_wait_alu 0xfffe
	s_or_b32 exec_lo, exec_lo, s3
	s_branch .LBB8_778
.LBB8_775:                              ;   in Loop: Header=BB8_778 Depth=1
	s_wait_alu 0xfffe
	s_or_b32 exec_lo, exec_lo, s3
	s_delay_alu instid0(VALU_DEP_1) | instskip(NEXT) | instid1(VALU_DEP_1)
	v_readfirstlane_b32 s3, v0
	s_cmp_eq_u32 s3, 0
	s_cbranch_scc1 .LBB8_777
; %bb.776:                              ;   in Loop: Header=BB8_778 Depth=1
	s_sleep 1
	s_cbranch_execnz .LBB8_778
	s_branch .LBB8_780
.LBB8_777:
	s_branch .LBB8_780
.LBB8_778:                              ; =>This Inner Loop Header: Depth=1
	v_mov_b32_e32 v0, 1
	s_and_saveexec_b32 s3, s0
	s_cbranch_execz .LBB8_775
; %bb.779:                              ;   in Loop: Header=BB8_778 Depth=1
	global_load_b32 v0, v[6:7], off offset:20 scope:SCOPE_SYS
	s_wait_loadcnt 0x0
	global_inv scope:SCOPE_SYS
	v_and_b32_e32 v0, 1, v0
	s_branch .LBB8_775
.LBB8_780:
	global_load_b64 v[9:10], v[11:12], off
	s_and_saveexec_b32 s3, s0
	s_cbranch_execz .LBB8_784
; %bb.781:
	v_mov_b32_e32 v11, 0
	s_clause 0x2
	global_load_b64 v[2:3], v11, s[34:35] offset:40
	global_load_b64 v[12:13], v11, s[34:35] offset:24 scope:SCOPE_SYS
	global_load_b64 v[6:7], v11, s[34:35]
	s_wait_loadcnt 0x2
	v_add_co_u32 v14, vcc_lo, v2, 1
	s_wait_alu 0xfffd
	v_add_co_ci_u32_e32 v15, vcc_lo, 0, v3, vcc_lo
	s_delay_alu instid0(VALU_DEP_2) | instskip(SKIP_1) | instid1(VALU_DEP_2)
	v_add_co_u32 v0, vcc_lo, v14, s2
	s_wait_alu 0xfffd
	v_add_co_ci_u32_e32 v1, vcc_lo, s1, v15, vcc_lo
	s_delay_alu instid0(VALU_DEP_1) | instskip(SKIP_2) | instid1(VALU_DEP_1)
	v_cmp_eq_u64_e32 vcc_lo, 0, v[0:1]
	s_wait_alu 0xfffd
	v_dual_cndmask_b32 v0, v0, v14 :: v_dual_cndmask_b32 v1, v1, v15
	v_and_b32_e32 v2, v0, v2
	s_delay_alu instid0(VALU_DEP_2) | instskip(NEXT) | instid1(VALU_DEP_2)
	v_and_b32_e32 v3, v1, v3
	v_mul_lo_u32 v14, 0, v2
	v_mul_hi_u32 v15, 24, v2
	v_mul_lo_u32 v2, 24, v2
	s_wait_loadcnt 0x0
	s_delay_alu instid0(VALU_DEP_1) | instskip(SKIP_2) | instid1(VALU_DEP_1)
	v_add_co_u32 v6, vcc_lo, v6, v2
	v_mov_b32_e32 v2, v12
	v_mul_lo_u32 v3, 24, v3
	v_add_nc_u32_e32 v3, v3, v14
	s_delay_alu instid0(VALU_DEP_1) | instskip(SKIP_1) | instid1(VALU_DEP_1)
	v_add_nc_u32_e32 v3, v3, v15
	s_wait_alu 0xfffd
	v_add_co_ci_u32_e32 v7, vcc_lo, v7, v3, vcc_lo
	v_mov_b32_e32 v3, v13
	global_store_b64 v[6:7], v[12:13], off
	global_wb scope:SCOPE_SYS
	s_wait_storecnt 0x0
	global_atomic_cmpswap_b64 v[2:3], v11, v[0:3], s[34:35] offset:24 th:TH_ATOMIC_RETURN scope:SCOPE_SYS
	s_wait_loadcnt 0x0
	v_cmp_ne_u64_e32 vcc_lo, v[2:3], v[12:13]
	s_and_b32 exec_lo, exec_lo, vcc_lo
	s_cbranch_execz .LBB8_784
; %bb.782:
	s_mov_b32 s0, 0
.LBB8_783:                              ; =>This Inner Loop Header: Depth=1
	s_sleep 1
	global_store_b64 v[6:7], v[2:3], off
	global_wb scope:SCOPE_SYS
	s_wait_storecnt 0x0
	global_atomic_cmpswap_b64 v[12:13], v11, v[0:3], s[34:35] offset:24 th:TH_ATOMIC_RETURN scope:SCOPE_SYS
	s_wait_loadcnt 0x0
	v_cmp_eq_u64_e32 vcc_lo, v[12:13], v[2:3]
	v_dual_mov_b32 v2, v12 :: v_dual_mov_b32 v3, v13
	s_wait_alu 0xfffe
	s_or_b32 s0, vcc_lo, s0
	s_wait_alu 0xfffe
	s_and_not1_b32 exec_lo, exec_lo, s0
	s_cbranch_execnz .LBB8_783
.LBB8_784:
	s_wait_alu 0xfffe
	s_or_b32 exec_lo, exec_lo, s3
.LBB8_785:
	v_readfirstlane_b32 s0, v52
	v_mov_b32_e32 v6, 0
	v_mov_b32_e32 v7, 0
	s_wait_alu 0xf1ff
	s_delay_alu instid0(VALU_DEP_3) | instskip(NEXT) | instid1(VALU_DEP_1)
	v_cmp_eq_u32_e64 s0, s0, v52
	s_and_saveexec_b32 s1, s0
	s_cbranch_execz .LBB8_791
; %bb.786:
	s_wait_loadcnt 0x0
	v_mov_b32_e32 v0, 0
	s_mov_b32 s2, exec_lo
	global_load_b64 v[13:14], v0, s[34:35] offset:24 scope:SCOPE_SYS
	s_wait_loadcnt 0x0
	global_inv scope:SCOPE_SYS
	s_clause 0x1
	global_load_b64 v[1:2], v0, s[34:35] offset:40
	global_load_b64 v[6:7], v0, s[34:35]
	s_wait_loadcnt 0x1
	v_and_b32_e32 v1, v1, v13
	v_and_b32_e32 v2, v2, v14
	s_delay_alu instid0(VALU_DEP_2) | instskip(NEXT) | instid1(VALU_DEP_2)
	v_mul_lo_u32 v3, 0, v1
	v_mul_lo_u32 v2, 24, v2
	v_mul_hi_u32 v11, 24, v1
	v_mul_lo_u32 v1, 24, v1
	s_delay_alu instid0(VALU_DEP_3) | instskip(SKIP_1) | instid1(VALU_DEP_2)
	v_add_nc_u32_e32 v2, v2, v3
	s_wait_loadcnt 0x0
	v_add_co_u32 v1, vcc_lo, v6, v1
	s_delay_alu instid0(VALU_DEP_2) | instskip(SKIP_1) | instid1(VALU_DEP_1)
	v_add_nc_u32_e32 v2, v2, v11
	s_wait_alu 0xfffd
	v_add_co_ci_u32_e32 v2, vcc_lo, v7, v2, vcc_lo
	global_load_b64 v[11:12], v[1:2], off scope:SCOPE_SYS
	s_wait_loadcnt 0x0
	global_atomic_cmpswap_b64 v[6:7], v0, v[11:14], s[34:35] offset:24 th:TH_ATOMIC_RETURN scope:SCOPE_SYS
	s_wait_loadcnt 0x0
	global_inv scope:SCOPE_SYS
	v_cmpx_ne_u64_e64 v[6:7], v[13:14]
	s_cbranch_execz .LBB8_790
; %bb.787:
	s_mov_b32 s3, 0
.LBB8_788:                              ; =>This Inner Loop Header: Depth=1
	s_sleep 1
	s_clause 0x1
	global_load_b64 v[1:2], v0, s[34:35] offset:40
	global_load_b64 v[11:12], v0, s[34:35]
	v_dual_mov_b32 v14, v7 :: v_dual_mov_b32 v13, v6
	s_wait_loadcnt 0x1
	s_delay_alu instid0(VALU_DEP_1) | instskip(SKIP_1) | instid1(VALU_DEP_1)
	v_and_b32_e32 v1, v1, v13
	s_wait_loadcnt 0x0
	v_mad_co_u64_u32 v[6:7], null, v1, 24, v[11:12]
	s_delay_alu instid0(VALU_DEP_1) | instskip(NEXT) | instid1(VALU_DEP_1)
	v_dual_mov_b32 v1, v7 :: v_dual_and_b32 v2, v2, v14
	v_mad_co_u64_u32 v[1:2], null, v2, 24, v[1:2]
	s_delay_alu instid0(VALU_DEP_1)
	v_mov_b32_e32 v7, v1
	global_load_b64 v[11:12], v[6:7], off scope:SCOPE_SYS
	s_wait_loadcnt 0x0
	global_atomic_cmpswap_b64 v[6:7], v0, v[11:14], s[34:35] offset:24 th:TH_ATOMIC_RETURN scope:SCOPE_SYS
	s_wait_loadcnt 0x0
	global_inv scope:SCOPE_SYS
	v_cmp_eq_u64_e32 vcc_lo, v[6:7], v[13:14]
	s_wait_alu 0xfffe
	s_or_b32 s3, vcc_lo, s3
	s_wait_alu 0xfffe
	s_and_not1_b32 exec_lo, exec_lo, s3
	s_cbranch_execnz .LBB8_788
; %bb.789:
	s_or_b32 exec_lo, exec_lo, s3
.LBB8_790:
	s_wait_alu 0xfffe
	s_or_b32 exec_lo, exec_lo, s2
.LBB8_791:
	s_wait_alu 0xfffe
	s_or_b32 exec_lo, exec_lo, s1
	v_readfirstlane_b32 s2, v6
	s_wait_loadcnt 0x0
	v_mov_b32_e32 v12, 0
	v_readfirstlane_b32 s1, v7
	s_mov_b32 s3, exec_lo
	s_clause 0x1
	global_load_b64 v[13:14], v12, s[34:35] offset:40
	global_load_b128 v[0:3], v12, s[34:35]
	s_wait_loadcnt 0x1
	s_wait_alu 0xf1ff
	v_and_b32_e32 v13, s2, v13
	v_and_b32_e32 v14, s1, v14
	s_delay_alu instid0(VALU_DEP_2) | instskip(NEXT) | instid1(VALU_DEP_2)
	v_mul_lo_u32 v7, 0, v13
	v_mul_lo_u32 v6, 24, v14
	v_mul_hi_u32 v11, 24, v13
	v_mul_lo_u32 v15, 24, v13
	s_delay_alu instid0(VALU_DEP_3) | instskip(NEXT) | instid1(VALU_DEP_1)
	v_add_nc_u32_e32 v6, v6, v7
	v_add_nc_u32_e32 v7, v6, v11
	s_wait_loadcnt 0x0
	s_delay_alu instid0(VALU_DEP_3) | instskip(SKIP_1) | instid1(VALU_DEP_2)
	v_add_co_u32 v6, vcc_lo, v0, v15
	s_wait_alu 0xfffd
	v_add_co_ci_u32_e32 v7, vcc_lo, v1, v7, vcc_lo
	s_and_saveexec_b32 s4, s0
	s_cbranch_execz .LBB8_793
; %bb.792:
	s_wait_alu 0xfffe
	v_dual_mov_b32 v11, s3 :: v_dual_mov_b32 v18, 1
	v_dual_mov_b32 v17, 2 :: v_dual_mov_b32 v16, v12
	s_delay_alu instid0(VALU_DEP_2)
	v_mov_b32_e32 v15, v11
	global_store_b128 v[6:7], v[15:18], off offset:8
.LBB8_793:
	s_wait_alu 0xfffe
	s_or_b32 exec_lo, exec_lo, s4
	v_lshlrev_b64_e32 v[13:14], 12, v[13:14]
	s_mov_b32 s4, 0
	v_and_or_b32 v9, 0xffffff1d, v9, 34
	s_wait_alu 0xfffe
	s_mov_b32 s7, s4
	s_mov_b32 s5, s4
	;; [unrolled: 1-line block ×3, first 2 shown]
	v_add_co_u32 v2, vcc_lo, v2, v13
	s_wait_alu 0xfffd
	v_add_co_ci_u32_e32 v3, vcc_lo, v3, v14, vcc_lo
	s_wait_alu 0xfffe
	v_dual_mov_b32 v11, 58 :: v_dual_mov_b32 v16, s7
	v_readfirstlane_b32 s10, v2
	s_delay_alu instid0(VALU_DEP_3)
	v_readfirstlane_b32 s11, v3
	v_dual_mov_b32 v15, s6 :: v_dual_mov_b32 v14, s5
	v_mov_b32_e32 v13, s4
	s_clause 0x3
	global_store_b128 v51, v[9:12], s[10:11]
	global_store_b128 v51, v[13:16], s[10:11] offset:16
	global_store_b128 v51, v[13:16], s[10:11] offset:32
	global_store_b128 v51, v[13:16], s[10:11] offset:48
	s_and_saveexec_b32 s3, s0
	s_cbranch_execz .LBB8_801
; %bb.794:
	v_mov_b32_e32 v11, 0
	v_mov_b32_e32 v13, s1
	s_mov_b32 s4, exec_lo
	s_clause 0x1
	global_load_b64 v[14:15], v11, s[34:35] offset:32 scope:SCOPE_SYS
	global_load_b64 v[2:3], v11, s[34:35] offset:40
	v_mov_b32_e32 v12, s2
	s_wait_loadcnt 0x0
	v_and_b32_e32 v2, s2, v2
	v_and_b32_e32 v3, s1, v3
	s_delay_alu instid0(VALU_DEP_2) | instskip(NEXT) | instid1(VALU_DEP_2)
	v_mul_lo_u32 v9, 0, v2
	v_mul_lo_u32 v3, 24, v3
	v_mul_hi_u32 v10, 24, v2
	v_mul_lo_u32 v2, 24, v2
	s_delay_alu instid0(VALU_DEP_3) | instskip(NEXT) | instid1(VALU_DEP_2)
	v_add_nc_u32_e32 v3, v3, v9
	v_add_co_u32 v9, vcc_lo, v0, v2
	s_delay_alu instid0(VALU_DEP_2) | instskip(SKIP_1) | instid1(VALU_DEP_1)
	v_add_nc_u32_e32 v3, v3, v10
	s_wait_alu 0xfffd
	v_add_co_ci_u32_e32 v10, vcc_lo, v1, v3, vcc_lo
	global_store_b64 v[9:10], v[14:15], off
	global_wb scope:SCOPE_SYS
	s_wait_storecnt 0x0
	global_atomic_cmpswap_b64 v[2:3], v11, v[12:15], s[34:35] offset:32 th:TH_ATOMIC_RETURN scope:SCOPE_SYS
	s_wait_loadcnt 0x0
	v_cmpx_ne_u64_e64 v[2:3], v[14:15]
	s_cbranch_execz .LBB8_797
; %bb.795:
	s_mov_b32 s5, 0
.LBB8_796:                              ; =>This Inner Loop Header: Depth=1
	v_dual_mov_b32 v0, s2 :: v_dual_mov_b32 v1, s1
	s_sleep 1
	global_store_b64 v[9:10], v[2:3], off
	global_wb scope:SCOPE_SYS
	s_wait_storecnt 0x0
	global_atomic_cmpswap_b64 v[0:1], v11, v[0:3], s[34:35] offset:32 th:TH_ATOMIC_RETURN scope:SCOPE_SYS
	s_wait_loadcnt 0x0
	v_cmp_eq_u64_e32 vcc_lo, v[0:1], v[2:3]
	v_dual_mov_b32 v3, v1 :: v_dual_mov_b32 v2, v0
	s_wait_alu 0xfffe
	s_or_b32 s5, vcc_lo, s5
	s_wait_alu 0xfffe
	s_and_not1_b32 exec_lo, exec_lo, s5
	s_cbranch_execnz .LBB8_796
.LBB8_797:
	s_wait_alu 0xfffe
	s_or_b32 exec_lo, exec_lo, s4
	v_mov_b32_e32 v3, 0
	s_mov_b32 s5, exec_lo
	s_mov_b32 s4, exec_lo
	s_wait_alu 0xfffe
	v_mbcnt_lo_u32_b32 v2, s5, 0
	global_load_b64 v[0:1], v3, s[34:35] offset:16
	v_cmpx_eq_u32_e32 0, v2
	s_cbranch_execz .LBB8_799
; %bb.798:
	s_bcnt1_i32_b32 s5, s5
	s_wait_alu 0xfffe
	v_mov_b32_e32 v2, s5
	global_wb scope:SCOPE_SYS
	s_wait_loadcnt 0x0
	global_atomic_add_u64 v[0:1], v[2:3], off offset:8 scope:SCOPE_SYS
.LBB8_799:
	s_or_b32 exec_lo, exec_lo, s4
	s_wait_loadcnt 0x0
	global_load_b64 v[2:3], v[0:1], off offset:16
	s_wait_loadcnt 0x0
	v_cmp_eq_u64_e32 vcc_lo, 0, v[2:3]
	s_cbranch_vccnz .LBB8_801
; %bb.800:
	global_load_b32 v0, v[0:1], off offset:24
	v_mov_b32_e32 v1, 0
	s_wait_loadcnt 0x0
	v_and_b32_e32 v9, 0xffffff, v0
	global_wb scope:SCOPE_SYS
	s_wait_storecnt 0x0
	global_store_b64 v[2:3], v[0:1], off scope:SCOPE_SYS
	v_readfirstlane_b32 m0, v9
	s_sendmsg sendmsg(MSG_INTERRUPT)
.LBB8_801:
	s_wait_alu 0xfffe
	s_or_b32 exec_lo, exec_lo, s3
	s_branch .LBB8_805
.LBB8_802:                              ;   in Loop: Header=BB8_805 Depth=1
	s_wait_alu 0xfffe
	s_or_b32 exec_lo, exec_lo, s3
	s_delay_alu instid0(VALU_DEP_1) | instskip(NEXT) | instid1(VALU_DEP_1)
	v_readfirstlane_b32 s3, v0
	s_cmp_eq_u32 s3, 0
	s_cbranch_scc1 .LBB8_804
; %bb.803:                              ;   in Loop: Header=BB8_805 Depth=1
	s_sleep 1
	s_cbranch_execnz .LBB8_805
	s_branch .LBB8_807
.LBB8_804:
	s_branch .LBB8_807
.LBB8_805:                              ; =>This Inner Loop Header: Depth=1
	v_mov_b32_e32 v0, 1
	s_and_saveexec_b32 s3, s0
	s_cbranch_execz .LBB8_802
; %bb.806:                              ;   in Loop: Header=BB8_805 Depth=1
	global_load_b32 v0, v[6:7], off offset:20 scope:SCOPE_SYS
	s_wait_loadcnt 0x0
	global_inv scope:SCOPE_SYS
	v_and_b32_e32 v0, 1, v0
	s_branch .LBB8_802
.LBB8_807:
	s_and_saveexec_b32 s3, s0
	s_cbranch_execz .LBB8_811
; %bb.808:
	v_mov_b32_e32 v9, 0
	s_clause 0x2
	global_load_b64 v[2:3], v9, s[34:35] offset:40
	global_load_b64 v[10:11], v9, s[34:35] offset:24 scope:SCOPE_SYS
	global_load_b64 v[6:7], v9, s[34:35]
	s_wait_loadcnt 0x2
	v_add_co_u32 v12, vcc_lo, v2, 1
	s_wait_alu 0xfffd
	v_add_co_ci_u32_e32 v13, vcc_lo, 0, v3, vcc_lo
	s_delay_alu instid0(VALU_DEP_2) | instskip(SKIP_1) | instid1(VALU_DEP_2)
	v_add_co_u32 v0, vcc_lo, v12, s2
	s_wait_alu 0xfffd
	v_add_co_ci_u32_e32 v1, vcc_lo, s1, v13, vcc_lo
	s_delay_alu instid0(VALU_DEP_1) | instskip(SKIP_2) | instid1(VALU_DEP_1)
	v_cmp_eq_u64_e32 vcc_lo, 0, v[0:1]
	s_wait_alu 0xfffd
	v_dual_cndmask_b32 v0, v0, v12 :: v_dual_cndmask_b32 v1, v1, v13
	v_and_b32_e32 v2, v0, v2
	s_delay_alu instid0(VALU_DEP_2) | instskip(NEXT) | instid1(VALU_DEP_2)
	v_and_b32_e32 v3, v1, v3
	v_mul_lo_u32 v12, 0, v2
	v_mul_hi_u32 v13, 24, v2
	v_mul_lo_u32 v2, 24, v2
	s_wait_loadcnt 0x0
	s_delay_alu instid0(VALU_DEP_1) | instskip(SKIP_2) | instid1(VALU_DEP_1)
	v_add_co_u32 v6, vcc_lo, v6, v2
	v_mov_b32_e32 v2, v10
	v_mul_lo_u32 v3, 24, v3
	v_add_nc_u32_e32 v3, v3, v12
	s_delay_alu instid0(VALU_DEP_1) | instskip(SKIP_1) | instid1(VALU_DEP_1)
	v_add_nc_u32_e32 v3, v3, v13
	s_wait_alu 0xfffd
	v_add_co_ci_u32_e32 v7, vcc_lo, v7, v3, vcc_lo
	v_mov_b32_e32 v3, v11
	global_store_b64 v[6:7], v[10:11], off
	global_wb scope:SCOPE_SYS
	s_wait_storecnt 0x0
	global_atomic_cmpswap_b64 v[2:3], v9, v[0:3], s[34:35] offset:24 th:TH_ATOMIC_RETURN scope:SCOPE_SYS
	s_wait_loadcnt 0x0
	v_cmp_ne_u64_e32 vcc_lo, v[2:3], v[10:11]
	s_and_b32 exec_lo, exec_lo, vcc_lo
	s_cbranch_execz .LBB8_811
; %bb.809:
	s_mov_b32 s0, 0
.LBB8_810:                              ; =>This Inner Loop Header: Depth=1
	s_sleep 1
	global_store_b64 v[6:7], v[2:3], off
	global_wb scope:SCOPE_SYS
	s_wait_storecnt 0x0
	global_atomic_cmpswap_b64 v[10:11], v9, v[0:3], s[34:35] offset:24 th:TH_ATOMIC_RETURN scope:SCOPE_SYS
	s_wait_loadcnt 0x0
	v_cmp_eq_u64_e32 vcc_lo, v[10:11], v[2:3]
	v_dual_mov_b32 v2, v10 :: v_dual_mov_b32 v3, v11
	s_wait_alu 0xfffe
	s_or_b32 s0, vcc_lo, s0
	s_wait_alu 0xfffe
	s_and_not1_b32 exec_lo, exec_lo, s0
	s_cbranch_execnz .LBB8_810
.LBB8_811:
	s_wait_alu 0xfffe
	s_or_b32 exec_lo, exec_lo, s3
	v_readfirstlane_b32 s0, v52
	v_mov_b32_e32 v6, 0
	v_mov_b32_e32 v7, 0
	s_wait_alu 0xf1ff
	s_delay_alu instid0(VALU_DEP_3) | instskip(NEXT) | instid1(VALU_DEP_1)
	v_cmp_eq_u32_e64 s0, s0, v52
	s_and_saveexec_b32 s1, s0
	s_cbranch_execz .LBB8_817
; %bb.812:
	v_mov_b32_e32 v0, 0
	s_mov_b32 s2, exec_lo
	global_load_b64 v[11:12], v0, s[34:35] offset:24 scope:SCOPE_SYS
	s_wait_loadcnt 0x0
	global_inv scope:SCOPE_SYS
	s_clause 0x1
	global_load_b64 v[1:2], v0, s[34:35] offset:40
	global_load_b64 v[6:7], v0, s[34:35]
	s_wait_loadcnt 0x1
	v_and_b32_e32 v1, v1, v11
	v_and_b32_e32 v2, v2, v12
	s_delay_alu instid0(VALU_DEP_2) | instskip(NEXT) | instid1(VALU_DEP_2)
	v_mul_lo_u32 v3, 0, v1
	v_mul_lo_u32 v2, 24, v2
	v_mul_hi_u32 v9, 24, v1
	v_mul_lo_u32 v1, 24, v1
	s_delay_alu instid0(VALU_DEP_3) | instskip(SKIP_1) | instid1(VALU_DEP_2)
	v_add_nc_u32_e32 v2, v2, v3
	s_wait_loadcnt 0x0
	v_add_co_u32 v1, vcc_lo, v6, v1
	s_delay_alu instid0(VALU_DEP_2) | instskip(SKIP_1) | instid1(VALU_DEP_1)
	v_add_nc_u32_e32 v2, v2, v9
	s_wait_alu 0xfffd
	v_add_co_ci_u32_e32 v2, vcc_lo, v7, v2, vcc_lo
	global_load_b64 v[9:10], v[1:2], off scope:SCOPE_SYS
	s_wait_loadcnt 0x0
	global_atomic_cmpswap_b64 v[6:7], v0, v[9:12], s[34:35] offset:24 th:TH_ATOMIC_RETURN scope:SCOPE_SYS
	s_wait_loadcnt 0x0
	global_inv scope:SCOPE_SYS
	v_cmpx_ne_u64_e64 v[6:7], v[11:12]
	s_cbranch_execz .LBB8_816
; %bb.813:
	s_mov_b32 s3, 0
.LBB8_814:                              ; =>This Inner Loop Header: Depth=1
	s_sleep 1
	s_clause 0x1
	global_load_b64 v[1:2], v0, s[34:35] offset:40
	global_load_b64 v[9:10], v0, s[34:35]
	v_dual_mov_b32 v12, v7 :: v_dual_mov_b32 v11, v6
	s_wait_loadcnt 0x1
	s_delay_alu instid0(VALU_DEP_1) | instskip(SKIP_1) | instid1(VALU_DEP_1)
	v_and_b32_e32 v1, v1, v11
	s_wait_loadcnt 0x0
	v_mad_co_u64_u32 v[6:7], null, v1, 24, v[9:10]
	s_delay_alu instid0(VALU_DEP_1) | instskip(NEXT) | instid1(VALU_DEP_1)
	v_dual_mov_b32 v1, v7 :: v_dual_and_b32 v2, v2, v12
	v_mad_co_u64_u32 v[1:2], null, v2, 24, v[1:2]
	s_delay_alu instid0(VALU_DEP_1)
	v_mov_b32_e32 v7, v1
	global_load_b64 v[9:10], v[6:7], off scope:SCOPE_SYS
	s_wait_loadcnt 0x0
	global_atomic_cmpswap_b64 v[6:7], v0, v[9:12], s[34:35] offset:24 th:TH_ATOMIC_RETURN scope:SCOPE_SYS
	s_wait_loadcnt 0x0
	global_inv scope:SCOPE_SYS
	v_cmp_eq_u64_e32 vcc_lo, v[6:7], v[11:12]
	s_wait_alu 0xfffe
	s_or_b32 s3, vcc_lo, s3
	s_wait_alu 0xfffe
	s_and_not1_b32 exec_lo, exec_lo, s3
	s_cbranch_execnz .LBB8_814
; %bb.815:
	s_or_b32 exec_lo, exec_lo, s3
.LBB8_816:
	s_wait_alu 0xfffe
	s_or_b32 exec_lo, exec_lo, s2
.LBB8_817:
	s_wait_alu 0xfffe
	s_or_b32 exec_lo, exec_lo, s1
	v_readfirstlane_b32 s2, v6
	v_mov_b32_e32 v10, 0
	v_readfirstlane_b32 s1, v7
	s_mov_b32 s3, exec_lo
	s_clause 0x1
	global_load_b64 v[11:12], v10, s[34:35] offset:40
	global_load_b128 v[0:3], v10, s[34:35]
	s_wait_loadcnt 0x1
	s_wait_alu 0xf1ff
	v_and_b32_e32 v13, s2, v11
	v_and_b32_e32 v14, s1, v12
	s_delay_alu instid0(VALU_DEP_2) | instskip(NEXT) | instid1(VALU_DEP_2)
	v_mul_lo_u32 v7, 0, v13
	v_mul_lo_u32 v6, 24, v14
	v_mul_hi_u32 v9, 24, v13
	v_mul_lo_u32 v11, 24, v13
	s_delay_alu instid0(VALU_DEP_3) | instskip(NEXT) | instid1(VALU_DEP_1)
	v_add_nc_u32_e32 v6, v6, v7
	v_add_nc_u32_e32 v7, v6, v9
	s_wait_loadcnt 0x0
	s_delay_alu instid0(VALU_DEP_3) | instskip(SKIP_1) | instid1(VALU_DEP_2)
	v_add_co_u32 v6, vcc_lo, v0, v11
	s_wait_alu 0xfffd
	v_add_co_ci_u32_e32 v7, vcc_lo, v1, v7, vcc_lo
	s_and_saveexec_b32 s4, s0
	s_cbranch_execz .LBB8_819
; %bb.818:
	s_wait_alu 0xfffe
	v_dual_mov_b32 v9, s3 :: v_dual_mov_b32 v12, 1
	v_mov_b32_e32 v11, 2
	global_store_b128 v[6:7], v[9:12], off offset:8
.LBB8_819:
	s_wait_alu 0xfffe
	s_or_b32 exec_lo, exec_lo, s4
	v_lshlrev_b64_e32 v[13:14], 12, v[13:14]
	s_mov_b32 s4, 0
	v_dual_mov_b32 v9, 33 :: v_dual_mov_b32 v12, v10
	s_wait_alu 0xfffe
	s_mov_b32 s7, s4
	s_mov_b32 s5, s4
	v_add_co_u32 v2, vcc_lo, v2, v13
	s_wait_alu 0xfffd
	v_add_co_ci_u32_e32 v3, vcc_lo, v3, v14, vcc_lo
	s_mov_b32 s6, s4
	s_delay_alu instid0(VALU_DEP_2)
	v_add_co_u32 v13, vcc_lo, v2, v51
	s_wait_alu 0xfffe
	v_dual_mov_b32 v11, v10 :: v_dual_mov_b32 v18, s7
	v_readfirstlane_b32 s10, v2
	v_readfirstlane_b32 s11, v3
	s_wait_alu 0xfffd
	v_add_co_ci_u32_e32 v14, vcc_lo, 0, v3, vcc_lo
	v_dual_mov_b32 v17, s6 :: v_dual_mov_b32 v16, s5
	v_mov_b32_e32 v15, s4
	s_clause 0x3
	global_store_b128 v51, v[9:12], s[10:11]
	global_store_b128 v51, v[15:18], s[10:11] offset:16
	global_store_b128 v51, v[15:18], s[10:11] offset:32
	;; [unrolled: 1-line block ×3, first 2 shown]
	s_and_saveexec_b32 s3, s0
	s_cbranch_execz .LBB8_827
; %bb.820:
	v_mov_b32_e32 v11, 0
	v_mov_b32_e32 v15, s2
	s_mov_b32 s4, exec_lo
	s_clause 0x1
	global_load_b64 v[17:18], v11, s[34:35] offset:32 scope:SCOPE_SYS
	global_load_b64 v[2:3], v11, s[34:35] offset:40
	v_mov_b32_e32 v16, s1
	s_wait_loadcnt 0x0
	v_and_b32_e32 v2, s2, v2
	v_and_b32_e32 v3, s1, v3
	s_delay_alu instid0(VALU_DEP_2) | instskip(NEXT) | instid1(VALU_DEP_2)
	v_mul_lo_u32 v9, 0, v2
	v_mul_lo_u32 v3, 24, v3
	v_mul_hi_u32 v10, 24, v2
	v_mul_lo_u32 v2, 24, v2
	s_delay_alu instid0(VALU_DEP_3) | instskip(NEXT) | instid1(VALU_DEP_2)
	v_add_nc_u32_e32 v3, v3, v9
	v_add_co_u32 v9, vcc_lo, v0, v2
	s_delay_alu instid0(VALU_DEP_2) | instskip(SKIP_1) | instid1(VALU_DEP_1)
	v_add_nc_u32_e32 v3, v3, v10
	s_wait_alu 0xfffd
	v_add_co_ci_u32_e32 v10, vcc_lo, v1, v3, vcc_lo
	global_store_b64 v[9:10], v[17:18], off
	global_wb scope:SCOPE_SYS
	s_wait_storecnt 0x0
	global_atomic_cmpswap_b64 v[2:3], v11, v[15:18], s[34:35] offset:32 th:TH_ATOMIC_RETURN scope:SCOPE_SYS
	s_wait_loadcnt 0x0
	v_cmpx_ne_u64_e64 v[2:3], v[17:18]
	s_cbranch_execz .LBB8_823
; %bb.821:
	s_mov_b32 s5, 0
.LBB8_822:                              ; =>This Inner Loop Header: Depth=1
	v_dual_mov_b32 v0, s2 :: v_dual_mov_b32 v1, s1
	s_sleep 1
	global_store_b64 v[9:10], v[2:3], off
	global_wb scope:SCOPE_SYS
	s_wait_storecnt 0x0
	global_atomic_cmpswap_b64 v[0:1], v11, v[0:3], s[34:35] offset:32 th:TH_ATOMIC_RETURN scope:SCOPE_SYS
	s_wait_loadcnt 0x0
	v_cmp_eq_u64_e32 vcc_lo, v[0:1], v[2:3]
	v_dual_mov_b32 v3, v1 :: v_dual_mov_b32 v2, v0
	s_wait_alu 0xfffe
	s_or_b32 s5, vcc_lo, s5
	s_wait_alu 0xfffe
	s_and_not1_b32 exec_lo, exec_lo, s5
	s_cbranch_execnz .LBB8_822
.LBB8_823:
	s_wait_alu 0xfffe
	s_or_b32 exec_lo, exec_lo, s4
	v_mov_b32_e32 v3, 0
	s_mov_b32 s5, exec_lo
	s_mov_b32 s4, exec_lo
	s_wait_alu 0xfffe
	v_mbcnt_lo_u32_b32 v2, s5, 0
	global_load_b64 v[0:1], v3, s[34:35] offset:16
	v_cmpx_eq_u32_e32 0, v2
	s_cbranch_execz .LBB8_825
; %bb.824:
	s_bcnt1_i32_b32 s5, s5
	s_wait_alu 0xfffe
	v_mov_b32_e32 v2, s5
	global_wb scope:SCOPE_SYS
	s_wait_loadcnt 0x0
	global_atomic_add_u64 v[0:1], v[2:3], off offset:8 scope:SCOPE_SYS
.LBB8_825:
	s_or_b32 exec_lo, exec_lo, s4
	s_wait_loadcnt 0x0
	global_load_b64 v[2:3], v[0:1], off offset:16
	s_wait_loadcnt 0x0
	v_cmp_eq_u64_e32 vcc_lo, 0, v[2:3]
	s_cbranch_vccnz .LBB8_827
; %bb.826:
	global_load_b32 v0, v[0:1], off offset:24
	v_mov_b32_e32 v1, 0
	s_wait_loadcnt 0x0
	v_and_b32_e32 v9, 0xffffff, v0
	global_wb scope:SCOPE_SYS
	s_wait_storecnt 0x0
	global_store_b64 v[2:3], v[0:1], off scope:SCOPE_SYS
	v_readfirstlane_b32 m0, v9
	s_sendmsg sendmsg(MSG_INTERRUPT)
.LBB8_827:
	s_wait_alu 0xfffe
	s_or_b32 exec_lo, exec_lo, s3
	s_branch .LBB8_831
.LBB8_828:                              ;   in Loop: Header=BB8_831 Depth=1
	s_wait_alu 0xfffe
	s_or_b32 exec_lo, exec_lo, s3
	s_delay_alu instid0(VALU_DEP_1) | instskip(NEXT) | instid1(VALU_DEP_1)
	v_readfirstlane_b32 s3, v0
	s_cmp_eq_u32 s3, 0
	s_cbranch_scc1 .LBB8_830
; %bb.829:                              ;   in Loop: Header=BB8_831 Depth=1
	s_sleep 1
	s_cbranch_execnz .LBB8_831
	s_branch .LBB8_833
.LBB8_830:
	s_branch .LBB8_833
.LBB8_831:                              ; =>This Inner Loop Header: Depth=1
	v_mov_b32_e32 v0, 1
	s_and_saveexec_b32 s3, s0
	s_cbranch_execz .LBB8_828
; %bb.832:                              ;   in Loop: Header=BB8_831 Depth=1
	global_load_b32 v0, v[6:7], off offset:20 scope:SCOPE_SYS
	s_wait_loadcnt 0x0
	global_inv scope:SCOPE_SYS
	v_and_b32_e32 v0, 1, v0
	s_branch .LBB8_828
.LBB8_833:
	global_load_b64 v[0:1], v[13:14], off
	s_and_saveexec_b32 s3, s0
	s_cbranch_execz .LBB8_837
; %bb.834:
	v_mov_b32_e32 v6, 0
	s_clause 0x2
	global_load_b64 v[2:3], v6, s[34:35] offset:40
	global_load_b64 v[13:14], v6, s[34:35] offset:24 scope:SCOPE_SYS
	global_load_b64 v[11:12], v6, s[34:35]
	s_wait_loadcnt 0x2
	v_add_co_u32 v7, vcc_lo, v2, 1
	s_wait_alu 0xfffd
	v_add_co_ci_u32_e32 v15, vcc_lo, 0, v3, vcc_lo
	s_delay_alu instid0(VALU_DEP_2) | instskip(SKIP_1) | instid1(VALU_DEP_2)
	v_add_co_u32 v9, vcc_lo, v7, s2
	s_wait_alu 0xfffd
	v_add_co_ci_u32_e32 v10, vcc_lo, s1, v15, vcc_lo
	s_delay_alu instid0(VALU_DEP_1) | instskip(SKIP_3) | instid1(VALU_DEP_2)
	v_cmp_eq_u64_e32 vcc_lo, 0, v[9:10]
	s_wait_alu 0xfffd
	v_cndmask_b32_e32 v9, v9, v7, vcc_lo
	v_cndmask_b32_e32 v10, v10, v15, vcc_lo
	v_and_b32_e32 v2, v9, v2
	s_delay_alu instid0(VALU_DEP_1) | instskip(SKIP_3) | instid1(VALU_DEP_1)
	v_mul_lo_u32 v7, 0, v2
	v_mul_hi_u32 v15, 24, v2
	v_mul_lo_u32 v2, 24, v2
	s_wait_loadcnt 0x0
	v_add_co_u32 v2, vcc_lo, v11, v2
	v_mov_b32_e32 v11, v13
	v_and_b32_e32 v3, v10, v3
	s_delay_alu instid0(VALU_DEP_1) | instskip(NEXT) | instid1(VALU_DEP_1)
	v_mul_lo_u32 v3, 24, v3
	v_add_nc_u32_e32 v3, v3, v7
	s_delay_alu instid0(VALU_DEP_1) | instskip(SKIP_1) | instid1(VALU_DEP_1)
	v_add_nc_u32_e32 v3, v3, v15
	s_wait_alu 0xfffd
	v_add_co_ci_u32_e32 v3, vcc_lo, v12, v3, vcc_lo
	v_mov_b32_e32 v12, v14
	global_store_b64 v[2:3], v[13:14], off
	global_wb scope:SCOPE_SYS
	s_wait_storecnt 0x0
	global_atomic_cmpswap_b64 v[11:12], v6, v[9:12], s[34:35] offset:24 th:TH_ATOMIC_RETURN scope:SCOPE_SYS
	s_wait_loadcnt 0x0
	v_cmp_ne_u64_e32 vcc_lo, v[11:12], v[13:14]
	s_and_b32 exec_lo, exec_lo, vcc_lo
	s_cbranch_execz .LBB8_837
; %bb.835:
	s_mov_b32 s0, 0
.LBB8_836:                              ; =>This Inner Loop Header: Depth=1
	s_sleep 1
	global_store_b64 v[2:3], v[11:12], off
	global_wb scope:SCOPE_SYS
	s_wait_storecnt 0x0
	global_atomic_cmpswap_b64 v[13:14], v6, v[9:12], s[34:35] offset:24 th:TH_ATOMIC_RETURN scope:SCOPE_SYS
	s_wait_loadcnt 0x0
	v_cmp_eq_u64_e32 vcc_lo, v[13:14], v[11:12]
	v_dual_mov_b32 v11, v13 :: v_dual_mov_b32 v12, v14
	s_wait_alu 0xfffe
	s_or_b32 s0, vcc_lo, s0
	s_wait_alu 0xfffe
	s_and_not1_b32 exec_lo, exec_lo, s0
	s_cbranch_execnz .LBB8_836
.LBB8_837:
	s_wait_alu 0xfffe
	s_or_b32 exec_lo, exec_lo, s3
	s_getpc_b64 s[2:3]
	s_wait_alu 0xfffe
	s_sext_i32_i16 s3, s3
	s_add_co_u32 s2, s2, .str.9@rel32@lo+12
	s_wait_alu 0xfffe
	s_add_co_ci_u32 s3, s3, .str.9@rel32@hi+24
	s_wait_alu 0xfffe
	s_cmp_lg_u64 s[2:3], 0
	s_cbranch_scc0 .LBB8_916
; %bb.838:
	s_wait_loadcnt 0x0
	v_dual_mov_b32 v13, 0 :: v_dual_and_b32 v36, 2, v0
	v_dual_mov_b32 v10, v1 :: v_dual_and_b32 v9, -3, v0
	v_dual_mov_b32 v14, 2 :: v_dual_mov_b32 v15, 1
	s_mov_b64 s[4:5], 4
	s_branch .LBB8_840
.LBB8_839:                              ;   in Loop: Header=BB8_840 Depth=1
	s_wait_alu 0xfffe
	s_or_b32 exec_lo, exec_lo, s11
	s_sub_nc_u64 s[4:5], s[4:5], s[6:7]
	s_add_nc_u64 s[2:3], s[2:3], s[6:7]
	s_wait_alu 0xfffe
	s_cmp_lg_u64 s[4:5], 0
	s_cbranch_scc0 .LBB8_915
.LBB8_840:                              ; =>This Loop Header: Depth=1
                                        ;     Child Loop BB8_849 Depth 2
                                        ;     Child Loop BB8_845 Depth 2
	;; [unrolled: 1-line block ×11, first 2 shown]
	s_wait_alu 0xfffe
	v_cmp_lt_u64_e64 s0, s[4:5], 56
	v_cmp_gt_u64_e64 s1, s[4:5], 7
                                        ; implicit-def: $vgpr18_vgpr19
                                        ; implicit-def: $sgpr18
	s_delay_alu instid0(VALU_DEP_2) | instskip(SKIP_2) | instid1(VALU_DEP_1)
	s_and_b32 s0, s0, exec_lo
	s_cselect_b32 s7, s5, 0
	s_cselect_b32 s6, s4, 56
	s_and_b32 vcc_lo, exec_lo, s1
	s_mov_b32 s0, -1
	s_wait_alu 0xfffe
	s_cbranch_vccz .LBB8_847
; %bb.841:                              ;   in Loop: Header=BB8_840 Depth=1
	s_and_not1_b32 vcc_lo, exec_lo, s0
	s_mov_b64 s[0:1], s[2:3]
	s_wait_alu 0xfffe
	s_cbranch_vccz .LBB8_851
.LBB8_842:                              ;   in Loop: Header=BB8_840 Depth=1
	s_wait_alu 0xfffe
	s_cmp_gt_u32 s18, 7
	s_cbranch_scc1 .LBB8_852
.LBB8_843:                              ;   in Loop: Header=BB8_840 Depth=1
	v_mov_b32_e32 v20, 0
	v_mov_b32_e32 v21, 0
	s_cmp_eq_u32 s18, 0
	s_cbranch_scc1 .LBB8_846
; %bb.844:                              ;   in Loop: Header=BB8_840 Depth=1
	s_mov_b64 s[10:11], 0
	s_mov_b64 s[16:17], 0
.LBB8_845:                              ;   Parent Loop BB8_840 Depth=1
                                        ; =>  This Inner Loop Header: Depth=2
	s_wait_alu 0xfffe
	s_add_nc_u64 s[20:21], s[0:1], s[16:17]
	s_add_nc_u64 s[16:17], s[16:17], 1
	global_load_u8 v2, v13, s[20:21]
	s_wait_alu 0xfffe
	s_cmp_lg_u32 s18, s16
	s_wait_loadcnt 0x0
	v_and_b32_e32 v12, 0xffff, v2
	s_delay_alu instid0(VALU_DEP_1) | instskip(SKIP_1) | instid1(VALU_DEP_1)
	v_lshlrev_b64_e32 v[2:3], s10, v[12:13]
	s_add_nc_u64 s[10:11], s[10:11], 8
	v_or_b32_e32 v20, v2, v20
	s_delay_alu instid0(VALU_DEP_2)
	v_or_b32_e32 v21, v3, v21
	s_cbranch_scc1 .LBB8_845
.LBB8_846:                              ;   in Loop: Header=BB8_840 Depth=1
	s_mov_b32 s19, 0
	s_cbranch_execz .LBB8_853
	s_branch .LBB8_854
.LBB8_847:                              ;   in Loop: Header=BB8_840 Depth=1
	v_mov_b32_e32 v18, 0
	v_mov_b32_e32 v19, 0
	s_cmp_eq_u64 s[4:5], 0
	s_mov_b64 s[0:1], 0
	s_cbranch_scc1 .LBB8_850
; %bb.848:                              ;   in Loop: Header=BB8_840 Depth=1
	v_mov_b32_e32 v18, 0
	v_mov_b32_e32 v19, 0
	s_mov_b64 s[10:11], 0
.LBB8_849:                              ;   Parent Loop BB8_840 Depth=1
                                        ; =>  This Inner Loop Header: Depth=2
	s_wait_alu 0xfffe
	s_add_nc_u64 s[16:17], s[2:3], s[10:11]
	s_add_nc_u64 s[10:11], s[10:11], 1
	global_load_u8 v2, v13, s[16:17]
	s_wait_alu 0xfffe
	s_cmp_lg_u32 s6, s10
	s_wait_loadcnt 0x0
	v_and_b32_e32 v12, 0xffff, v2
	s_delay_alu instid0(VALU_DEP_1) | instskip(SKIP_1) | instid1(VALU_DEP_1)
	v_lshlrev_b64_e32 v[2:3], s0, v[12:13]
	s_add_nc_u64 s[0:1], s[0:1], 8
	v_or_b32_e32 v18, v2, v18
	s_delay_alu instid0(VALU_DEP_2)
	v_or_b32_e32 v19, v3, v19
	s_cbranch_scc1 .LBB8_849
.LBB8_850:                              ;   in Loop: Header=BB8_840 Depth=1
	s_mov_b32 s18, 0
	s_mov_b64 s[0:1], s[2:3]
	s_cbranch_execnz .LBB8_842
.LBB8_851:                              ;   in Loop: Header=BB8_840 Depth=1
	global_load_b64 v[18:19], v13, s[2:3]
	s_add_co_i32 s18, s6, -8
	s_add_nc_u64 s[0:1], s[2:3], 8
	s_wait_alu 0xfffe
	s_cmp_gt_u32 s18, 7
	s_cbranch_scc0 .LBB8_843
.LBB8_852:                              ;   in Loop: Header=BB8_840 Depth=1
                                        ; implicit-def: $vgpr20_vgpr21
                                        ; implicit-def: $sgpr19
.LBB8_853:                              ;   in Loop: Header=BB8_840 Depth=1
	global_load_b64 v[20:21], v13, s[0:1]
	s_add_co_i32 s19, s18, -8
	s_add_nc_u64 s[0:1], s[0:1], 8
.LBB8_854:                              ;   in Loop: Header=BB8_840 Depth=1
	s_wait_alu 0xfffe
	s_cmp_gt_u32 s19, 7
	s_cbranch_scc1 .LBB8_859
; %bb.855:                              ;   in Loop: Header=BB8_840 Depth=1
	v_mov_b32_e32 v22, 0
	v_mov_b32_e32 v23, 0
	s_cmp_eq_u32 s19, 0
	s_cbranch_scc1 .LBB8_858
; %bb.856:                              ;   in Loop: Header=BB8_840 Depth=1
	s_mov_b64 s[10:11], 0
	s_mov_b64 s[16:17], 0
.LBB8_857:                              ;   Parent Loop BB8_840 Depth=1
                                        ; =>  This Inner Loop Header: Depth=2
	s_wait_alu 0xfffe
	s_add_nc_u64 s[20:21], s[0:1], s[16:17]
	s_add_nc_u64 s[16:17], s[16:17], 1
	global_load_u8 v2, v13, s[20:21]
	s_wait_alu 0xfffe
	s_cmp_lg_u32 s19, s16
	s_wait_loadcnt 0x0
	v_and_b32_e32 v12, 0xffff, v2
	s_delay_alu instid0(VALU_DEP_1) | instskip(SKIP_1) | instid1(VALU_DEP_1)
	v_lshlrev_b64_e32 v[2:3], s10, v[12:13]
	s_add_nc_u64 s[10:11], s[10:11], 8
	v_or_b32_e32 v22, v2, v22
	s_delay_alu instid0(VALU_DEP_2)
	v_or_b32_e32 v23, v3, v23
	s_cbranch_scc1 .LBB8_857
.LBB8_858:                              ;   in Loop: Header=BB8_840 Depth=1
	s_mov_b32 s18, 0
	s_cbranch_execz .LBB8_860
	s_branch .LBB8_861
.LBB8_859:                              ;   in Loop: Header=BB8_840 Depth=1
                                        ; implicit-def: $sgpr18
.LBB8_860:                              ;   in Loop: Header=BB8_840 Depth=1
	global_load_b64 v[22:23], v13, s[0:1]
	s_add_co_i32 s18, s19, -8
	s_add_nc_u64 s[0:1], s[0:1], 8
.LBB8_861:                              ;   in Loop: Header=BB8_840 Depth=1
	s_wait_alu 0xfffe
	s_cmp_gt_u32 s18, 7
	s_cbranch_scc1 .LBB8_866
; %bb.862:                              ;   in Loop: Header=BB8_840 Depth=1
	v_mov_b32_e32 v24, 0
	v_mov_b32_e32 v25, 0
	s_cmp_eq_u32 s18, 0
	s_cbranch_scc1 .LBB8_865
; %bb.863:                              ;   in Loop: Header=BB8_840 Depth=1
	s_mov_b64 s[10:11], 0
	s_mov_b64 s[16:17], 0
.LBB8_864:                              ;   Parent Loop BB8_840 Depth=1
                                        ; =>  This Inner Loop Header: Depth=2
	s_wait_alu 0xfffe
	s_add_nc_u64 s[20:21], s[0:1], s[16:17]
	s_add_nc_u64 s[16:17], s[16:17], 1
	global_load_u8 v2, v13, s[20:21]
	s_wait_alu 0xfffe
	s_cmp_lg_u32 s18, s16
	s_wait_loadcnt 0x0
	v_and_b32_e32 v12, 0xffff, v2
	s_delay_alu instid0(VALU_DEP_1) | instskip(SKIP_1) | instid1(VALU_DEP_1)
	v_lshlrev_b64_e32 v[2:3], s10, v[12:13]
	s_add_nc_u64 s[10:11], s[10:11], 8
	v_or_b32_e32 v24, v2, v24
	s_delay_alu instid0(VALU_DEP_2)
	v_or_b32_e32 v25, v3, v25
	s_cbranch_scc1 .LBB8_864
.LBB8_865:                              ;   in Loop: Header=BB8_840 Depth=1
	s_mov_b32 s19, 0
	s_cbranch_execz .LBB8_867
	s_branch .LBB8_868
.LBB8_866:                              ;   in Loop: Header=BB8_840 Depth=1
                                        ; implicit-def: $vgpr24_vgpr25
                                        ; implicit-def: $sgpr19
.LBB8_867:                              ;   in Loop: Header=BB8_840 Depth=1
	global_load_b64 v[24:25], v13, s[0:1]
	s_add_co_i32 s19, s18, -8
	s_add_nc_u64 s[0:1], s[0:1], 8
.LBB8_868:                              ;   in Loop: Header=BB8_840 Depth=1
	s_wait_alu 0xfffe
	s_cmp_gt_u32 s19, 7
	s_cbranch_scc1 .LBB8_873
; %bb.869:                              ;   in Loop: Header=BB8_840 Depth=1
	v_mov_b32_e32 v26, 0
	v_mov_b32_e32 v27, 0
	s_cmp_eq_u32 s19, 0
	s_cbranch_scc1 .LBB8_872
; %bb.870:                              ;   in Loop: Header=BB8_840 Depth=1
	s_mov_b64 s[10:11], 0
	s_mov_b64 s[16:17], 0
.LBB8_871:                              ;   Parent Loop BB8_840 Depth=1
                                        ; =>  This Inner Loop Header: Depth=2
	s_wait_alu 0xfffe
	s_add_nc_u64 s[20:21], s[0:1], s[16:17]
	s_add_nc_u64 s[16:17], s[16:17], 1
	global_load_u8 v2, v13, s[20:21]
	s_wait_alu 0xfffe
	s_cmp_lg_u32 s19, s16
	s_wait_loadcnt 0x0
	v_and_b32_e32 v12, 0xffff, v2
	s_delay_alu instid0(VALU_DEP_1) | instskip(SKIP_1) | instid1(VALU_DEP_1)
	v_lshlrev_b64_e32 v[2:3], s10, v[12:13]
	s_add_nc_u64 s[10:11], s[10:11], 8
	v_or_b32_e32 v26, v2, v26
	s_delay_alu instid0(VALU_DEP_2)
	v_or_b32_e32 v27, v3, v27
	s_cbranch_scc1 .LBB8_871
.LBB8_872:                              ;   in Loop: Header=BB8_840 Depth=1
	s_mov_b32 s18, 0
	s_cbranch_execz .LBB8_874
	s_branch .LBB8_875
.LBB8_873:                              ;   in Loop: Header=BB8_840 Depth=1
                                        ; implicit-def: $sgpr18
.LBB8_874:                              ;   in Loop: Header=BB8_840 Depth=1
	global_load_b64 v[26:27], v13, s[0:1]
	s_add_co_i32 s18, s19, -8
	s_add_nc_u64 s[0:1], s[0:1], 8
.LBB8_875:                              ;   in Loop: Header=BB8_840 Depth=1
	s_wait_alu 0xfffe
	s_cmp_gt_u32 s18, 7
	s_cbranch_scc1 .LBB8_880
; %bb.876:                              ;   in Loop: Header=BB8_840 Depth=1
	v_mov_b32_e32 v28, 0
	v_mov_b32_e32 v29, 0
	s_cmp_eq_u32 s18, 0
	s_cbranch_scc1 .LBB8_879
; %bb.877:                              ;   in Loop: Header=BB8_840 Depth=1
	s_mov_b64 s[10:11], 0
	s_mov_b64 s[16:17], 0
.LBB8_878:                              ;   Parent Loop BB8_840 Depth=1
                                        ; =>  This Inner Loop Header: Depth=2
	s_wait_alu 0xfffe
	s_add_nc_u64 s[20:21], s[0:1], s[16:17]
	s_add_nc_u64 s[16:17], s[16:17], 1
	global_load_u8 v2, v13, s[20:21]
	s_wait_alu 0xfffe
	s_cmp_lg_u32 s18, s16
	s_wait_loadcnt 0x0
	v_and_b32_e32 v12, 0xffff, v2
	s_delay_alu instid0(VALU_DEP_1) | instskip(SKIP_1) | instid1(VALU_DEP_1)
	v_lshlrev_b64_e32 v[2:3], s10, v[12:13]
	s_add_nc_u64 s[10:11], s[10:11], 8
	v_or_b32_e32 v28, v2, v28
	s_delay_alu instid0(VALU_DEP_2)
	v_or_b32_e32 v29, v3, v29
	s_cbranch_scc1 .LBB8_878
.LBB8_879:                              ;   in Loop: Header=BB8_840 Depth=1
	s_mov_b32 s19, 0
	s_cbranch_execz .LBB8_881
	s_branch .LBB8_882
.LBB8_880:                              ;   in Loop: Header=BB8_840 Depth=1
                                        ; implicit-def: $vgpr28_vgpr29
                                        ; implicit-def: $sgpr19
.LBB8_881:                              ;   in Loop: Header=BB8_840 Depth=1
	global_load_b64 v[28:29], v13, s[0:1]
	s_add_co_i32 s19, s18, -8
	s_add_nc_u64 s[0:1], s[0:1], 8
.LBB8_882:                              ;   in Loop: Header=BB8_840 Depth=1
	s_wait_alu 0xfffe
	s_cmp_gt_u32 s19, 7
	s_cbranch_scc1 .LBB8_887
; %bb.883:                              ;   in Loop: Header=BB8_840 Depth=1
	v_mov_b32_e32 v30, 0
	v_mov_b32_e32 v31, 0
	s_cmp_eq_u32 s19, 0
	s_cbranch_scc1 .LBB8_886
; %bb.884:                              ;   in Loop: Header=BB8_840 Depth=1
	s_mov_b64 s[10:11], 0
	s_mov_b64 s[16:17], s[0:1]
.LBB8_885:                              ;   Parent Loop BB8_840 Depth=1
                                        ; =>  This Inner Loop Header: Depth=2
	global_load_u8 v2, v13, s[16:17]
	s_add_co_i32 s19, s19, -1
	s_wait_alu 0xfffe
	s_add_nc_u64 s[16:17], s[16:17], 1
	s_cmp_lg_u32 s19, 0
	s_wait_loadcnt 0x0
	v_and_b32_e32 v12, 0xffff, v2
	s_delay_alu instid0(VALU_DEP_1) | instskip(SKIP_1) | instid1(VALU_DEP_1)
	v_lshlrev_b64_e32 v[2:3], s10, v[12:13]
	s_add_nc_u64 s[10:11], s[10:11], 8
	v_or_b32_e32 v30, v2, v30
	s_delay_alu instid0(VALU_DEP_2)
	v_or_b32_e32 v31, v3, v31
	s_cbranch_scc1 .LBB8_885
.LBB8_886:                              ;   in Loop: Header=BB8_840 Depth=1
	s_cbranch_execz .LBB8_888
	s_branch .LBB8_889
.LBB8_887:                              ;   in Loop: Header=BB8_840 Depth=1
.LBB8_888:                              ;   in Loop: Header=BB8_840 Depth=1
	global_load_b64 v[30:31], v13, s[0:1]
.LBB8_889:                              ;   in Loop: Header=BB8_840 Depth=1
	v_readfirstlane_b32 s0, v52
	v_mov_b32_e32 v2, 0
	v_mov_b32_e32 v3, 0
	s_wait_alu 0xf1ff
	s_delay_alu instid0(VALU_DEP_3) | instskip(NEXT) | instid1(VALU_DEP_1)
	v_cmp_eq_u32_e64 s0, s0, v52
	s_and_saveexec_b32 s1, s0
	s_cbranch_execz .LBB8_895
; %bb.890:                              ;   in Loop: Header=BB8_840 Depth=1
	global_load_b64 v[34:35], v13, s[34:35] offset:24 scope:SCOPE_SYS
	s_wait_loadcnt 0x0
	global_inv scope:SCOPE_SYS
	s_clause 0x1
	global_load_b64 v[2:3], v13, s[34:35] offset:40
	global_load_b64 v[6:7], v13, s[34:35]
	s_mov_b32 s10, exec_lo
	s_wait_loadcnt 0x1
	v_and_b32_e32 v3, v3, v35
	v_and_b32_e32 v2, v2, v34
	s_delay_alu instid0(VALU_DEP_2) | instskip(NEXT) | instid1(VALU_DEP_2)
	v_mul_lo_u32 v3, 24, v3
	v_mul_lo_u32 v11, 0, v2
	v_mul_hi_u32 v12, 24, v2
	v_mul_lo_u32 v2, 24, v2
	s_delay_alu instid0(VALU_DEP_3) | instskip(SKIP_1) | instid1(VALU_DEP_2)
	v_add_nc_u32_e32 v3, v3, v11
	s_wait_loadcnt 0x0
	v_add_co_u32 v2, vcc_lo, v6, v2
	s_delay_alu instid0(VALU_DEP_2) | instskip(SKIP_1) | instid1(VALU_DEP_1)
	v_add_nc_u32_e32 v3, v3, v12
	s_wait_alu 0xfffd
	v_add_co_ci_u32_e32 v3, vcc_lo, v7, v3, vcc_lo
	global_load_b64 v[32:33], v[2:3], off scope:SCOPE_SYS
	s_wait_loadcnt 0x0
	global_atomic_cmpswap_b64 v[2:3], v13, v[32:35], s[34:35] offset:24 th:TH_ATOMIC_RETURN scope:SCOPE_SYS
	s_wait_loadcnt 0x0
	global_inv scope:SCOPE_SYS
	v_cmpx_ne_u64_e64 v[2:3], v[34:35]
	s_cbranch_execz .LBB8_894
; %bb.891:                              ;   in Loop: Header=BB8_840 Depth=1
	s_mov_b32 s11, 0
.LBB8_892:                              ;   Parent Loop BB8_840 Depth=1
                                        ; =>  This Inner Loop Header: Depth=2
	s_sleep 1
	s_clause 0x1
	global_load_b64 v[6:7], v13, s[34:35] offset:40
	global_load_b64 v[11:12], v13, s[34:35]
	v_dual_mov_b32 v35, v3 :: v_dual_mov_b32 v34, v2
	s_wait_loadcnt 0x1
	s_delay_alu instid0(VALU_DEP_1) | instskip(NEXT) | instid1(VALU_DEP_2)
	v_and_b32_e32 v2, v6, v34
	v_and_b32_e32 v6, v7, v35
	s_wait_loadcnt 0x0
	s_delay_alu instid0(VALU_DEP_2) | instskip(NEXT) | instid1(VALU_DEP_1)
	v_mad_co_u64_u32 v[2:3], null, v2, 24, v[11:12]
	v_mad_co_u64_u32 v[6:7], null, v6, 24, v[3:4]
	s_delay_alu instid0(VALU_DEP_1)
	v_mov_b32_e32 v3, v6
	global_load_b64 v[32:33], v[2:3], off scope:SCOPE_SYS
	s_wait_loadcnt 0x0
	global_atomic_cmpswap_b64 v[2:3], v13, v[32:35], s[34:35] offset:24 th:TH_ATOMIC_RETURN scope:SCOPE_SYS
	s_wait_loadcnt 0x0
	global_inv scope:SCOPE_SYS
	v_cmp_eq_u64_e32 vcc_lo, v[2:3], v[34:35]
	s_wait_alu 0xfffe
	s_or_b32 s11, vcc_lo, s11
	s_wait_alu 0xfffe
	s_and_not1_b32 exec_lo, exec_lo, s11
	s_cbranch_execnz .LBB8_892
; %bb.893:                              ;   in Loop: Header=BB8_840 Depth=1
	s_or_b32 exec_lo, exec_lo, s11
.LBB8_894:                              ;   in Loop: Header=BB8_840 Depth=1
	s_wait_alu 0xfffe
	s_or_b32 exec_lo, exec_lo, s10
.LBB8_895:                              ;   in Loop: Header=BB8_840 Depth=1
	s_wait_alu 0xfffe
	s_or_b32 exec_lo, exec_lo, s1
	s_clause 0x1
	global_load_b64 v[6:7], v13, s[34:35] offset:40
	global_load_b128 v[32:35], v13, s[34:35]
	v_readfirstlane_b32 s1, v3
	v_readfirstlane_b32 s10, v2
	s_mov_b32 s11, exec_lo
	s_wait_loadcnt 0x1
	s_wait_alu 0xf1ff
	v_and_b32_e32 v7, s1, v7
	v_and_b32_e32 v6, s10, v6
	s_delay_alu instid0(VALU_DEP_2) | instskip(NEXT) | instid1(VALU_DEP_2)
	v_mul_lo_u32 v2, 24, v7
	v_mul_lo_u32 v3, 0, v6
	v_mul_hi_u32 v11, 24, v6
	v_mul_lo_u32 v12, 24, v6
	s_delay_alu instid0(VALU_DEP_3) | instskip(NEXT) | instid1(VALU_DEP_1)
	v_add_nc_u32_e32 v2, v2, v3
	v_add_nc_u32_e32 v3, v2, v11
	s_wait_loadcnt 0x0
	s_delay_alu instid0(VALU_DEP_3) | instskip(SKIP_1) | instid1(VALU_DEP_2)
	v_add_co_u32 v2, vcc_lo, v32, v12
	s_wait_alu 0xfffd
	v_add_co_ci_u32_e32 v3, vcc_lo, v33, v3, vcc_lo
	s_and_saveexec_b32 s16, s0
	s_cbranch_execz .LBB8_897
; %bb.896:                              ;   in Loop: Header=BB8_840 Depth=1
	s_wait_alu 0xfffe
	v_mov_b32_e32 v12, s11
	global_store_b128 v[2:3], v[12:15], off offset:8
.LBB8_897:                              ;   in Loop: Header=BB8_840 Depth=1
	s_wait_alu 0xfffe
	s_or_b32 exec_lo, exec_lo, s16
	v_cmp_gt_u64_e64 vcc_lo, s[4:5], 56
	v_lshlrev_b64_e32 v[6:7], 12, v[6:7]
	v_or_b32_e32 v11, 0, v10
	v_or_b32_e32 v12, v9, v36
	s_lshl_b32 s11, s6, 2
	s_wait_alu 0xfffe
	s_add_co_i32 s11, s11, 28
	s_wait_alu 0xfffd
	v_cndmask_b32_e32 v17, v11, v10, vcc_lo
	v_cndmask_b32_e32 v9, v12, v9, vcc_lo
	v_add_co_u32 v34, vcc_lo, v34, v6
	s_wait_alu 0xfffd
	v_add_co_ci_u32_e32 v35, vcc_lo, v35, v7, vcc_lo
	s_wait_alu 0xfffe
	s_and_b32 s11, s11, 0x1e0
	v_readfirstlane_b32 s16, v34
	s_wait_alu 0xfffe
	v_and_or_b32 v16, 0xffffff1f, v9, s11
	v_readfirstlane_b32 s17, v35
	s_clause 0x3
	global_store_b128 v51, v[16:19], s[16:17]
	global_store_b128 v51, v[20:23], s[16:17] offset:16
	global_store_b128 v51, v[24:27], s[16:17] offset:32
	;; [unrolled: 1-line block ×3, first 2 shown]
	s_and_saveexec_b32 s11, s0
	s_cbranch_execz .LBB8_905
; %bb.898:                              ;   in Loop: Header=BB8_840 Depth=1
	s_clause 0x1
	global_load_b64 v[18:19], v13, s[34:35] offset:32 scope:SCOPE_SYS
	global_load_b64 v[6:7], v13, s[34:35] offset:40
	s_mov_b32 s16, exec_lo
	v_dual_mov_b32 v16, s10 :: v_dual_mov_b32 v17, s1
	s_wait_loadcnt 0x0
	v_and_b32_e32 v7, s1, v7
	v_and_b32_e32 v6, s10, v6
	s_delay_alu instid0(VALU_DEP_2) | instskip(NEXT) | instid1(VALU_DEP_2)
	v_mul_lo_u32 v7, 24, v7
	v_mul_lo_u32 v9, 0, v6
	v_mul_hi_u32 v10, 24, v6
	v_mul_lo_u32 v6, 24, v6
	s_delay_alu instid0(VALU_DEP_3) | instskip(NEXT) | instid1(VALU_DEP_2)
	v_add_nc_u32_e32 v7, v7, v9
	v_add_co_u32 v6, vcc_lo, v32, v6
	s_delay_alu instid0(VALU_DEP_2) | instskip(SKIP_1) | instid1(VALU_DEP_1)
	v_add_nc_u32_e32 v7, v7, v10
	s_wait_alu 0xfffd
	v_add_co_ci_u32_e32 v7, vcc_lo, v33, v7, vcc_lo
	global_store_b64 v[6:7], v[18:19], off
	global_wb scope:SCOPE_SYS
	s_wait_storecnt 0x0
	global_atomic_cmpswap_b64 v[11:12], v13, v[16:19], s[34:35] offset:32 th:TH_ATOMIC_RETURN scope:SCOPE_SYS
	s_wait_loadcnt 0x0
	v_cmpx_ne_u64_e64 v[11:12], v[18:19]
	s_cbranch_execz .LBB8_901
; %bb.899:                              ;   in Loop: Header=BB8_840 Depth=1
	s_mov_b32 s17, 0
.LBB8_900:                              ;   Parent Loop BB8_840 Depth=1
                                        ; =>  This Inner Loop Header: Depth=2
	v_dual_mov_b32 v9, s10 :: v_dual_mov_b32 v10, s1
	s_sleep 1
	global_store_b64 v[6:7], v[11:12], off
	global_wb scope:SCOPE_SYS
	s_wait_storecnt 0x0
	global_atomic_cmpswap_b64 v[9:10], v13, v[9:12], s[34:35] offset:32 th:TH_ATOMIC_RETURN scope:SCOPE_SYS
	s_wait_loadcnt 0x0
	v_cmp_eq_u64_e32 vcc_lo, v[9:10], v[11:12]
	v_dual_mov_b32 v12, v10 :: v_dual_mov_b32 v11, v9
	s_wait_alu 0xfffe
	s_or_b32 s17, vcc_lo, s17
	s_wait_alu 0xfffe
	s_and_not1_b32 exec_lo, exec_lo, s17
	s_cbranch_execnz .LBB8_900
.LBB8_901:                              ;   in Loop: Header=BB8_840 Depth=1
	s_wait_alu 0xfffe
	s_or_b32 exec_lo, exec_lo, s16
	global_load_b64 v[6:7], v13, s[34:35] offset:16
	s_mov_b32 s17, exec_lo
	s_mov_b32 s16, exec_lo
	s_wait_alu 0xfffe
	v_mbcnt_lo_u32_b32 v9, s17, 0
	s_delay_alu instid0(VALU_DEP_1)
	v_cmpx_eq_u32_e32 0, v9
	s_cbranch_execz .LBB8_903
; %bb.902:                              ;   in Loop: Header=BB8_840 Depth=1
	s_bcnt1_i32_b32 s17, s17
	s_wait_alu 0xfffe
	v_mov_b32_e32 v12, s17
	global_wb scope:SCOPE_SYS
	s_wait_loadcnt 0x0
	global_atomic_add_u64 v[6:7], v[12:13], off offset:8 scope:SCOPE_SYS
.LBB8_903:                              ;   in Loop: Header=BB8_840 Depth=1
	s_or_b32 exec_lo, exec_lo, s16
	s_wait_loadcnt 0x0
	global_load_b64 v[9:10], v[6:7], off offset:16
	s_wait_loadcnt 0x0
	v_cmp_eq_u64_e32 vcc_lo, 0, v[9:10]
	s_cbranch_vccnz .LBB8_905
; %bb.904:                              ;   in Loop: Header=BB8_840 Depth=1
	global_load_b32 v12, v[6:7], off offset:24
	s_wait_loadcnt 0x0
	v_and_b32_e32 v6, 0xffffff, v12
	global_wb scope:SCOPE_SYS
	s_wait_storecnt 0x0
	global_store_b64 v[9:10], v[12:13], off scope:SCOPE_SYS
	v_readfirstlane_b32 m0, v6
	s_sendmsg sendmsg(MSG_INTERRUPT)
.LBB8_905:                              ;   in Loop: Header=BB8_840 Depth=1
	s_wait_alu 0xfffe
	s_or_b32 exec_lo, exec_lo, s11
	v_add_co_u32 v6, vcc_lo, v34, v51
	s_wait_alu 0xfffd
	v_add_co_ci_u32_e32 v7, vcc_lo, 0, v35, vcc_lo
	s_branch .LBB8_909
.LBB8_906:                              ;   in Loop: Header=BB8_909 Depth=2
	s_wait_alu 0xfffe
	s_or_b32 exec_lo, exec_lo, s11
	s_delay_alu instid0(VALU_DEP_1) | instskip(NEXT) | instid1(VALU_DEP_1)
	v_readfirstlane_b32 s11, v9
	s_cmp_eq_u32 s11, 0
	s_cbranch_scc1 .LBB8_908
; %bb.907:                              ;   in Loop: Header=BB8_909 Depth=2
	s_sleep 1
	s_cbranch_execnz .LBB8_909
	s_branch .LBB8_911
.LBB8_908:                              ;   in Loop: Header=BB8_840 Depth=1
	s_branch .LBB8_911
.LBB8_909:                              ;   Parent Loop BB8_840 Depth=1
                                        ; =>  This Inner Loop Header: Depth=2
	v_mov_b32_e32 v9, 1
	s_and_saveexec_b32 s11, s0
	s_cbranch_execz .LBB8_906
; %bb.910:                              ;   in Loop: Header=BB8_909 Depth=2
	global_load_b32 v9, v[2:3], off offset:20 scope:SCOPE_SYS
	s_wait_loadcnt 0x0
	global_inv scope:SCOPE_SYS
	v_and_b32_e32 v9, 1, v9
	s_branch .LBB8_906
.LBB8_911:                              ;   in Loop: Header=BB8_840 Depth=1
	global_load_b128 v[9:12], v[6:7], off
	s_and_saveexec_b32 s11, s0
	s_cbranch_execz .LBB8_839
; %bb.912:                              ;   in Loop: Header=BB8_840 Depth=1
	s_clause 0x2
	global_load_b64 v[2:3], v13, s[34:35] offset:40
	global_load_b64 v[6:7], v13, s[34:35] offset:24 scope:SCOPE_SYS
	global_load_b64 v[11:12], v13, s[34:35]
	s_wait_loadcnt 0x2
	v_add_co_u32 v18, vcc_lo, v2, 1
	s_wait_alu 0xfffd
	v_add_co_ci_u32_e32 v19, vcc_lo, 0, v3, vcc_lo
	s_delay_alu instid0(VALU_DEP_2) | instskip(SKIP_1) | instid1(VALU_DEP_2)
	v_add_co_u32 v16, vcc_lo, v18, s10
	s_wait_alu 0xfffd
	v_add_co_ci_u32_e32 v17, vcc_lo, s1, v19, vcc_lo
	s_delay_alu instid0(VALU_DEP_1) | instskip(SKIP_2) | instid1(VALU_DEP_1)
	v_cmp_eq_u64_e32 vcc_lo, 0, v[16:17]
	s_wait_alu 0xfffd
	v_dual_cndmask_b32 v17, v17, v19 :: v_dual_cndmask_b32 v16, v16, v18
	v_and_b32_e32 v3, v17, v3
	s_delay_alu instid0(VALU_DEP_2) | instskip(NEXT) | instid1(VALU_DEP_2)
	v_and_b32_e32 v2, v16, v2
	v_mul_lo_u32 v3, 24, v3
	s_delay_alu instid0(VALU_DEP_2) | instskip(SKIP_2) | instid1(VALU_DEP_2)
	v_mul_lo_u32 v18, 0, v2
	v_mul_hi_u32 v19, 24, v2
	s_wait_loadcnt 0x1
	v_dual_mov_b32 v18, v6 :: v_dual_add_nc_u32 v3, v3, v18
	s_delay_alu instid0(VALU_DEP_1) | instskip(SKIP_3) | instid1(VALU_DEP_1)
	v_add_nc_u32_e32 v3, v3, v19
	v_mov_b32_e32 v19, v7
	v_mul_lo_u32 v2, 24, v2
	s_wait_loadcnt 0x0
	v_add_co_u32 v2, vcc_lo, v11, v2
	s_wait_alu 0xfffd
	v_add_co_ci_u32_e32 v3, vcc_lo, v12, v3, vcc_lo
	global_store_b64 v[2:3], v[6:7], off
	global_wb scope:SCOPE_SYS
	s_wait_storecnt 0x0
	global_atomic_cmpswap_b64 v[18:19], v13, v[16:19], s[34:35] offset:24 th:TH_ATOMIC_RETURN scope:SCOPE_SYS
	s_wait_loadcnt 0x0
	v_cmp_ne_u64_e32 vcc_lo, v[18:19], v[6:7]
	s_and_b32 exec_lo, exec_lo, vcc_lo
	s_cbranch_execz .LBB8_839
; %bb.913:                              ;   in Loop: Header=BB8_840 Depth=1
	s_mov_b32 s0, 0
.LBB8_914:                              ;   Parent Loop BB8_840 Depth=1
                                        ; =>  This Inner Loop Header: Depth=2
	s_sleep 1
	global_store_b64 v[2:3], v[18:19], off
	global_wb scope:SCOPE_SYS
	s_wait_storecnt 0x0
	global_atomic_cmpswap_b64 v[6:7], v13, v[16:19], s[34:35] offset:24 th:TH_ATOMIC_RETURN scope:SCOPE_SYS
	s_wait_loadcnt 0x0
	v_cmp_eq_u64_e32 vcc_lo, v[6:7], v[18:19]
	v_dual_mov_b32 v19, v7 :: v_dual_mov_b32 v18, v6
	s_wait_alu 0xfffe
	s_or_b32 s0, vcc_lo, s0
	s_wait_alu 0xfffe
	s_and_not1_b32 exec_lo, exec_lo, s0
	s_cbranch_execnz .LBB8_914
	s_branch .LBB8_839
.LBB8_915:
	s_branch .LBB8_944
.LBB8_916:
                                        ; implicit-def: $vgpr9_vgpr10
	s_cbranch_execz .LBB8_944
; %bb.917:
	v_readfirstlane_b32 s0, v52
	v_mov_b32_e32 v6, 0
	v_mov_b32_e32 v7, 0
	s_wait_alu 0xf1ff
	s_delay_alu instid0(VALU_DEP_3) | instskip(NEXT) | instid1(VALU_DEP_1)
	v_cmp_eq_u32_e64 s0, s0, v52
	s_and_saveexec_b32 s1, s0
	s_cbranch_execz .LBB8_923
; %bb.918:
	v_mov_b32_e32 v2, 0
	s_mov_b32 s2, exec_lo
	global_load_b64 v[11:12], v2, s[34:35] offset:24 scope:SCOPE_SYS
	s_wait_loadcnt 0x0
	global_inv scope:SCOPE_SYS
	s_clause 0x1
	global_load_b64 v[6:7], v2, s[34:35] offset:40
	global_load_b64 v[9:10], v2, s[34:35]
	s_wait_loadcnt 0x1
	v_and_b32_e32 v3, v7, v12
	v_and_b32_e32 v6, v6, v11
	s_delay_alu instid0(VALU_DEP_2) | instskip(NEXT) | instid1(VALU_DEP_2)
	v_mul_lo_u32 v3, 24, v3
	v_mul_lo_u32 v7, 0, v6
	v_mul_hi_u32 v13, 24, v6
	v_mul_lo_u32 v6, 24, v6
	s_delay_alu instid0(VALU_DEP_3) | instskip(SKIP_1) | instid1(VALU_DEP_2)
	v_add_nc_u32_e32 v3, v3, v7
	s_wait_loadcnt 0x0
	v_add_co_u32 v6, vcc_lo, v9, v6
	s_delay_alu instid0(VALU_DEP_2) | instskip(SKIP_1) | instid1(VALU_DEP_1)
	v_add_nc_u32_e32 v3, v3, v13
	s_wait_alu 0xfffd
	v_add_co_ci_u32_e32 v7, vcc_lo, v10, v3, vcc_lo
	global_load_b64 v[9:10], v[6:7], off scope:SCOPE_SYS
	s_wait_loadcnt 0x0
	global_atomic_cmpswap_b64 v[6:7], v2, v[9:12], s[34:35] offset:24 th:TH_ATOMIC_RETURN scope:SCOPE_SYS
	s_wait_loadcnt 0x0
	global_inv scope:SCOPE_SYS
	v_cmpx_ne_u64_e64 v[6:7], v[11:12]
	s_cbranch_execz .LBB8_922
; %bb.919:
	s_mov_b32 s3, 0
.LBB8_920:                              ; =>This Inner Loop Header: Depth=1
	s_sleep 1
	s_clause 0x1
	global_load_b64 v[9:10], v2, s[34:35] offset:40
	global_load_b64 v[13:14], v2, s[34:35]
	v_dual_mov_b32 v12, v7 :: v_dual_mov_b32 v11, v6
	s_wait_loadcnt 0x1
	s_delay_alu instid0(VALU_DEP_1) | instskip(NEXT) | instid1(VALU_DEP_2)
	v_and_b32_e32 v3, v9, v11
	v_and_b32_e32 v9, v10, v12
	s_wait_loadcnt 0x0
	s_delay_alu instid0(VALU_DEP_2) | instskip(NEXT) | instid1(VALU_DEP_1)
	v_mad_co_u64_u32 v[6:7], null, v3, 24, v[13:14]
	v_mov_b32_e32 v3, v7
	s_delay_alu instid0(VALU_DEP_1) | instskip(NEXT) | instid1(VALU_DEP_1)
	v_mad_co_u64_u32 v[9:10], null, v9, 24, v[3:4]
	v_mov_b32_e32 v7, v9
	global_load_b64 v[9:10], v[6:7], off scope:SCOPE_SYS
	s_wait_loadcnt 0x0
	global_atomic_cmpswap_b64 v[6:7], v2, v[9:12], s[34:35] offset:24 th:TH_ATOMIC_RETURN scope:SCOPE_SYS
	s_wait_loadcnt 0x0
	global_inv scope:SCOPE_SYS
	v_cmp_eq_u64_e32 vcc_lo, v[6:7], v[11:12]
	s_wait_alu 0xfffe
	s_or_b32 s3, vcc_lo, s3
	s_wait_alu 0xfffe
	s_and_not1_b32 exec_lo, exec_lo, s3
	s_cbranch_execnz .LBB8_920
; %bb.921:
	s_or_b32 exec_lo, exec_lo, s3
.LBB8_922:
	s_wait_alu 0xfffe
	s_or_b32 exec_lo, exec_lo, s2
.LBB8_923:
	s_wait_alu 0xfffe
	s_or_b32 exec_lo, exec_lo, s1
	v_readfirstlane_b32 s2, v6
	v_mov_b32_e32 v2, 0
	v_readfirstlane_b32 s1, v7
	s_mov_b32 s3, exec_lo
	s_clause 0x1
	global_load_b64 v[13:14], v2, s[34:35] offset:40
	global_load_b128 v[9:12], v2, s[34:35]
	s_wait_loadcnt 0x1
	s_wait_alu 0xf1ff
	v_and_b32_e32 v13, s2, v13
	v_and_b32_e32 v14, s1, v14
	s_delay_alu instid0(VALU_DEP_2) | instskip(NEXT) | instid1(VALU_DEP_2)
	v_mul_lo_u32 v6, 0, v13
	v_mul_lo_u32 v3, 24, v14
	v_mul_hi_u32 v7, 24, v13
	v_mul_lo_u32 v15, 24, v13
	s_delay_alu instid0(VALU_DEP_3) | instskip(SKIP_1) | instid1(VALU_DEP_2)
	v_add_nc_u32_e32 v3, v3, v6
	s_wait_loadcnt 0x0
	v_add_co_u32 v6, vcc_lo, v9, v15
	s_delay_alu instid0(VALU_DEP_2) | instskip(SKIP_1) | instid1(VALU_DEP_1)
	v_add_nc_u32_e32 v3, v3, v7
	s_wait_alu 0xfffd
	v_add_co_ci_u32_e32 v7, vcc_lo, v10, v3, vcc_lo
	s_and_saveexec_b32 s4, s0
	s_cbranch_execz .LBB8_925
; %bb.924:
	s_wait_alu 0xfffe
	v_dual_mov_b32 v15, s3 :: v_dual_mov_b32 v16, v2
	v_dual_mov_b32 v17, 2 :: v_dual_mov_b32 v18, 1
	global_store_b128 v[6:7], v[15:18], off offset:8
.LBB8_925:
	s_wait_alu 0xfffe
	s_or_b32 exec_lo, exec_lo, s4
	v_lshlrev_b64_e32 v[13:14], 12, v[13:14]
	s_mov_b32 s4, 0
	v_and_or_b32 v0, 0xffffff1f, v0, 32
	s_wait_alu 0xfffe
	s_mov_b32 s7, s4
	s_mov_b32 s5, s4
	;; [unrolled: 1-line block ×3, first 2 shown]
	v_add_co_u32 v11, vcc_lo, v11, v13
	s_wait_alu 0xfffd
	v_add_co_ci_u32_e32 v12, vcc_lo, v12, v14, vcc_lo
	s_wait_alu 0xfffe
	v_dual_mov_b32 v3, v2 :: v_dual_mov_b32 v16, s7
	v_readfirstlane_b32 s10, v11
	v_add_co_u32 v11, vcc_lo, v11, v51
	v_readfirstlane_b32 s11, v12
	s_wait_alu 0xfffd
	v_add_co_ci_u32_e32 v12, vcc_lo, 0, v12, vcc_lo
	v_dual_mov_b32 v15, s6 :: v_dual_mov_b32 v14, s5
	v_mov_b32_e32 v13, s4
	s_clause 0x3
	global_store_b128 v51, v[0:3], s[10:11]
	global_store_b128 v51, v[13:16], s[10:11] offset:16
	global_store_b128 v51, v[13:16], s[10:11] offset:32
	;; [unrolled: 1-line block ×3, first 2 shown]
	s_and_saveexec_b32 s3, s0
	s_cbranch_execz .LBB8_933
; %bb.926:
	v_mov_b32_e32 v13, 0
	v_mov_b32_e32 v15, s1
	s_mov_b32 s4, exec_lo
	s_clause 0x1
	global_load_b64 v[16:17], v13, s[34:35] offset:32 scope:SCOPE_SYS
	global_load_b64 v[0:1], v13, s[34:35] offset:40
	v_mov_b32_e32 v14, s2
	s_wait_loadcnt 0x0
	v_and_b32_e32 v0, s2, v0
	v_and_b32_e32 v1, s1, v1
	s_delay_alu instid0(VALU_DEP_2) | instskip(NEXT) | instid1(VALU_DEP_2)
	v_mul_lo_u32 v2, 0, v0
	v_mul_lo_u32 v1, 24, v1
	v_mul_hi_u32 v3, 24, v0
	v_mul_lo_u32 v0, 24, v0
	s_delay_alu instid0(VALU_DEP_3) | instskip(NEXT) | instid1(VALU_DEP_2)
	v_add_nc_u32_e32 v1, v1, v2
	v_add_co_u32 v9, vcc_lo, v9, v0
	s_delay_alu instid0(VALU_DEP_2) | instskip(SKIP_1) | instid1(VALU_DEP_1)
	v_add_nc_u32_e32 v1, v1, v3
	s_wait_alu 0xfffd
	v_add_co_ci_u32_e32 v10, vcc_lo, v10, v1, vcc_lo
	global_store_b64 v[9:10], v[16:17], off
	global_wb scope:SCOPE_SYS
	s_wait_storecnt 0x0
	global_atomic_cmpswap_b64 v[2:3], v13, v[14:17], s[34:35] offset:32 th:TH_ATOMIC_RETURN scope:SCOPE_SYS
	s_wait_loadcnt 0x0
	v_cmpx_ne_u64_e64 v[2:3], v[16:17]
	s_cbranch_execz .LBB8_929
; %bb.927:
	s_mov_b32 s5, 0
.LBB8_928:                              ; =>This Inner Loop Header: Depth=1
	v_dual_mov_b32 v0, s2 :: v_dual_mov_b32 v1, s1
	s_sleep 1
	global_store_b64 v[9:10], v[2:3], off
	global_wb scope:SCOPE_SYS
	s_wait_storecnt 0x0
	global_atomic_cmpswap_b64 v[0:1], v13, v[0:3], s[34:35] offset:32 th:TH_ATOMIC_RETURN scope:SCOPE_SYS
	s_wait_loadcnt 0x0
	v_cmp_eq_u64_e32 vcc_lo, v[0:1], v[2:3]
	v_dual_mov_b32 v3, v1 :: v_dual_mov_b32 v2, v0
	s_wait_alu 0xfffe
	s_or_b32 s5, vcc_lo, s5
	s_wait_alu 0xfffe
	s_and_not1_b32 exec_lo, exec_lo, s5
	s_cbranch_execnz .LBB8_928
.LBB8_929:
	s_wait_alu 0xfffe
	s_or_b32 exec_lo, exec_lo, s4
	v_mov_b32_e32 v3, 0
	s_mov_b32 s5, exec_lo
	s_mov_b32 s4, exec_lo
	s_wait_alu 0xfffe
	v_mbcnt_lo_u32_b32 v2, s5, 0
	global_load_b64 v[0:1], v3, s[34:35] offset:16
	v_cmpx_eq_u32_e32 0, v2
	s_cbranch_execz .LBB8_931
; %bb.930:
	s_bcnt1_i32_b32 s5, s5
	s_wait_alu 0xfffe
	v_mov_b32_e32 v2, s5
	global_wb scope:SCOPE_SYS
	s_wait_loadcnt 0x0
	global_atomic_add_u64 v[0:1], v[2:3], off offset:8 scope:SCOPE_SYS
.LBB8_931:
	s_or_b32 exec_lo, exec_lo, s4
	s_wait_loadcnt 0x0
	global_load_b64 v[2:3], v[0:1], off offset:16
	s_wait_loadcnt 0x0
	v_cmp_eq_u64_e32 vcc_lo, 0, v[2:3]
	s_cbranch_vccnz .LBB8_933
; %bb.932:
	global_load_b32 v0, v[0:1], off offset:24
	v_mov_b32_e32 v1, 0
	s_wait_loadcnt 0x0
	v_and_b32_e32 v9, 0xffffff, v0
	global_wb scope:SCOPE_SYS
	s_wait_storecnt 0x0
	global_store_b64 v[2:3], v[0:1], off scope:SCOPE_SYS
	v_readfirstlane_b32 m0, v9
	s_sendmsg sendmsg(MSG_INTERRUPT)
.LBB8_933:
	s_wait_alu 0xfffe
	s_or_b32 exec_lo, exec_lo, s3
	s_branch .LBB8_937
.LBB8_934:                              ;   in Loop: Header=BB8_937 Depth=1
	s_wait_alu 0xfffe
	s_or_b32 exec_lo, exec_lo, s3
	s_delay_alu instid0(VALU_DEP_1) | instskip(NEXT) | instid1(VALU_DEP_1)
	v_readfirstlane_b32 s3, v0
	s_cmp_eq_u32 s3, 0
	s_cbranch_scc1 .LBB8_936
; %bb.935:                              ;   in Loop: Header=BB8_937 Depth=1
	s_sleep 1
	s_cbranch_execnz .LBB8_937
	s_branch .LBB8_939
.LBB8_936:
	s_branch .LBB8_939
.LBB8_937:                              ; =>This Inner Loop Header: Depth=1
	v_mov_b32_e32 v0, 1
	s_and_saveexec_b32 s3, s0
	s_cbranch_execz .LBB8_934
; %bb.938:                              ;   in Loop: Header=BB8_937 Depth=1
	global_load_b32 v0, v[6:7], off offset:20 scope:SCOPE_SYS
	s_wait_loadcnt 0x0
	global_inv scope:SCOPE_SYS
	v_and_b32_e32 v0, 1, v0
	s_branch .LBB8_934
.LBB8_939:
	global_load_b64 v[9:10], v[11:12], off
	s_and_saveexec_b32 s3, s0
	s_cbranch_execz .LBB8_943
; %bb.940:
	v_mov_b32_e32 v11, 0
	s_clause 0x2
	global_load_b64 v[2:3], v11, s[34:35] offset:40
	global_load_b64 v[12:13], v11, s[34:35] offset:24 scope:SCOPE_SYS
	global_load_b64 v[6:7], v11, s[34:35]
	s_wait_loadcnt 0x2
	v_add_co_u32 v14, vcc_lo, v2, 1
	s_wait_alu 0xfffd
	v_add_co_ci_u32_e32 v15, vcc_lo, 0, v3, vcc_lo
	s_delay_alu instid0(VALU_DEP_2) | instskip(SKIP_1) | instid1(VALU_DEP_2)
	v_add_co_u32 v0, vcc_lo, v14, s2
	s_wait_alu 0xfffd
	v_add_co_ci_u32_e32 v1, vcc_lo, s1, v15, vcc_lo
	s_delay_alu instid0(VALU_DEP_1) | instskip(SKIP_2) | instid1(VALU_DEP_1)
	v_cmp_eq_u64_e32 vcc_lo, 0, v[0:1]
	s_wait_alu 0xfffd
	v_dual_cndmask_b32 v0, v0, v14 :: v_dual_cndmask_b32 v1, v1, v15
	v_and_b32_e32 v2, v0, v2
	s_delay_alu instid0(VALU_DEP_2) | instskip(NEXT) | instid1(VALU_DEP_2)
	v_and_b32_e32 v3, v1, v3
	v_mul_lo_u32 v14, 0, v2
	v_mul_hi_u32 v15, 24, v2
	v_mul_lo_u32 v2, 24, v2
	s_wait_loadcnt 0x0
	s_delay_alu instid0(VALU_DEP_1) | instskip(SKIP_2) | instid1(VALU_DEP_1)
	v_add_co_u32 v6, vcc_lo, v6, v2
	v_mov_b32_e32 v2, v12
	v_mul_lo_u32 v3, 24, v3
	v_add_nc_u32_e32 v3, v3, v14
	s_delay_alu instid0(VALU_DEP_1) | instskip(SKIP_1) | instid1(VALU_DEP_1)
	v_add_nc_u32_e32 v3, v3, v15
	s_wait_alu 0xfffd
	v_add_co_ci_u32_e32 v7, vcc_lo, v7, v3, vcc_lo
	v_mov_b32_e32 v3, v13
	global_store_b64 v[6:7], v[12:13], off
	global_wb scope:SCOPE_SYS
	s_wait_storecnt 0x0
	global_atomic_cmpswap_b64 v[2:3], v11, v[0:3], s[34:35] offset:24 th:TH_ATOMIC_RETURN scope:SCOPE_SYS
	s_wait_loadcnt 0x0
	v_cmp_ne_u64_e32 vcc_lo, v[2:3], v[12:13]
	s_and_b32 exec_lo, exec_lo, vcc_lo
	s_cbranch_execz .LBB8_943
; %bb.941:
	s_mov_b32 s0, 0
.LBB8_942:                              ; =>This Inner Loop Header: Depth=1
	s_sleep 1
	global_store_b64 v[6:7], v[2:3], off
	global_wb scope:SCOPE_SYS
	s_wait_storecnt 0x0
	global_atomic_cmpswap_b64 v[12:13], v11, v[0:3], s[34:35] offset:24 th:TH_ATOMIC_RETURN scope:SCOPE_SYS
	s_wait_loadcnt 0x0
	v_cmp_eq_u64_e32 vcc_lo, v[12:13], v[2:3]
	v_dual_mov_b32 v2, v12 :: v_dual_mov_b32 v3, v13
	s_wait_alu 0xfffe
	s_or_b32 s0, vcc_lo, s0
	s_wait_alu 0xfffe
	s_and_not1_b32 exec_lo, exec_lo, s0
	s_cbranch_execnz .LBB8_942
.LBB8_943:
	s_wait_alu 0xfffe
	s_or_b32 exec_lo, exec_lo, s3
.LBB8_944:
	v_readfirstlane_b32 s0, v52
	v_mov_b32_e32 v6, 0
	v_mov_b32_e32 v7, 0
	s_wait_alu 0xf1ff
	s_delay_alu instid0(VALU_DEP_3) | instskip(NEXT) | instid1(VALU_DEP_1)
	v_cmp_eq_u32_e64 s0, s0, v52
	s_and_saveexec_b32 s1, s0
	s_cbranch_execz .LBB8_950
; %bb.945:
	s_wait_loadcnt 0x0
	v_mov_b32_e32 v0, 0
	s_mov_b32 s2, exec_lo
	global_load_b64 v[13:14], v0, s[34:35] offset:24 scope:SCOPE_SYS
	s_wait_loadcnt 0x0
	global_inv scope:SCOPE_SYS
	s_clause 0x1
	global_load_b64 v[1:2], v0, s[34:35] offset:40
	global_load_b64 v[6:7], v0, s[34:35]
	s_wait_loadcnt 0x1
	v_and_b32_e32 v1, v1, v13
	v_and_b32_e32 v2, v2, v14
	s_delay_alu instid0(VALU_DEP_2) | instskip(NEXT) | instid1(VALU_DEP_2)
	v_mul_lo_u32 v3, 0, v1
	v_mul_lo_u32 v2, 24, v2
	v_mul_hi_u32 v11, 24, v1
	v_mul_lo_u32 v1, 24, v1
	s_delay_alu instid0(VALU_DEP_3) | instskip(SKIP_1) | instid1(VALU_DEP_2)
	v_add_nc_u32_e32 v2, v2, v3
	s_wait_loadcnt 0x0
	v_add_co_u32 v1, vcc_lo, v6, v1
	s_delay_alu instid0(VALU_DEP_2) | instskip(SKIP_1) | instid1(VALU_DEP_1)
	v_add_nc_u32_e32 v2, v2, v11
	s_wait_alu 0xfffd
	v_add_co_ci_u32_e32 v2, vcc_lo, v7, v2, vcc_lo
	global_load_b64 v[11:12], v[1:2], off scope:SCOPE_SYS
	s_wait_loadcnt 0x0
	global_atomic_cmpswap_b64 v[6:7], v0, v[11:14], s[34:35] offset:24 th:TH_ATOMIC_RETURN scope:SCOPE_SYS
	s_wait_loadcnt 0x0
	global_inv scope:SCOPE_SYS
	v_cmpx_ne_u64_e64 v[6:7], v[13:14]
	s_cbranch_execz .LBB8_949
; %bb.946:
	s_mov_b32 s3, 0
.LBB8_947:                              ; =>This Inner Loop Header: Depth=1
	s_sleep 1
	s_clause 0x1
	global_load_b64 v[1:2], v0, s[34:35] offset:40
	global_load_b64 v[11:12], v0, s[34:35]
	v_dual_mov_b32 v14, v7 :: v_dual_mov_b32 v13, v6
	s_wait_loadcnt 0x1
	s_delay_alu instid0(VALU_DEP_1) | instskip(SKIP_1) | instid1(VALU_DEP_1)
	v_and_b32_e32 v1, v1, v13
	s_wait_loadcnt 0x0
	v_mad_co_u64_u32 v[6:7], null, v1, 24, v[11:12]
	s_delay_alu instid0(VALU_DEP_1) | instskip(NEXT) | instid1(VALU_DEP_1)
	v_dual_mov_b32 v1, v7 :: v_dual_and_b32 v2, v2, v14
	v_mad_co_u64_u32 v[1:2], null, v2, 24, v[1:2]
	s_delay_alu instid0(VALU_DEP_1)
	v_mov_b32_e32 v7, v1
	global_load_b64 v[11:12], v[6:7], off scope:SCOPE_SYS
	s_wait_loadcnt 0x0
	global_atomic_cmpswap_b64 v[6:7], v0, v[11:14], s[34:35] offset:24 th:TH_ATOMIC_RETURN scope:SCOPE_SYS
	s_wait_loadcnt 0x0
	global_inv scope:SCOPE_SYS
	v_cmp_eq_u64_e32 vcc_lo, v[6:7], v[13:14]
	s_wait_alu 0xfffe
	s_or_b32 s3, vcc_lo, s3
	s_wait_alu 0xfffe
	s_and_not1_b32 exec_lo, exec_lo, s3
	s_cbranch_execnz .LBB8_947
; %bb.948:
	s_or_b32 exec_lo, exec_lo, s3
.LBB8_949:
	s_wait_alu 0xfffe
	s_or_b32 exec_lo, exec_lo, s2
.LBB8_950:
	s_wait_alu 0xfffe
	s_or_b32 exec_lo, exec_lo, s1
	v_readfirstlane_b32 s2, v6
	s_wait_loadcnt 0x0
	v_mov_b32_e32 v12, 0
	v_readfirstlane_b32 s1, v7
	s_mov_b32 s3, exec_lo
	s_clause 0x1
	global_load_b64 v[13:14], v12, s[34:35] offset:40
	global_load_b128 v[0:3], v12, s[34:35]
	s_wait_loadcnt 0x1
	s_wait_alu 0xf1ff
	v_and_b32_e32 v15, s2, v13
	v_and_b32_e32 v16, s1, v14
	s_delay_alu instid0(VALU_DEP_2) | instskip(NEXT) | instid1(VALU_DEP_2)
	v_mul_lo_u32 v7, 0, v15
	v_mul_lo_u32 v6, 24, v16
	v_mul_hi_u32 v11, 24, v15
	v_mul_lo_u32 v13, 24, v15
	s_delay_alu instid0(VALU_DEP_3) | instskip(NEXT) | instid1(VALU_DEP_1)
	v_add_nc_u32_e32 v6, v6, v7
	v_add_nc_u32_e32 v7, v6, v11
	s_wait_loadcnt 0x0
	s_delay_alu instid0(VALU_DEP_3) | instskip(SKIP_1) | instid1(VALU_DEP_2)
	v_add_co_u32 v6, vcc_lo, v0, v13
	s_wait_alu 0xfffd
	v_add_co_ci_u32_e32 v7, vcc_lo, v1, v7, vcc_lo
	s_and_saveexec_b32 s4, s0
	s_cbranch_execz .LBB8_952
; %bb.951:
	s_wait_alu 0xfffe
	v_dual_mov_b32 v11, s3 :: v_dual_mov_b32 v14, 1
	v_mov_b32_e32 v13, 2
	global_store_b128 v[6:7], v[11:14], off offset:8
.LBB8_952:
	s_wait_alu 0xfffe
	s_or_b32 exec_lo, exec_lo, s4
	v_lshlrev_b64_e32 v[13:14], 12, v[15:16]
	s_mov_b32 s4, 0
	v_and_or_b32 v9, 0xffffff1d, v9, 34
	s_wait_alu 0xfffe
	s_mov_b32 s7, s4
	s_mov_b32 s5, s4
	;; [unrolled: 1-line block ×3, first 2 shown]
	v_add_co_u32 v2, vcc_lo, v2, v13
	s_wait_alu 0xfffd
	v_add_co_ci_u32_e32 v3, vcc_lo, v3, v14, vcc_lo
	v_ashrrev_i32_e32 v12, 31, v8
	s_wait_alu 0xfffe
	v_dual_mov_b32 v11, v8 :: v_dual_mov_b32 v16, s7
	v_readfirstlane_b32 s10, v2
	v_readfirstlane_b32 s11, v3
	v_dual_mov_b32 v15, s6 :: v_dual_mov_b32 v14, s5
	v_mov_b32_e32 v13, s4
	s_clause 0x3
	global_store_b128 v51, v[9:12], s[10:11]
	global_store_b128 v51, v[13:16], s[10:11] offset:16
	global_store_b128 v51, v[13:16], s[10:11] offset:32
	;; [unrolled: 1-line block ×3, first 2 shown]
	s_and_saveexec_b32 s3, s0
	s_cbranch_execz .LBB8_960
; %bb.953:
	v_mov_b32_e32 v10, 0
	s_mov_b32 s4, exec_lo
	s_clause 0x1
	global_load_b64 v[13:14], v10, s[34:35] offset:32 scope:SCOPE_SYS
	global_load_b64 v[2:3], v10, s[34:35] offset:40
	v_dual_mov_b32 v11, s2 :: v_dual_mov_b32 v12, s1
	s_wait_loadcnt 0x0
	v_and_b32_e32 v3, s1, v3
	v_and_b32_e32 v2, s2, v2
	s_delay_alu instid0(VALU_DEP_2) | instskip(NEXT) | instid1(VALU_DEP_2)
	v_mul_lo_u32 v3, 24, v3
	v_mul_lo_u32 v8, 0, v2
	v_mul_hi_u32 v9, 24, v2
	v_mul_lo_u32 v2, 24, v2
	s_delay_alu instid0(VALU_DEP_3) | instskip(NEXT) | instid1(VALU_DEP_2)
	v_add_nc_u32_e32 v3, v3, v8
	v_add_co_u32 v8, vcc_lo, v0, v2
	s_delay_alu instid0(VALU_DEP_2) | instskip(SKIP_1) | instid1(VALU_DEP_1)
	v_add_nc_u32_e32 v3, v3, v9
	s_wait_alu 0xfffd
	v_add_co_ci_u32_e32 v9, vcc_lo, v1, v3, vcc_lo
	global_store_b64 v[8:9], v[13:14], off
	global_wb scope:SCOPE_SYS
	s_wait_storecnt 0x0
	global_atomic_cmpswap_b64 v[2:3], v10, v[11:14], s[34:35] offset:32 th:TH_ATOMIC_RETURN scope:SCOPE_SYS
	s_wait_loadcnt 0x0
	v_cmpx_ne_u64_e64 v[2:3], v[13:14]
	s_cbranch_execz .LBB8_956
; %bb.954:
	s_mov_b32 s5, 0
.LBB8_955:                              ; =>This Inner Loop Header: Depth=1
	v_dual_mov_b32 v0, s2 :: v_dual_mov_b32 v1, s1
	s_sleep 1
	global_store_b64 v[8:9], v[2:3], off
	global_wb scope:SCOPE_SYS
	s_wait_storecnt 0x0
	global_atomic_cmpswap_b64 v[0:1], v10, v[0:3], s[34:35] offset:32 th:TH_ATOMIC_RETURN scope:SCOPE_SYS
	s_wait_loadcnt 0x0
	v_cmp_eq_u64_e32 vcc_lo, v[0:1], v[2:3]
	v_dual_mov_b32 v3, v1 :: v_dual_mov_b32 v2, v0
	s_wait_alu 0xfffe
	s_or_b32 s5, vcc_lo, s5
	s_wait_alu 0xfffe
	s_and_not1_b32 exec_lo, exec_lo, s5
	s_cbranch_execnz .LBB8_955
.LBB8_956:
	s_wait_alu 0xfffe
	s_or_b32 exec_lo, exec_lo, s4
	v_mov_b32_e32 v3, 0
	s_mov_b32 s5, exec_lo
	s_mov_b32 s4, exec_lo
	s_wait_alu 0xfffe
	v_mbcnt_lo_u32_b32 v2, s5, 0
	global_load_b64 v[0:1], v3, s[34:35] offset:16
	v_cmpx_eq_u32_e32 0, v2
	s_cbranch_execz .LBB8_958
; %bb.957:
	s_bcnt1_i32_b32 s5, s5
	s_wait_alu 0xfffe
	v_mov_b32_e32 v2, s5
	global_wb scope:SCOPE_SYS
	s_wait_loadcnt 0x0
	global_atomic_add_u64 v[0:1], v[2:3], off offset:8 scope:SCOPE_SYS
.LBB8_958:
	s_or_b32 exec_lo, exec_lo, s4
	s_wait_loadcnt 0x0
	global_load_b64 v[2:3], v[0:1], off offset:16
	s_wait_loadcnt 0x0
	v_cmp_eq_u64_e32 vcc_lo, 0, v[2:3]
	s_cbranch_vccnz .LBB8_960
; %bb.959:
	global_load_b32 v0, v[0:1], off offset:24
	s_wait_loadcnt 0x0
	v_dual_mov_b32 v1, 0 :: v_dual_and_b32 v8, 0xffffff, v0
	global_wb scope:SCOPE_SYS
	s_wait_storecnt 0x0
	global_store_b64 v[2:3], v[0:1], off scope:SCOPE_SYS
	v_readfirstlane_b32 m0, v8
	s_sendmsg sendmsg(MSG_INTERRUPT)
.LBB8_960:
	s_wait_alu 0xfffe
	s_or_b32 exec_lo, exec_lo, s3
	s_branch .LBB8_964
.LBB8_961:                              ;   in Loop: Header=BB8_964 Depth=1
	s_wait_alu 0xfffe
	s_or_b32 exec_lo, exec_lo, s3
	s_delay_alu instid0(VALU_DEP_1) | instskip(NEXT) | instid1(VALU_DEP_1)
	v_readfirstlane_b32 s3, v0
	s_cmp_eq_u32 s3, 0
	s_cbranch_scc1 .LBB8_963
; %bb.962:                              ;   in Loop: Header=BB8_964 Depth=1
	s_sleep 1
	s_cbranch_execnz .LBB8_964
	s_branch .LBB8_966
.LBB8_963:
	s_branch .LBB8_966
.LBB8_964:                              ; =>This Inner Loop Header: Depth=1
	v_mov_b32_e32 v0, 1
	s_and_saveexec_b32 s3, s0
	s_cbranch_execz .LBB8_961
; %bb.965:                              ;   in Loop: Header=BB8_964 Depth=1
	global_load_b32 v0, v[6:7], off offset:20 scope:SCOPE_SYS
	s_wait_loadcnt 0x0
	global_inv scope:SCOPE_SYS
	v_and_b32_e32 v0, 1, v0
	s_branch .LBB8_961
.LBB8_966:
	s_and_saveexec_b32 s3, s0
	s_cbranch_execz .LBB8_970
; %bb.967:
	v_mov_b32_e32 v8, 0
	s_clause 0x2
	global_load_b64 v[2:3], v8, s[34:35] offset:40
	global_load_b64 v[9:10], v8, s[34:35] offset:24 scope:SCOPE_SYS
	global_load_b64 v[6:7], v8, s[34:35]
	s_wait_loadcnt 0x2
	v_add_co_u32 v11, vcc_lo, v2, 1
	s_wait_alu 0xfffd
	v_add_co_ci_u32_e32 v12, vcc_lo, 0, v3, vcc_lo
	s_delay_alu instid0(VALU_DEP_2) | instskip(SKIP_1) | instid1(VALU_DEP_2)
	v_add_co_u32 v0, vcc_lo, v11, s2
	s_wait_alu 0xfffd
	v_add_co_ci_u32_e32 v1, vcc_lo, s1, v12, vcc_lo
	s_delay_alu instid0(VALU_DEP_1) | instskip(SKIP_2) | instid1(VALU_DEP_1)
	v_cmp_eq_u64_e32 vcc_lo, 0, v[0:1]
	s_wait_alu 0xfffd
	v_dual_cndmask_b32 v1, v1, v12 :: v_dual_cndmask_b32 v0, v0, v11
	v_and_b32_e32 v3, v1, v3
	s_delay_alu instid0(VALU_DEP_2) | instskip(NEXT) | instid1(VALU_DEP_2)
	v_and_b32_e32 v2, v0, v2
	v_mul_lo_u32 v3, 24, v3
	s_delay_alu instid0(VALU_DEP_2) | instskip(SKIP_2) | instid1(VALU_DEP_3)
	v_mul_lo_u32 v11, 0, v2
	v_mul_hi_u32 v12, 24, v2
	v_mul_lo_u32 v2, 24, v2
	v_add_nc_u32_e32 v3, v3, v11
	s_wait_loadcnt 0x0
	s_delay_alu instid0(VALU_DEP_2) | instskip(NEXT) | instid1(VALU_DEP_2)
	v_add_co_u32 v6, vcc_lo, v6, v2
	v_dual_mov_b32 v2, v9 :: v_dual_add_nc_u32 v3, v3, v12
	s_wait_alu 0xfffd
	s_delay_alu instid0(VALU_DEP_1)
	v_add_co_ci_u32_e32 v7, vcc_lo, v7, v3, vcc_lo
	v_mov_b32_e32 v3, v10
	global_store_b64 v[6:7], v[9:10], off
	global_wb scope:SCOPE_SYS
	s_wait_storecnt 0x0
	global_atomic_cmpswap_b64 v[2:3], v8, v[0:3], s[34:35] offset:24 th:TH_ATOMIC_RETURN scope:SCOPE_SYS
	s_wait_loadcnt 0x0
	v_cmp_ne_u64_e32 vcc_lo, v[2:3], v[9:10]
	s_and_b32 exec_lo, exec_lo, vcc_lo
	s_cbranch_execz .LBB8_970
; %bb.968:
	s_mov_b32 s0, 0
.LBB8_969:                              ; =>This Inner Loop Header: Depth=1
	s_sleep 1
	global_store_b64 v[6:7], v[2:3], off
	global_wb scope:SCOPE_SYS
	s_wait_storecnt 0x0
	global_atomic_cmpswap_b64 v[9:10], v8, v[0:3], s[34:35] offset:24 th:TH_ATOMIC_RETURN scope:SCOPE_SYS
	s_wait_loadcnt 0x0
	v_cmp_eq_u64_e32 vcc_lo, v[9:10], v[2:3]
	v_dual_mov_b32 v2, v9 :: v_dual_mov_b32 v3, v10
	s_wait_alu 0xfffe
	s_or_b32 s0, vcc_lo, s0
	s_wait_alu 0xfffe
	s_and_not1_b32 exec_lo, exec_lo, s0
	s_cbranch_execnz .LBB8_969
.LBB8_970:
	s_wait_alu 0xfffe
	s_or_b32 exec_lo, exec_lo, s3
	v_readfirstlane_b32 s0, v52
	v_mov_b32_e32 v8, 0
	v_mov_b32_e32 v9, 0
	s_wait_alu 0xf1ff
	s_delay_alu instid0(VALU_DEP_3) | instskip(NEXT) | instid1(VALU_DEP_1)
	v_cmp_eq_u32_e64 s0, s0, v52
	s_and_saveexec_b32 s1, s0
	s_cbranch_execz .LBB8_976
; %bb.971:
	v_mov_b32_e32 v0, 0
	s_mov_b32 s2, exec_lo
	global_load_b64 v[10:11], v0, s[34:35] offset:24 scope:SCOPE_SYS
	s_wait_loadcnt 0x0
	global_inv scope:SCOPE_SYS
	s_clause 0x1
	global_load_b64 v[1:2], v0, s[34:35] offset:40
	global_load_b64 v[6:7], v0, s[34:35]
	s_wait_loadcnt 0x1
	v_and_b32_e32 v1, v1, v10
	v_and_b32_e32 v2, v2, v11
	s_delay_alu instid0(VALU_DEP_2) | instskip(NEXT) | instid1(VALU_DEP_2)
	v_mul_lo_u32 v3, 0, v1
	v_mul_lo_u32 v2, 24, v2
	v_mul_hi_u32 v8, 24, v1
	v_mul_lo_u32 v1, 24, v1
	s_delay_alu instid0(VALU_DEP_3) | instskip(SKIP_1) | instid1(VALU_DEP_2)
	v_add_nc_u32_e32 v2, v2, v3
	s_wait_loadcnt 0x0
	v_add_co_u32 v1, vcc_lo, v6, v1
	s_delay_alu instid0(VALU_DEP_2) | instskip(SKIP_1) | instid1(VALU_DEP_1)
	v_add_nc_u32_e32 v2, v2, v8
	s_wait_alu 0xfffd
	v_add_co_ci_u32_e32 v2, vcc_lo, v7, v2, vcc_lo
	global_load_b64 v[8:9], v[1:2], off scope:SCOPE_SYS
	s_wait_loadcnt 0x0
	global_atomic_cmpswap_b64 v[8:9], v0, v[8:11], s[34:35] offset:24 th:TH_ATOMIC_RETURN scope:SCOPE_SYS
	s_wait_loadcnt 0x0
	global_inv scope:SCOPE_SYS
	v_cmpx_ne_u64_e64 v[8:9], v[10:11]
	s_cbranch_execz .LBB8_975
; %bb.972:
	s_mov_b32 s3, 0
.LBB8_973:                              ; =>This Inner Loop Header: Depth=1
	s_sleep 1
	s_clause 0x1
	global_load_b64 v[1:2], v0, s[34:35] offset:40
	global_load_b64 v[6:7], v0, s[34:35]
	v_dual_mov_b32 v11, v9 :: v_dual_mov_b32 v10, v8
	s_wait_loadcnt 0x1
	s_delay_alu instid0(VALU_DEP_1) | instskip(SKIP_1) | instid1(VALU_DEP_1)
	v_and_b32_e32 v1, v1, v10
	s_wait_loadcnt 0x0
	v_mad_co_u64_u32 v[6:7], null, v1, 24, v[6:7]
	s_delay_alu instid0(VALU_DEP_1) | instskip(NEXT) | instid1(VALU_DEP_1)
	v_dual_mov_b32 v1, v7 :: v_dual_and_b32 v2, v2, v11
	v_mad_co_u64_u32 v[1:2], null, v2, 24, v[1:2]
	s_delay_alu instid0(VALU_DEP_1)
	v_mov_b32_e32 v7, v1
	global_load_b64 v[8:9], v[6:7], off scope:SCOPE_SYS
	s_wait_loadcnt 0x0
	global_atomic_cmpswap_b64 v[8:9], v0, v[8:11], s[34:35] offset:24 th:TH_ATOMIC_RETURN scope:SCOPE_SYS
	s_wait_loadcnt 0x0
	global_inv scope:SCOPE_SYS
	v_cmp_eq_u64_e32 vcc_lo, v[8:9], v[10:11]
	s_wait_alu 0xfffe
	s_or_b32 s3, vcc_lo, s3
	s_wait_alu 0xfffe
	s_and_not1_b32 exec_lo, exec_lo, s3
	s_cbranch_execnz .LBB8_973
; %bb.974:
	s_or_b32 exec_lo, exec_lo, s3
.LBB8_975:
	s_wait_alu 0xfffe
	s_or_b32 exec_lo, exec_lo, s2
.LBB8_976:
	s_wait_alu 0xfffe
	s_or_b32 exec_lo, exec_lo, s1
	v_readfirstlane_b32 s2, v8
	v_mov_b32_e32 v7, 0
	v_readfirstlane_b32 s1, v9
	s_mov_b32 s3, exec_lo
	s_clause 0x1
	global_load_b64 v[10:11], v7, s[34:35] offset:40
	global_load_b128 v[0:3], v7, s[34:35]
	s_wait_loadcnt 0x1
	s_wait_alu 0xf1ff
	v_and_b32_e32 v12, s2, v10
	v_and_b32_e32 v13, s1, v11
	s_delay_alu instid0(VALU_DEP_2) | instskip(NEXT) | instid1(VALU_DEP_2)
	v_mul_lo_u32 v8, 0, v12
	v_mul_lo_u32 v6, 24, v13
	v_mul_hi_u32 v9, 24, v12
	v_mul_lo_u32 v10, 24, v12
	s_delay_alu instid0(VALU_DEP_3) | instskip(SKIP_1) | instid1(VALU_DEP_2)
	v_add_nc_u32_e32 v6, v6, v8
	s_wait_loadcnt 0x0
	v_add_co_u32 v10, vcc_lo, v0, v10
	s_delay_alu instid0(VALU_DEP_2) | instskip(SKIP_1) | instid1(VALU_DEP_1)
	v_add_nc_u32_e32 v6, v6, v9
	s_wait_alu 0xfffd
	v_add_co_ci_u32_e32 v11, vcc_lo, v1, v6, vcc_lo
	s_and_saveexec_b32 s4, s0
	s_cbranch_execz .LBB8_978
; %bb.977:
	s_wait_alu 0xfffe
	v_dual_mov_b32 v6, s3 :: v_dual_mov_b32 v9, 1
	v_mov_b32_e32 v8, 2
	global_store_b128 v[10:11], v[6:9], off offset:8
.LBB8_978:
	s_wait_alu 0xfffe
	s_or_b32 exec_lo, exec_lo, s4
	v_lshlrev_b64_e32 v[12:13], 12, v[12:13]
	s_mov_b32 s4, 0
	v_dual_mov_b32 v6, 33 :: v_dual_mov_b32 v9, v7
	s_wait_alu 0xfffe
	s_mov_b32 s7, s4
	s_mov_b32 s5, s4
	v_add_co_u32 v2, vcc_lo, v2, v12
	s_wait_alu 0xfffd
	v_add_co_ci_u32_e32 v3, vcc_lo, v3, v13, vcc_lo
	s_mov_b32 s6, s4
	s_delay_alu instid0(VALU_DEP_2)
	v_add_co_u32 v12, vcc_lo, v2, v51
	s_wait_alu 0xfffe
	v_dual_mov_b32 v8, v7 :: v_dual_mov_b32 v17, s7
	v_readfirstlane_b32 s10, v2
	v_readfirstlane_b32 s11, v3
	s_wait_alu 0xfffd
	v_add_co_ci_u32_e32 v13, vcc_lo, 0, v3, vcc_lo
	v_dual_mov_b32 v16, s6 :: v_dual_mov_b32 v15, s5
	v_mov_b32_e32 v14, s4
	s_clause 0x3
	global_store_b128 v51, v[6:9], s[10:11]
	global_store_b128 v51, v[14:17], s[10:11] offset:16
	global_store_b128 v51, v[14:17], s[10:11] offset:32
	;; [unrolled: 1-line block ×3, first 2 shown]
	s_and_saveexec_b32 s3, s0
	s_cbranch_execz .LBB8_986
; %bb.979:
	v_mov_b32_e32 v8, 0
	s_mov_b32 s4, exec_lo
	s_clause 0x1
	global_load_b64 v[16:17], v8, s[34:35] offset:32 scope:SCOPE_SYS
	global_load_b64 v[2:3], v8, s[34:35] offset:40
	v_dual_mov_b32 v15, s1 :: v_dual_mov_b32 v14, s2
	s_wait_loadcnt 0x0
	v_and_b32_e32 v3, s1, v3
	v_and_b32_e32 v2, s2, v2
	s_delay_alu instid0(VALU_DEP_2) | instskip(NEXT) | instid1(VALU_DEP_2)
	v_mul_lo_u32 v3, 24, v3
	v_mul_lo_u32 v6, 0, v2
	v_mul_hi_u32 v7, 24, v2
	v_mul_lo_u32 v2, 24, v2
	s_delay_alu instid0(VALU_DEP_3) | instskip(NEXT) | instid1(VALU_DEP_2)
	v_add_nc_u32_e32 v3, v3, v6
	v_add_co_u32 v6, vcc_lo, v0, v2
	s_delay_alu instid0(VALU_DEP_2) | instskip(SKIP_1) | instid1(VALU_DEP_1)
	v_add_nc_u32_e32 v3, v3, v7
	s_wait_alu 0xfffd
	v_add_co_ci_u32_e32 v7, vcc_lo, v1, v3, vcc_lo
	global_store_b64 v[6:7], v[16:17], off
	global_wb scope:SCOPE_SYS
	s_wait_storecnt 0x0
	global_atomic_cmpswap_b64 v[2:3], v8, v[14:17], s[34:35] offset:32 th:TH_ATOMIC_RETURN scope:SCOPE_SYS
	s_wait_loadcnt 0x0
	v_cmpx_ne_u64_e64 v[2:3], v[16:17]
	s_cbranch_execz .LBB8_982
; %bb.980:
	s_mov_b32 s5, 0
.LBB8_981:                              ; =>This Inner Loop Header: Depth=1
	v_dual_mov_b32 v0, s2 :: v_dual_mov_b32 v1, s1
	s_sleep 1
	global_store_b64 v[6:7], v[2:3], off
	global_wb scope:SCOPE_SYS
	s_wait_storecnt 0x0
	global_atomic_cmpswap_b64 v[0:1], v8, v[0:3], s[34:35] offset:32 th:TH_ATOMIC_RETURN scope:SCOPE_SYS
	s_wait_loadcnt 0x0
	v_cmp_eq_u64_e32 vcc_lo, v[0:1], v[2:3]
	v_dual_mov_b32 v3, v1 :: v_dual_mov_b32 v2, v0
	s_wait_alu 0xfffe
	s_or_b32 s5, vcc_lo, s5
	s_wait_alu 0xfffe
	s_and_not1_b32 exec_lo, exec_lo, s5
	s_cbranch_execnz .LBB8_981
.LBB8_982:
	s_wait_alu 0xfffe
	s_or_b32 exec_lo, exec_lo, s4
	v_mov_b32_e32 v3, 0
	s_mov_b32 s5, exec_lo
	s_mov_b32 s4, exec_lo
	s_wait_alu 0xfffe
	v_mbcnt_lo_u32_b32 v2, s5, 0
	global_load_b64 v[0:1], v3, s[34:35] offset:16
	v_cmpx_eq_u32_e32 0, v2
	s_cbranch_execz .LBB8_984
; %bb.983:
	s_bcnt1_i32_b32 s5, s5
	s_wait_alu 0xfffe
	v_mov_b32_e32 v2, s5
	global_wb scope:SCOPE_SYS
	s_wait_loadcnt 0x0
	global_atomic_add_u64 v[0:1], v[2:3], off offset:8 scope:SCOPE_SYS
.LBB8_984:
	s_or_b32 exec_lo, exec_lo, s4
	s_wait_loadcnt 0x0
	global_load_b64 v[2:3], v[0:1], off offset:16
	s_wait_loadcnt 0x0
	v_cmp_eq_u64_e32 vcc_lo, 0, v[2:3]
	s_cbranch_vccnz .LBB8_986
; %bb.985:
	global_load_b32 v0, v[0:1], off offset:24
	s_wait_loadcnt 0x0
	v_dual_mov_b32 v1, 0 :: v_dual_and_b32 v6, 0xffffff, v0
	global_wb scope:SCOPE_SYS
	s_wait_storecnt 0x0
	global_store_b64 v[2:3], v[0:1], off scope:SCOPE_SYS
	v_readfirstlane_b32 m0, v6
	s_sendmsg sendmsg(MSG_INTERRUPT)
.LBB8_986:
	s_wait_alu 0xfffe
	s_or_b32 exec_lo, exec_lo, s3
	s_branch .LBB8_990
.LBB8_987:                              ;   in Loop: Header=BB8_990 Depth=1
	s_wait_alu 0xfffe
	s_or_b32 exec_lo, exec_lo, s3
	s_delay_alu instid0(VALU_DEP_1) | instskip(NEXT) | instid1(VALU_DEP_1)
	v_readfirstlane_b32 s3, v0
	s_cmp_eq_u32 s3, 0
	s_cbranch_scc1 .LBB8_989
; %bb.988:                              ;   in Loop: Header=BB8_990 Depth=1
	s_sleep 1
	s_cbranch_execnz .LBB8_990
	s_branch .LBB8_992
.LBB8_989:
	s_branch .LBB8_992
.LBB8_990:                              ; =>This Inner Loop Header: Depth=1
	v_mov_b32_e32 v0, 1
	s_and_saveexec_b32 s3, s0
	s_cbranch_execz .LBB8_987
; %bb.991:                              ;   in Loop: Header=BB8_990 Depth=1
	global_load_b32 v0, v[10:11], off offset:20 scope:SCOPE_SYS
	s_wait_loadcnt 0x0
	global_inv scope:SCOPE_SYS
	v_and_b32_e32 v0, 1, v0
	s_branch .LBB8_987
.LBB8_992:
	global_load_b64 v[0:1], v[12:13], off
	s_and_saveexec_b32 s3, s0
	s_cbranch_execz .LBB8_996
; %bb.993:
	v_mov_b32_e32 v10, 0
	s_clause 0x2
	global_load_b64 v[2:3], v10, s[34:35] offset:40
	global_load_b64 v[11:12], v10, s[34:35] offset:24 scope:SCOPE_SYS
	global_load_b64 v[8:9], v10, s[34:35]
	s_wait_loadcnt 0x2
	v_add_co_u32 v13, vcc_lo, v2, 1
	s_wait_alu 0xfffd
	v_add_co_ci_u32_e32 v14, vcc_lo, 0, v3, vcc_lo
	s_delay_alu instid0(VALU_DEP_2) | instskip(SKIP_1) | instid1(VALU_DEP_2)
	v_add_co_u32 v6, vcc_lo, v13, s2
	s_wait_alu 0xfffd
	v_add_co_ci_u32_e32 v7, vcc_lo, s1, v14, vcc_lo
	s_delay_alu instid0(VALU_DEP_1) | instskip(SKIP_2) | instid1(VALU_DEP_1)
	v_cmp_eq_u64_e32 vcc_lo, 0, v[6:7]
	s_wait_alu 0xfffd
	v_dual_cndmask_b32 v7, v7, v14 :: v_dual_cndmask_b32 v6, v6, v13
	v_and_b32_e32 v3, v7, v3
	s_delay_alu instid0(VALU_DEP_2) | instskip(NEXT) | instid1(VALU_DEP_2)
	v_and_b32_e32 v2, v6, v2
	v_mul_lo_u32 v3, 24, v3
	s_delay_alu instid0(VALU_DEP_2) | instskip(SKIP_2) | instid1(VALU_DEP_3)
	v_mul_lo_u32 v13, 0, v2
	v_mul_hi_u32 v14, 24, v2
	v_mul_lo_u32 v2, 24, v2
	v_add_nc_u32_e32 v3, v3, v13
	s_wait_loadcnt 0x0
	s_delay_alu instid0(VALU_DEP_2) | instskip(SKIP_1) | instid1(VALU_DEP_3)
	v_add_co_u32 v2, vcc_lo, v8, v2
	v_mov_b32_e32 v8, v11
	v_add_nc_u32_e32 v3, v3, v14
	s_wait_alu 0xfffd
	s_delay_alu instid0(VALU_DEP_1)
	v_add_co_ci_u32_e32 v3, vcc_lo, v9, v3, vcc_lo
	v_mov_b32_e32 v9, v12
	global_store_b64 v[2:3], v[11:12], off
	global_wb scope:SCOPE_SYS
	s_wait_storecnt 0x0
	global_atomic_cmpswap_b64 v[8:9], v10, v[6:9], s[34:35] offset:24 th:TH_ATOMIC_RETURN scope:SCOPE_SYS
	s_wait_loadcnt 0x0
	v_cmp_ne_u64_e32 vcc_lo, v[8:9], v[11:12]
	s_and_b32 exec_lo, exec_lo, vcc_lo
	s_cbranch_execz .LBB8_996
; %bb.994:
	s_mov_b32 s0, 0
.LBB8_995:                              ; =>This Inner Loop Header: Depth=1
	s_sleep 1
	global_store_b64 v[2:3], v[8:9], off
	global_wb scope:SCOPE_SYS
	s_wait_storecnt 0x0
	global_atomic_cmpswap_b64 v[11:12], v10, v[6:9], s[34:35] offset:24 th:TH_ATOMIC_RETURN scope:SCOPE_SYS
	s_wait_loadcnt 0x0
	v_cmp_eq_u64_e32 vcc_lo, v[11:12], v[8:9]
	v_dual_mov_b32 v8, v11 :: v_dual_mov_b32 v9, v12
	s_wait_alu 0xfffe
	s_or_b32 s0, vcc_lo, s0
	s_wait_alu 0xfffe
	s_and_not1_b32 exec_lo, exec_lo, s0
	s_cbranch_execnz .LBB8_995
.LBB8_996:
	s_wait_alu 0xfffe
	s_or_b32 exec_lo, exec_lo, s3
	s_delay_alu instid0(SALU_CYCLE_1)
	s_and_b32 vcc_lo, exec_lo, s38
	s_wait_alu 0xfffe
	s_cbranch_vccz .LBB8_1075
; %bb.997:
	s_wait_loadcnt 0x0
	v_dual_mov_b32 v10, 0 :: v_dual_and_b32 v33, 2, v0
	v_dual_mov_b32 v7, v1 :: v_dual_and_b32 v6, -3, v0
	v_dual_mov_b32 v11, 2 :: v_dual_mov_b32 v12, 1
	s_mov_b64 s[4:5], 3
	s_getpc_b64 s[2:3]
	s_wait_alu 0xfffe
	s_sext_i32_i16 s3, s3
	s_add_co_u32 s2, s2, .str.8@rel32@lo+12
	s_wait_alu 0xfffe
	s_add_co_ci_u32 s3, s3, .str.8@rel32@hi+24
	s_branch .LBB8_999
.LBB8_998:                              ;   in Loop: Header=BB8_999 Depth=1
	s_wait_alu 0xfffe
	s_or_b32 exec_lo, exec_lo, s11
	s_sub_nc_u64 s[4:5], s[4:5], s[6:7]
	s_add_nc_u64 s[2:3], s[2:3], s[6:7]
	s_wait_alu 0xfffe
	s_cmp_lg_u64 s[4:5], 0
	s_cbranch_scc0 .LBB8_1074
.LBB8_999:                              ; =>This Loop Header: Depth=1
                                        ;     Child Loop BB8_1008 Depth 2
                                        ;     Child Loop BB8_1004 Depth 2
	;; [unrolled: 1-line block ×11, first 2 shown]
	v_cmp_lt_u64_e64 s0, s[4:5], 56
	v_cmp_gt_u64_e64 s1, s[4:5], 7
                                        ; implicit-def: $vgpr15_vgpr16
                                        ; implicit-def: $sgpr18
	s_delay_alu instid0(VALU_DEP_2) | instskip(SKIP_2) | instid1(VALU_DEP_1)
	s_and_b32 s0, s0, exec_lo
	s_cselect_b32 s7, s5, 0
	s_cselect_b32 s6, s4, 56
	s_and_b32 vcc_lo, exec_lo, s1
	s_mov_b32 s0, -1
	s_wait_alu 0xfffe
	s_cbranch_vccz .LBB8_1006
; %bb.1000:                             ;   in Loop: Header=BB8_999 Depth=1
	s_and_not1_b32 vcc_lo, exec_lo, s0
	s_mov_b64 s[0:1], s[2:3]
	s_wait_alu 0xfffe
	s_cbranch_vccz .LBB8_1010
.LBB8_1001:                             ;   in Loop: Header=BB8_999 Depth=1
	s_wait_alu 0xfffe
	s_cmp_gt_u32 s18, 7
	s_cbranch_scc1 .LBB8_1011
.LBB8_1002:                             ;   in Loop: Header=BB8_999 Depth=1
	v_mov_b32_e32 v17, 0
	v_mov_b32_e32 v18, 0
	s_cmp_eq_u32 s18, 0
	s_cbranch_scc1 .LBB8_1005
; %bb.1003:                             ;   in Loop: Header=BB8_999 Depth=1
	s_mov_b64 s[10:11], 0
	s_mov_b64 s[16:17], 0
.LBB8_1004:                             ;   Parent Loop BB8_999 Depth=1
                                        ; =>  This Inner Loop Header: Depth=2
	s_wait_alu 0xfffe
	s_add_nc_u64 s[20:21], s[0:1], s[16:17]
	s_add_nc_u64 s[16:17], s[16:17], 1
	global_load_u8 v2, v10, s[20:21]
	s_wait_alu 0xfffe
	s_cmp_lg_u32 s18, s16
	s_wait_loadcnt 0x0
	v_and_b32_e32 v9, 0xffff, v2
	s_delay_alu instid0(VALU_DEP_1) | instskip(SKIP_1) | instid1(VALU_DEP_1)
	v_lshlrev_b64_e32 v[2:3], s10, v[9:10]
	s_add_nc_u64 s[10:11], s[10:11], 8
	v_or_b32_e32 v17, v2, v17
	s_delay_alu instid0(VALU_DEP_2)
	v_or_b32_e32 v18, v3, v18
	s_cbranch_scc1 .LBB8_1004
.LBB8_1005:                             ;   in Loop: Header=BB8_999 Depth=1
	s_mov_b32 s19, 0
	s_cbranch_execz .LBB8_1012
	s_branch .LBB8_1013
.LBB8_1006:                             ;   in Loop: Header=BB8_999 Depth=1
	v_mov_b32_e32 v15, 0
	v_mov_b32_e32 v16, 0
	s_cmp_eq_u64 s[4:5], 0
	s_mov_b64 s[0:1], 0
	s_cbranch_scc1 .LBB8_1009
; %bb.1007:                             ;   in Loop: Header=BB8_999 Depth=1
	v_mov_b32_e32 v15, 0
	v_mov_b32_e32 v16, 0
	s_mov_b64 s[10:11], 0
.LBB8_1008:                             ;   Parent Loop BB8_999 Depth=1
                                        ; =>  This Inner Loop Header: Depth=2
	s_wait_alu 0xfffe
	s_add_nc_u64 s[16:17], s[2:3], s[10:11]
	s_add_nc_u64 s[10:11], s[10:11], 1
	global_load_u8 v2, v10, s[16:17]
	s_wait_alu 0xfffe
	s_cmp_lg_u32 s6, s10
	s_wait_loadcnt 0x0
	v_and_b32_e32 v9, 0xffff, v2
	s_delay_alu instid0(VALU_DEP_1) | instskip(SKIP_1) | instid1(VALU_DEP_1)
	v_lshlrev_b64_e32 v[2:3], s0, v[9:10]
	s_add_nc_u64 s[0:1], s[0:1], 8
	v_or_b32_e32 v15, v2, v15
	s_delay_alu instid0(VALU_DEP_2)
	v_or_b32_e32 v16, v3, v16
	s_cbranch_scc1 .LBB8_1008
.LBB8_1009:                             ;   in Loop: Header=BB8_999 Depth=1
	s_mov_b32 s18, 0
	s_mov_b64 s[0:1], s[2:3]
	s_cbranch_execnz .LBB8_1001
.LBB8_1010:                             ;   in Loop: Header=BB8_999 Depth=1
	global_load_b64 v[15:16], v10, s[2:3]
	s_add_co_i32 s18, s6, -8
	s_add_nc_u64 s[0:1], s[2:3], 8
	s_wait_alu 0xfffe
	s_cmp_gt_u32 s18, 7
	s_cbranch_scc0 .LBB8_1002
.LBB8_1011:                             ;   in Loop: Header=BB8_999 Depth=1
                                        ; implicit-def: $vgpr17_vgpr18
                                        ; implicit-def: $sgpr19
.LBB8_1012:                             ;   in Loop: Header=BB8_999 Depth=1
	global_load_b64 v[17:18], v10, s[0:1]
	s_add_co_i32 s19, s18, -8
	s_add_nc_u64 s[0:1], s[0:1], 8
.LBB8_1013:                             ;   in Loop: Header=BB8_999 Depth=1
	s_wait_alu 0xfffe
	s_cmp_gt_u32 s19, 7
	s_cbranch_scc1 .LBB8_1018
; %bb.1014:                             ;   in Loop: Header=BB8_999 Depth=1
	v_mov_b32_e32 v19, 0
	v_mov_b32_e32 v20, 0
	s_cmp_eq_u32 s19, 0
	s_cbranch_scc1 .LBB8_1017
; %bb.1015:                             ;   in Loop: Header=BB8_999 Depth=1
	s_mov_b64 s[10:11], 0
	s_mov_b64 s[16:17], 0
.LBB8_1016:                             ;   Parent Loop BB8_999 Depth=1
                                        ; =>  This Inner Loop Header: Depth=2
	s_wait_alu 0xfffe
	s_add_nc_u64 s[20:21], s[0:1], s[16:17]
	s_add_nc_u64 s[16:17], s[16:17], 1
	global_load_u8 v2, v10, s[20:21]
	s_wait_alu 0xfffe
	s_cmp_lg_u32 s19, s16
	s_wait_loadcnt 0x0
	v_and_b32_e32 v9, 0xffff, v2
	s_delay_alu instid0(VALU_DEP_1) | instskip(SKIP_1) | instid1(VALU_DEP_1)
	v_lshlrev_b64_e32 v[2:3], s10, v[9:10]
	s_add_nc_u64 s[10:11], s[10:11], 8
	v_or_b32_e32 v19, v2, v19
	s_delay_alu instid0(VALU_DEP_2)
	v_or_b32_e32 v20, v3, v20
	s_cbranch_scc1 .LBB8_1016
.LBB8_1017:                             ;   in Loop: Header=BB8_999 Depth=1
	s_mov_b32 s18, 0
	s_cbranch_execz .LBB8_1019
	s_branch .LBB8_1020
.LBB8_1018:                             ;   in Loop: Header=BB8_999 Depth=1
                                        ; implicit-def: $sgpr18
.LBB8_1019:                             ;   in Loop: Header=BB8_999 Depth=1
	global_load_b64 v[19:20], v10, s[0:1]
	s_add_co_i32 s18, s19, -8
	s_add_nc_u64 s[0:1], s[0:1], 8
.LBB8_1020:                             ;   in Loop: Header=BB8_999 Depth=1
	s_wait_alu 0xfffe
	s_cmp_gt_u32 s18, 7
	s_cbranch_scc1 .LBB8_1025
; %bb.1021:                             ;   in Loop: Header=BB8_999 Depth=1
	v_mov_b32_e32 v21, 0
	v_mov_b32_e32 v22, 0
	s_cmp_eq_u32 s18, 0
	s_cbranch_scc1 .LBB8_1024
; %bb.1022:                             ;   in Loop: Header=BB8_999 Depth=1
	s_mov_b64 s[10:11], 0
	s_mov_b64 s[16:17], 0
.LBB8_1023:                             ;   Parent Loop BB8_999 Depth=1
                                        ; =>  This Inner Loop Header: Depth=2
	s_wait_alu 0xfffe
	s_add_nc_u64 s[20:21], s[0:1], s[16:17]
	s_add_nc_u64 s[16:17], s[16:17], 1
	global_load_u8 v2, v10, s[20:21]
	s_wait_alu 0xfffe
	s_cmp_lg_u32 s18, s16
	s_wait_loadcnt 0x0
	v_and_b32_e32 v9, 0xffff, v2
	s_delay_alu instid0(VALU_DEP_1) | instskip(SKIP_1) | instid1(VALU_DEP_1)
	v_lshlrev_b64_e32 v[2:3], s10, v[9:10]
	s_add_nc_u64 s[10:11], s[10:11], 8
	v_or_b32_e32 v21, v2, v21
	s_delay_alu instid0(VALU_DEP_2)
	v_or_b32_e32 v22, v3, v22
	s_cbranch_scc1 .LBB8_1023
.LBB8_1024:                             ;   in Loop: Header=BB8_999 Depth=1
	s_mov_b32 s19, 0
	s_cbranch_execz .LBB8_1026
	s_branch .LBB8_1027
.LBB8_1025:                             ;   in Loop: Header=BB8_999 Depth=1
                                        ; implicit-def: $vgpr21_vgpr22
                                        ; implicit-def: $sgpr19
.LBB8_1026:                             ;   in Loop: Header=BB8_999 Depth=1
	global_load_b64 v[21:22], v10, s[0:1]
	s_add_co_i32 s19, s18, -8
	s_add_nc_u64 s[0:1], s[0:1], 8
.LBB8_1027:                             ;   in Loop: Header=BB8_999 Depth=1
	s_wait_alu 0xfffe
	s_cmp_gt_u32 s19, 7
	s_cbranch_scc1 .LBB8_1032
; %bb.1028:                             ;   in Loop: Header=BB8_999 Depth=1
	v_mov_b32_e32 v23, 0
	v_mov_b32_e32 v24, 0
	s_cmp_eq_u32 s19, 0
	s_cbranch_scc1 .LBB8_1031
; %bb.1029:                             ;   in Loop: Header=BB8_999 Depth=1
	s_mov_b64 s[10:11], 0
	s_mov_b64 s[16:17], 0
.LBB8_1030:                             ;   Parent Loop BB8_999 Depth=1
                                        ; =>  This Inner Loop Header: Depth=2
	s_wait_alu 0xfffe
	s_add_nc_u64 s[20:21], s[0:1], s[16:17]
	s_add_nc_u64 s[16:17], s[16:17], 1
	global_load_u8 v2, v10, s[20:21]
	s_wait_alu 0xfffe
	s_cmp_lg_u32 s19, s16
	s_wait_loadcnt 0x0
	v_and_b32_e32 v9, 0xffff, v2
	s_delay_alu instid0(VALU_DEP_1) | instskip(SKIP_1) | instid1(VALU_DEP_1)
	v_lshlrev_b64_e32 v[2:3], s10, v[9:10]
	s_add_nc_u64 s[10:11], s[10:11], 8
	v_or_b32_e32 v23, v2, v23
	s_delay_alu instid0(VALU_DEP_2)
	v_or_b32_e32 v24, v3, v24
	s_cbranch_scc1 .LBB8_1030
.LBB8_1031:                             ;   in Loop: Header=BB8_999 Depth=1
	s_mov_b32 s18, 0
	s_cbranch_execz .LBB8_1033
	s_branch .LBB8_1034
.LBB8_1032:                             ;   in Loop: Header=BB8_999 Depth=1
                                        ; implicit-def: $sgpr18
.LBB8_1033:                             ;   in Loop: Header=BB8_999 Depth=1
	global_load_b64 v[23:24], v10, s[0:1]
	s_add_co_i32 s18, s19, -8
	s_add_nc_u64 s[0:1], s[0:1], 8
.LBB8_1034:                             ;   in Loop: Header=BB8_999 Depth=1
	s_wait_alu 0xfffe
	s_cmp_gt_u32 s18, 7
	s_cbranch_scc1 .LBB8_1039
; %bb.1035:                             ;   in Loop: Header=BB8_999 Depth=1
	v_mov_b32_e32 v25, 0
	v_mov_b32_e32 v26, 0
	s_cmp_eq_u32 s18, 0
	s_cbranch_scc1 .LBB8_1038
; %bb.1036:                             ;   in Loop: Header=BB8_999 Depth=1
	s_mov_b64 s[10:11], 0
	s_mov_b64 s[16:17], 0
.LBB8_1037:                             ;   Parent Loop BB8_999 Depth=1
                                        ; =>  This Inner Loop Header: Depth=2
	s_wait_alu 0xfffe
	s_add_nc_u64 s[20:21], s[0:1], s[16:17]
	s_add_nc_u64 s[16:17], s[16:17], 1
	global_load_u8 v2, v10, s[20:21]
	s_wait_alu 0xfffe
	s_cmp_lg_u32 s18, s16
	s_wait_loadcnt 0x0
	v_and_b32_e32 v9, 0xffff, v2
	s_delay_alu instid0(VALU_DEP_1) | instskip(SKIP_1) | instid1(VALU_DEP_1)
	v_lshlrev_b64_e32 v[2:3], s10, v[9:10]
	s_add_nc_u64 s[10:11], s[10:11], 8
	v_or_b32_e32 v25, v2, v25
	s_delay_alu instid0(VALU_DEP_2)
	v_or_b32_e32 v26, v3, v26
	s_cbranch_scc1 .LBB8_1037
.LBB8_1038:                             ;   in Loop: Header=BB8_999 Depth=1
	s_mov_b32 s19, 0
	s_cbranch_execz .LBB8_1040
	s_branch .LBB8_1041
.LBB8_1039:                             ;   in Loop: Header=BB8_999 Depth=1
                                        ; implicit-def: $vgpr25_vgpr26
                                        ; implicit-def: $sgpr19
.LBB8_1040:                             ;   in Loop: Header=BB8_999 Depth=1
	global_load_b64 v[25:26], v10, s[0:1]
	s_add_co_i32 s19, s18, -8
	s_add_nc_u64 s[0:1], s[0:1], 8
.LBB8_1041:                             ;   in Loop: Header=BB8_999 Depth=1
	s_wait_alu 0xfffe
	s_cmp_gt_u32 s19, 7
	s_cbranch_scc1 .LBB8_1046
; %bb.1042:                             ;   in Loop: Header=BB8_999 Depth=1
	v_mov_b32_e32 v27, 0
	v_mov_b32_e32 v28, 0
	s_cmp_eq_u32 s19, 0
	s_cbranch_scc1 .LBB8_1045
; %bb.1043:                             ;   in Loop: Header=BB8_999 Depth=1
	s_mov_b64 s[10:11], 0
	s_mov_b64 s[16:17], s[0:1]
.LBB8_1044:                             ;   Parent Loop BB8_999 Depth=1
                                        ; =>  This Inner Loop Header: Depth=2
	global_load_u8 v2, v10, s[16:17]
	s_add_co_i32 s19, s19, -1
	s_wait_alu 0xfffe
	s_add_nc_u64 s[16:17], s[16:17], 1
	s_cmp_lg_u32 s19, 0
	s_wait_loadcnt 0x0
	v_and_b32_e32 v9, 0xffff, v2
	s_delay_alu instid0(VALU_DEP_1) | instskip(SKIP_1) | instid1(VALU_DEP_1)
	v_lshlrev_b64_e32 v[2:3], s10, v[9:10]
	s_add_nc_u64 s[10:11], s[10:11], 8
	v_or_b32_e32 v27, v2, v27
	s_delay_alu instid0(VALU_DEP_2)
	v_or_b32_e32 v28, v3, v28
	s_cbranch_scc1 .LBB8_1044
.LBB8_1045:                             ;   in Loop: Header=BB8_999 Depth=1
	s_cbranch_execz .LBB8_1047
	s_branch .LBB8_1048
.LBB8_1046:                             ;   in Loop: Header=BB8_999 Depth=1
.LBB8_1047:                             ;   in Loop: Header=BB8_999 Depth=1
	global_load_b64 v[27:28], v10, s[0:1]
.LBB8_1048:                             ;   in Loop: Header=BB8_999 Depth=1
	v_readfirstlane_b32 s0, v52
	v_mov_b32_e32 v2, 0
	v_mov_b32_e32 v3, 0
	s_wait_alu 0xf1ff
	s_delay_alu instid0(VALU_DEP_3) | instskip(NEXT) | instid1(VALU_DEP_1)
	v_cmp_eq_u32_e64 s0, s0, v52
	s_and_saveexec_b32 s1, s0
	s_cbranch_execz .LBB8_1054
; %bb.1049:                             ;   in Loop: Header=BB8_999 Depth=1
	global_load_b64 v[31:32], v10, s[34:35] offset:24 scope:SCOPE_SYS
	s_wait_loadcnt 0x0
	global_inv scope:SCOPE_SYS
	s_clause 0x1
	global_load_b64 v[2:3], v10, s[34:35] offset:40
	global_load_b64 v[8:9], v10, s[34:35]
	s_mov_b32 s10, exec_lo
	s_wait_loadcnt 0x1
	v_and_b32_e32 v3, v3, v32
	v_and_b32_e32 v2, v2, v31
	s_delay_alu instid0(VALU_DEP_2) | instskip(NEXT) | instid1(VALU_DEP_2)
	v_mul_lo_u32 v3, 24, v3
	v_mul_lo_u32 v13, 0, v2
	v_mul_hi_u32 v14, 24, v2
	v_mul_lo_u32 v2, 24, v2
	s_delay_alu instid0(VALU_DEP_3) | instskip(SKIP_1) | instid1(VALU_DEP_2)
	v_add_nc_u32_e32 v3, v3, v13
	s_wait_loadcnt 0x0
	v_add_co_u32 v2, vcc_lo, v8, v2
	s_delay_alu instid0(VALU_DEP_2) | instskip(SKIP_1) | instid1(VALU_DEP_1)
	v_add_nc_u32_e32 v3, v3, v14
	s_wait_alu 0xfffd
	v_add_co_ci_u32_e32 v3, vcc_lo, v9, v3, vcc_lo
	global_load_b64 v[29:30], v[2:3], off scope:SCOPE_SYS
	s_wait_loadcnt 0x0
	global_atomic_cmpswap_b64 v[2:3], v10, v[29:32], s[34:35] offset:24 th:TH_ATOMIC_RETURN scope:SCOPE_SYS
	s_wait_loadcnt 0x0
	global_inv scope:SCOPE_SYS
	v_cmpx_ne_u64_e64 v[2:3], v[31:32]
	s_cbranch_execz .LBB8_1053
; %bb.1050:                             ;   in Loop: Header=BB8_999 Depth=1
	s_mov_b32 s11, 0
.LBB8_1051:                             ;   Parent Loop BB8_999 Depth=1
                                        ; =>  This Inner Loop Header: Depth=2
	s_sleep 1
	s_clause 0x1
	global_load_b64 v[8:9], v10, s[34:35] offset:40
	global_load_b64 v[13:14], v10, s[34:35]
	v_dual_mov_b32 v32, v3 :: v_dual_mov_b32 v31, v2
	s_wait_loadcnt 0x1
	s_delay_alu instid0(VALU_DEP_1) | instskip(NEXT) | instid1(VALU_DEP_2)
	v_and_b32_e32 v2, v8, v31
	v_and_b32_e32 v8, v9, v32
	s_wait_loadcnt 0x0
	s_delay_alu instid0(VALU_DEP_2) | instskip(NEXT) | instid1(VALU_DEP_1)
	v_mad_co_u64_u32 v[2:3], null, v2, 24, v[13:14]
	v_mad_co_u64_u32 v[8:9], null, v8, 24, v[3:4]
	s_delay_alu instid0(VALU_DEP_1)
	v_mov_b32_e32 v3, v8
	global_load_b64 v[29:30], v[2:3], off scope:SCOPE_SYS
	s_wait_loadcnt 0x0
	global_atomic_cmpswap_b64 v[2:3], v10, v[29:32], s[34:35] offset:24 th:TH_ATOMIC_RETURN scope:SCOPE_SYS
	s_wait_loadcnt 0x0
	global_inv scope:SCOPE_SYS
	v_cmp_eq_u64_e32 vcc_lo, v[2:3], v[31:32]
	s_wait_alu 0xfffe
	s_or_b32 s11, vcc_lo, s11
	s_wait_alu 0xfffe
	s_and_not1_b32 exec_lo, exec_lo, s11
	s_cbranch_execnz .LBB8_1051
; %bb.1052:                             ;   in Loop: Header=BB8_999 Depth=1
	s_or_b32 exec_lo, exec_lo, s11
.LBB8_1053:                             ;   in Loop: Header=BB8_999 Depth=1
	s_wait_alu 0xfffe
	s_or_b32 exec_lo, exec_lo, s10
.LBB8_1054:                             ;   in Loop: Header=BB8_999 Depth=1
	s_wait_alu 0xfffe
	s_or_b32 exec_lo, exec_lo, s1
	s_clause 0x1
	global_load_b64 v[8:9], v10, s[34:35] offset:40
	global_load_b128 v[29:32], v10, s[34:35]
	v_readfirstlane_b32 s1, v3
	v_readfirstlane_b32 s10, v2
	s_mov_b32 s11, exec_lo
	s_wait_loadcnt 0x1
	s_wait_alu 0xf1ff
	v_and_b32_e32 v14, s1, v9
	v_and_b32_e32 v13, s10, v8
	s_delay_alu instid0(VALU_DEP_2) | instskip(NEXT) | instid1(VALU_DEP_2)
	v_mul_lo_u32 v2, 24, v14
	v_mul_lo_u32 v3, 0, v13
	v_mul_hi_u32 v8, 24, v13
	v_mul_lo_u32 v9, 24, v13
	s_delay_alu instid0(VALU_DEP_3) | instskip(NEXT) | instid1(VALU_DEP_1)
	v_add_nc_u32_e32 v2, v2, v3
	v_add_nc_u32_e32 v3, v2, v8
	s_wait_loadcnt 0x0
	s_delay_alu instid0(VALU_DEP_3) | instskip(SKIP_1) | instid1(VALU_DEP_2)
	v_add_co_u32 v2, vcc_lo, v29, v9
	s_wait_alu 0xfffd
	v_add_co_ci_u32_e32 v3, vcc_lo, v30, v3, vcc_lo
	s_and_saveexec_b32 s16, s0
	s_cbranch_execz .LBB8_1056
; %bb.1055:                             ;   in Loop: Header=BB8_999 Depth=1
	s_wait_alu 0xfffe
	v_mov_b32_e32 v9, s11
	global_store_b128 v[2:3], v[9:12], off offset:8
.LBB8_1056:                             ;   in Loop: Header=BB8_999 Depth=1
	s_wait_alu 0xfffe
	s_or_b32 exec_lo, exec_lo, s16
	v_cmp_gt_u64_e64 vcc_lo, s[4:5], 56
	v_lshlrev_b64_e32 v[8:9], 12, v[13:14]
	v_or_b32_e32 v34, 0, v7
	v_or_b32_e32 v35, v6, v33
	s_lshl_b32 s11, s6, 2
	s_wait_alu 0xfffe
	s_add_co_i32 s11, s11, 28
	s_wait_alu 0xfffd
	v_cndmask_b32_e32 v14, v34, v7, vcc_lo
	v_cndmask_b32_e32 v6, v35, v6, vcc_lo
	v_add_co_u32 v31, vcc_lo, v31, v8
	s_wait_alu 0xfffd
	v_add_co_ci_u32_e32 v32, vcc_lo, v32, v9, vcc_lo
	s_wait_alu 0xfffe
	s_and_b32 s11, s11, 0x1e0
	v_readfirstlane_b32 s16, v31
	s_wait_alu 0xfffe
	v_and_or_b32 v13, 0xffffff1f, v6, s11
	v_readfirstlane_b32 s17, v32
	s_clause 0x3
	global_store_b128 v51, v[13:16], s[16:17]
	global_store_b128 v51, v[17:20], s[16:17] offset:16
	global_store_b128 v51, v[21:24], s[16:17] offset:32
	;; [unrolled: 1-line block ×3, first 2 shown]
	s_and_saveexec_b32 s11, s0
	s_cbranch_execz .LBB8_1064
; %bb.1057:                             ;   in Loop: Header=BB8_999 Depth=1
	s_clause 0x1
	global_load_b64 v[17:18], v10, s[34:35] offset:32 scope:SCOPE_SYS
	global_load_b64 v[6:7], v10, s[34:35] offset:40
	s_mov_b32 s16, exec_lo
	v_dual_mov_b32 v15, s10 :: v_dual_mov_b32 v16, s1
	s_wait_loadcnt 0x0
	v_and_b32_e32 v7, s1, v7
	v_and_b32_e32 v6, s10, v6
	s_delay_alu instid0(VALU_DEP_2) | instskip(NEXT) | instid1(VALU_DEP_2)
	v_mul_lo_u32 v7, 24, v7
	v_mul_lo_u32 v8, 0, v6
	v_mul_hi_u32 v9, 24, v6
	v_mul_lo_u32 v6, 24, v6
	s_delay_alu instid0(VALU_DEP_3) | instskip(NEXT) | instid1(VALU_DEP_2)
	v_add_nc_u32_e32 v7, v7, v8
	v_add_co_u32 v13, vcc_lo, v29, v6
	s_delay_alu instid0(VALU_DEP_2) | instskip(SKIP_1) | instid1(VALU_DEP_1)
	v_add_nc_u32_e32 v7, v7, v9
	s_wait_alu 0xfffd
	v_add_co_ci_u32_e32 v14, vcc_lo, v30, v7, vcc_lo
	global_store_b64 v[13:14], v[17:18], off
	global_wb scope:SCOPE_SYS
	s_wait_storecnt 0x0
	global_atomic_cmpswap_b64 v[8:9], v10, v[15:18], s[34:35] offset:32 th:TH_ATOMIC_RETURN scope:SCOPE_SYS
	s_wait_loadcnt 0x0
	v_cmpx_ne_u64_e64 v[8:9], v[17:18]
	s_cbranch_execz .LBB8_1060
; %bb.1058:                             ;   in Loop: Header=BB8_999 Depth=1
	s_mov_b32 s17, 0
.LBB8_1059:                             ;   Parent Loop BB8_999 Depth=1
                                        ; =>  This Inner Loop Header: Depth=2
	v_dual_mov_b32 v6, s10 :: v_dual_mov_b32 v7, s1
	s_sleep 1
	global_store_b64 v[13:14], v[8:9], off
	global_wb scope:SCOPE_SYS
	s_wait_storecnt 0x0
	global_atomic_cmpswap_b64 v[6:7], v10, v[6:9], s[34:35] offset:32 th:TH_ATOMIC_RETURN scope:SCOPE_SYS
	s_wait_loadcnt 0x0
	v_cmp_eq_u64_e32 vcc_lo, v[6:7], v[8:9]
	v_dual_mov_b32 v9, v7 :: v_dual_mov_b32 v8, v6
	s_wait_alu 0xfffe
	s_or_b32 s17, vcc_lo, s17
	s_wait_alu 0xfffe
	s_and_not1_b32 exec_lo, exec_lo, s17
	s_cbranch_execnz .LBB8_1059
.LBB8_1060:                             ;   in Loop: Header=BB8_999 Depth=1
	s_wait_alu 0xfffe
	s_or_b32 exec_lo, exec_lo, s16
	global_load_b64 v[6:7], v10, s[34:35] offset:16
	s_mov_b32 s17, exec_lo
	s_mov_b32 s16, exec_lo
	s_wait_alu 0xfffe
	v_mbcnt_lo_u32_b32 v8, s17, 0
	s_delay_alu instid0(VALU_DEP_1)
	v_cmpx_eq_u32_e32 0, v8
	s_cbranch_execz .LBB8_1062
; %bb.1061:                             ;   in Loop: Header=BB8_999 Depth=1
	s_bcnt1_i32_b32 s17, s17
	s_wait_alu 0xfffe
	v_mov_b32_e32 v9, s17
	global_wb scope:SCOPE_SYS
	s_wait_loadcnt 0x0
	global_atomic_add_u64 v[6:7], v[9:10], off offset:8 scope:SCOPE_SYS
.LBB8_1062:                             ;   in Loop: Header=BB8_999 Depth=1
	s_or_b32 exec_lo, exec_lo, s16
	s_wait_loadcnt 0x0
	global_load_b64 v[13:14], v[6:7], off offset:16
	s_wait_loadcnt 0x0
	v_cmp_eq_u64_e32 vcc_lo, 0, v[13:14]
	s_cbranch_vccnz .LBB8_1064
; %bb.1063:                             ;   in Loop: Header=BB8_999 Depth=1
	global_load_b32 v9, v[6:7], off offset:24
	s_wait_loadcnt 0x0
	v_and_b32_e32 v6, 0xffffff, v9
	global_wb scope:SCOPE_SYS
	s_wait_storecnt 0x0
	global_store_b64 v[13:14], v[9:10], off scope:SCOPE_SYS
	v_readfirstlane_b32 m0, v6
	s_sendmsg sendmsg(MSG_INTERRUPT)
.LBB8_1064:                             ;   in Loop: Header=BB8_999 Depth=1
	s_wait_alu 0xfffe
	s_or_b32 exec_lo, exec_lo, s11
	v_add_co_u32 v6, vcc_lo, v31, v51
	s_wait_alu 0xfffd
	v_add_co_ci_u32_e32 v7, vcc_lo, 0, v32, vcc_lo
	s_branch .LBB8_1068
.LBB8_1065:                             ;   in Loop: Header=BB8_1068 Depth=2
	s_wait_alu 0xfffe
	s_or_b32 exec_lo, exec_lo, s11
	s_delay_alu instid0(VALU_DEP_1) | instskip(NEXT) | instid1(VALU_DEP_1)
	v_readfirstlane_b32 s11, v8
	s_cmp_eq_u32 s11, 0
	s_cbranch_scc1 .LBB8_1067
; %bb.1066:                             ;   in Loop: Header=BB8_1068 Depth=2
	s_sleep 1
	s_cbranch_execnz .LBB8_1068
	s_branch .LBB8_1070
.LBB8_1067:                             ;   in Loop: Header=BB8_999 Depth=1
	s_branch .LBB8_1070
.LBB8_1068:                             ;   Parent Loop BB8_999 Depth=1
                                        ; =>  This Inner Loop Header: Depth=2
	v_mov_b32_e32 v8, 1
	s_and_saveexec_b32 s11, s0
	s_cbranch_execz .LBB8_1065
; %bb.1069:                             ;   in Loop: Header=BB8_1068 Depth=2
	global_load_b32 v8, v[2:3], off offset:20 scope:SCOPE_SYS
	s_wait_loadcnt 0x0
	global_inv scope:SCOPE_SYS
	v_and_b32_e32 v8, 1, v8
	s_branch .LBB8_1065
.LBB8_1070:                             ;   in Loop: Header=BB8_999 Depth=1
	global_load_b128 v[6:9], v[6:7], off
	s_and_saveexec_b32 s11, s0
	s_cbranch_execz .LBB8_998
; %bb.1071:                             ;   in Loop: Header=BB8_999 Depth=1
	s_clause 0x2
	global_load_b64 v[2:3], v10, s[34:35] offset:40
	global_load_b64 v[8:9], v10, s[34:35] offset:24 scope:SCOPE_SYS
	global_load_b64 v[15:16], v10, s[34:35]
	s_wait_loadcnt 0x2
	v_add_co_u32 v17, vcc_lo, v2, 1
	s_wait_alu 0xfffd
	v_add_co_ci_u32_e32 v18, vcc_lo, 0, v3, vcc_lo
	s_delay_alu instid0(VALU_DEP_2) | instskip(SKIP_1) | instid1(VALU_DEP_2)
	v_add_co_u32 v13, vcc_lo, v17, s10
	s_wait_alu 0xfffd
	v_add_co_ci_u32_e32 v14, vcc_lo, s1, v18, vcc_lo
	s_delay_alu instid0(VALU_DEP_1) | instskip(SKIP_2) | instid1(VALU_DEP_1)
	v_cmp_eq_u64_e32 vcc_lo, 0, v[13:14]
	s_wait_alu 0xfffd
	v_dual_cndmask_b32 v14, v14, v18 :: v_dual_cndmask_b32 v13, v13, v17
	v_and_b32_e32 v3, v14, v3
	s_delay_alu instid0(VALU_DEP_2) | instskip(NEXT) | instid1(VALU_DEP_2)
	v_and_b32_e32 v2, v13, v2
	v_mul_lo_u32 v3, 24, v3
	s_delay_alu instid0(VALU_DEP_2) | instskip(SKIP_2) | instid1(VALU_DEP_3)
	v_mul_lo_u32 v17, 0, v2
	v_mul_hi_u32 v18, 24, v2
	v_mul_lo_u32 v2, 24, v2
	v_add_nc_u32_e32 v3, v3, v17
	s_wait_loadcnt 0x0
	s_delay_alu instid0(VALU_DEP_2) | instskip(SKIP_1) | instid1(VALU_DEP_3)
	v_add_co_u32 v2, vcc_lo, v15, v2
	v_mov_b32_e32 v15, v8
	v_add_nc_u32_e32 v3, v3, v18
	s_wait_alu 0xfffd
	s_delay_alu instid0(VALU_DEP_1)
	v_add_co_ci_u32_e32 v3, vcc_lo, v16, v3, vcc_lo
	v_mov_b32_e32 v16, v9
	global_store_b64 v[2:3], v[8:9], off
	global_wb scope:SCOPE_SYS
	s_wait_storecnt 0x0
	global_atomic_cmpswap_b64 v[15:16], v10, v[13:16], s[34:35] offset:24 th:TH_ATOMIC_RETURN scope:SCOPE_SYS
	s_wait_loadcnt 0x0
	v_cmp_ne_u64_e32 vcc_lo, v[15:16], v[8:9]
	s_and_b32 exec_lo, exec_lo, vcc_lo
	s_cbranch_execz .LBB8_998
; %bb.1072:                             ;   in Loop: Header=BB8_999 Depth=1
	s_mov_b32 s0, 0
.LBB8_1073:                             ;   Parent Loop BB8_999 Depth=1
                                        ; =>  This Inner Loop Header: Depth=2
	s_sleep 1
	global_store_b64 v[2:3], v[15:16], off
	global_wb scope:SCOPE_SYS
	s_wait_storecnt 0x0
	global_atomic_cmpswap_b64 v[8:9], v10, v[13:16], s[34:35] offset:24 th:TH_ATOMIC_RETURN scope:SCOPE_SYS
	s_wait_loadcnt 0x0
	v_cmp_eq_u64_e32 vcc_lo, v[8:9], v[15:16]
	v_dual_mov_b32 v16, v9 :: v_dual_mov_b32 v15, v8
	s_wait_alu 0xfffe
	s_or_b32 s0, vcc_lo, s0
	s_wait_alu 0xfffe
	s_and_not1_b32 exec_lo, exec_lo, s0
	s_cbranch_execnz .LBB8_1073
	s_branch .LBB8_998
.LBB8_1074:
	s_branch .LBB8_1103
.LBB8_1075:
                                        ; implicit-def: $vgpr6_vgpr7
	s_cbranch_execz .LBB8_1103
; %bb.1076:
	v_readfirstlane_b32 s0, v52
	v_mov_b32_e32 v10, 0
	v_mov_b32_e32 v11, 0
	s_wait_alu 0xf1ff
	s_delay_alu instid0(VALU_DEP_3) | instskip(NEXT) | instid1(VALU_DEP_1)
	v_cmp_eq_u32_e64 s0, s0, v52
	s_and_saveexec_b32 s1, s0
	s_cbranch_execz .LBB8_1082
; %bb.1077:
	v_mov_b32_e32 v2, 0
	s_mov_b32 s2, exec_lo
	global_load_b64 v[8:9], v2, s[34:35] offset:24 scope:SCOPE_SYS
	s_wait_loadcnt 0x0
	global_inv scope:SCOPE_SYS
	s_clause 0x1
	global_load_b64 v[6:7], v2, s[34:35] offset:40
	global_load_b64 v[10:11], v2, s[34:35]
	s_wait_loadcnt 0x1
	v_and_b32_e32 v3, v7, v9
	v_and_b32_e32 v6, v6, v8
	s_delay_alu instid0(VALU_DEP_2) | instskip(NEXT) | instid1(VALU_DEP_2)
	v_mul_lo_u32 v3, 24, v3
	v_mul_lo_u32 v7, 0, v6
	v_mul_hi_u32 v12, 24, v6
	v_mul_lo_u32 v6, 24, v6
	s_delay_alu instid0(VALU_DEP_3) | instskip(SKIP_1) | instid1(VALU_DEP_2)
	v_add_nc_u32_e32 v3, v3, v7
	s_wait_loadcnt 0x0
	v_add_co_u32 v6, vcc_lo, v10, v6
	s_delay_alu instid0(VALU_DEP_2) | instskip(SKIP_1) | instid1(VALU_DEP_1)
	v_add_nc_u32_e32 v3, v3, v12
	s_wait_alu 0xfffd
	v_add_co_ci_u32_e32 v7, vcc_lo, v11, v3, vcc_lo
	global_load_b64 v[6:7], v[6:7], off scope:SCOPE_SYS
	s_wait_loadcnt 0x0
	global_atomic_cmpswap_b64 v[10:11], v2, v[6:9], s[34:35] offset:24 th:TH_ATOMIC_RETURN scope:SCOPE_SYS
	s_wait_loadcnt 0x0
	global_inv scope:SCOPE_SYS
	v_cmpx_ne_u64_e64 v[10:11], v[8:9]
	s_cbranch_execz .LBB8_1081
; %bb.1078:
	s_mov_b32 s3, 0
.LBB8_1079:                             ; =>This Inner Loop Header: Depth=1
	s_sleep 1
	s_clause 0x1
	global_load_b64 v[6:7], v2, s[34:35] offset:40
	global_load_b64 v[12:13], v2, s[34:35]
	v_dual_mov_b32 v8, v10 :: v_dual_mov_b32 v9, v11
	s_wait_loadcnt 0x1
	s_delay_alu instid0(VALU_DEP_1) | instskip(NEXT) | instid1(VALU_DEP_2)
	v_and_b32_e32 v3, v6, v8
	v_and_b32_e32 v6, v7, v9
	s_wait_loadcnt 0x0
	s_delay_alu instid0(VALU_DEP_2) | instskip(NEXT) | instid1(VALU_DEP_1)
	v_mad_co_u64_u32 v[10:11], null, v3, 24, v[12:13]
	v_mov_b32_e32 v3, v11
	s_delay_alu instid0(VALU_DEP_1) | instskip(NEXT) | instid1(VALU_DEP_1)
	v_mad_co_u64_u32 v[6:7], null, v6, 24, v[3:4]
	v_mov_b32_e32 v11, v6
	global_load_b64 v[6:7], v[10:11], off scope:SCOPE_SYS
	s_wait_loadcnt 0x0
	global_atomic_cmpswap_b64 v[10:11], v2, v[6:9], s[34:35] offset:24 th:TH_ATOMIC_RETURN scope:SCOPE_SYS
	s_wait_loadcnt 0x0
	global_inv scope:SCOPE_SYS
	v_cmp_eq_u64_e32 vcc_lo, v[10:11], v[8:9]
	s_wait_alu 0xfffe
	s_or_b32 s3, vcc_lo, s3
	s_wait_alu 0xfffe
	s_and_not1_b32 exec_lo, exec_lo, s3
	s_cbranch_execnz .LBB8_1079
; %bb.1080:
	s_or_b32 exec_lo, exec_lo, s3
.LBB8_1081:
	s_wait_alu 0xfffe
	s_or_b32 exec_lo, exec_lo, s2
.LBB8_1082:
	s_wait_alu 0xfffe
	s_or_b32 exec_lo, exec_lo, s1
	v_readfirstlane_b32 s1, v11
	v_mov_b32_e32 v2, 0
	v_readfirstlane_b32 s2, v10
	s_mov_b32 s3, exec_lo
	s_clause 0x1
	global_load_b64 v[12:13], v2, s[34:35] offset:40
	global_load_b128 v[6:9], v2, s[34:35]
	s_wait_loadcnt 0x1
	s_wait_alu 0xf1ff
	v_and_b32_e32 v13, s1, v13
	v_and_b32_e32 v12, s2, v12
	s_delay_alu instid0(VALU_DEP_2) | instskip(NEXT) | instid1(VALU_DEP_2)
	v_mul_lo_u32 v3, 24, v13
	v_mul_lo_u32 v10, 0, v12
	v_mul_hi_u32 v11, 24, v12
	v_mul_lo_u32 v14, 24, v12
	s_delay_alu instid0(VALU_DEP_3) | instskip(SKIP_1) | instid1(VALU_DEP_2)
	v_add_nc_u32_e32 v3, v3, v10
	s_wait_loadcnt 0x0
	v_add_co_u32 v10, vcc_lo, v6, v14
	s_delay_alu instid0(VALU_DEP_2) | instskip(SKIP_1) | instid1(VALU_DEP_1)
	v_add_nc_u32_e32 v3, v3, v11
	s_wait_alu 0xfffd
	v_add_co_ci_u32_e32 v11, vcc_lo, v7, v3, vcc_lo
	s_and_saveexec_b32 s4, s0
	s_cbranch_execz .LBB8_1084
; %bb.1083:
	s_wait_alu 0xfffe
	v_dual_mov_b32 v14, s3 :: v_dual_mov_b32 v15, v2
	v_dual_mov_b32 v16, 2 :: v_dual_mov_b32 v17, 1
	global_store_b128 v[10:11], v[14:17], off offset:8
.LBB8_1084:
	s_wait_alu 0xfffe
	s_or_b32 exec_lo, exec_lo, s4
	v_lshlrev_b64_e32 v[12:13], 12, v[12:13]
	s_mov_b32 s4, 0
	v_and_or_b32 v0, 0xffffff1f, v0, 32
	s_wait_alu 0xfffe
	s_mov_b32 s7, s4
	s_mov_b32 s5, s4
	;; [unrolled: 1-line block ×3, first 2 shown]
	v_add_co_u32 v8, vcc_lo, v8, v12
	s_wait_alu 0xfffd
	v_add_co_ci_u32_e32 v9, vcc_lo, v9, v13, vcc_lo
	v_mov_b32_e32 v3, v2
	s_delay_alu instid0(VALU_DEP_3) | instskip(SKIP_1) | instid1(VALU_DEP_4)
	v_readfirstlane_b32 s10, v8
	v_add_co_u32 v8, vcc_lo, v8, v51
	v_readfirstlane_b32 s11, v9
	s_wait_alu 0xfffe
	v_dual_mov_b32 v15, s7 :: v_dual_mov_b32 v12, s4
	s_wait_alu 0xfffd
	v_add_co_ci_u32_e32 v9, vcc_lo, 0, v9, vcc_lo
	v_dual_mov_b32 v14, s6 :: v_dual_mov_b32 v13, s5
	s_clause 0x3
	global_store_b128 v51, v[0:3], s[10:11]
	global_store_b128 v51, v[12:15], s[10:11] offset:16
	global_store_b128 v51, v[12:15], s[10:11] offset:32
	;; [unrolled: 1-line block ×3, first 2 shown]
	s_and_saveexec_b32 s3, s0
	s_cbranch_execz .LBB8_1092
; %bb.1085:
	v_mov_b32_e32 v12, 0
	s_mov_b32 s4, exec_lo
	s_clause 0x1
	global_load_b64 v[15:16], v12, s[34:35] offset:32 scope:SCOPE_SYS
	global_load_b64 v[0:1], v12, s[34:35] offset:40
	v_dual_mov_b32 v13, s2 :: v_dual_mov_b32 v14, s1
	s_wait_loadcnt 0x0
	v_and_b32_e32 v1, s1, v1
	v_and_b32_e32 v0, s2, v0
	s_delay_alu instid0(VALU_DEP_2) | instskip(NEXT) | instid1(VALU_DEP_2)
	v_mul_lo_u32 v1, 24, v1
	v_mul_lo_u32 v2, 0, v0
	v_mul_hi_u32 v3, 24, v0
	v_mul_lo_u32 v0, 24, v0
	s_delay_alu instid0(VALU_DEP_3) | instskip(NEXT) | instid1(VALU_DEP_2)
	v_add_nc_u32_e32 v1, v1, v2
	v_add_co_u32 v6, vcc_lo, v6, v0
	s_delay_alu instid0(VALU_DEP_2) | instskip(SKIP_1) | instid1(VALU_DEP_1)
	v_add_nc_u32_e32 v1, v1, v3
	s_wait_alu 0xfffd
	v_add_co_ci_u32_e32 v7, vcc_lo, v7, v1, vcc_lo
	global_store_b64 v[6:7], v[15:16], off
	global_wb scope:SCOPE_SYS
	s_wait_storecnt 0x0
	global_atomic_cmpswap_b64 v[2:3], v12, v[13:16], s[34:35] offset:32 th:TH_ATOMIC_RETURN scope:SCOPE_SYS
	s_wait_loadcnt 0x0
	v_cmpx_ne_u64_e64 v[2:3], v[15:16]
	s_cbranch_execz .LBB8_1088
; %bb.1086:
	s_mov_b32 s5, 0
.LBB8_1087:                             ; =>This Inner Loop Header: Depth=1
	v_dual_mov_b32 v0, s2 :: v_dual_mov_b32 v1, s1
	s_sleep 1
	global_store_b64 v[6:7], v[2:3], off
	global_wb scope:SCOPE_SYS
	s_wait_storecnt 0x0
	global_atomic_cmpswap_b64 v[0:1], v12, v[0:3], s[34:35] offset:32 th:TH_ATOMIC_RETURN scope:SCOPE_SYS
	s_wait_loadcnt 0x0
	v_cmp_eq_u64_e32 vcc_lo, v[0:1], v[2:3]
	v_dual_mov_b32 v3, v1 :: v_dual_mov_b32 v2, v0
	s_wait_alu 0xfffe
	s_or_b32 s5, vcc_lo, s5
	s_wait_alu 0xfffe
	s_and_not1_b32 exec_lo, exec_lo, s5
	s_cbranch_execnz .LBB8_1087
.LBB8_1088:
	s_wait_alu 0xfffe
	s_or_b32 exec_lo, exec_lo, s4
	v_mov_b32_e32 v3, 0
	s_mov_b32 s5, exec_lo
	s_mov_b32 s4, exec_lo
	s_wait_alu 0xfffe
	v_mbcnt_lo_u32_b32 v2, s5, 0
	global_load_b64 v[0:1], v3, s[34:35] offset:16
	v_cmpx_eq_u32_e32 0, v2
	s_cbranch_execz .LBB8_1090
; %bb.1089:
	s_bcnt1_i32_b32 s5, s5
	s_wait_alu 0xfffe
	v_mov_b32_e32 v2, s5
	global_wb scope:SCOPE_SYS
	s_wait_loadcnt 0x0
	global_atomic_add_u64 v[0:1], v[2:3], off offset:8 scope:SCOPE_SYS
.LBB8_1090:
	s_or_b32 exec_lo, exec_lo, s4
	s_wait_loadcnt 0x0
	global_load_b64 v[2:3], v[0:1], off offset:16
	s_wait_loadcnt 0x0
	v_cmp_eq_u64_e32 vcc_lo, 0, v[2:3]
	s_cbranch_vccnz .LBB8_1092
; %bb.1091:
	global_load_b32 v0, v[0:1], off offset:24
	s_wait_loadcnt 0x0
	v_dual_mov_b32 v1, 0 :: v_dual_and_b32 v6, 0xffffff, v0
	global_wb scope:SCOPE_SYS
	s_wait_storecnt 0x0
	global_store_b64 v[2:3], v[0:1], off scope:SCOPE_SYS
	v_readfirstlane_b32 m0, v6
	s_sendmsg sendmsg(MSG_INTERRUPT)
.LBB8_1092:
	s_wait_alu 0xfffe
	s_or_b32 exec_lo, exec_lo, s3
	s_branch .LBB8_1096
.LBB8_1093:                             ;   in Loop: Header=BB8_1096 Depth=1
	s_wait_alu 0xfffe
	s_or_b32 exec_lo, exec_lo, s3
	s_delay_alu instid0(VALU_DEP_1) | instskip(NEXT) | instid1(VALU_DEP_1)
	v_readfirstlane_b32 s3, v0
	s_cmp_eq_u32 s3, 0
	s_cbranch_scc1 .LBB8_1095
; %bb.1094:                             ;   in Loop: Header=BB8_1096 Depth=1
	s_sleep 1
	s_cbranch_execnz .LBB8_1096
	s_branch .LBB8_1098
.LBB8_1095:
	s_branch .LBB8_1098
.LBB8_1096:                             ; =>This Inner Loop Header: Depth=1
	v_mov_b32_e32 v0, 1
	s_and_saveexec_b32 s3, s0
	s_cbranch_execz .LBB8_1093
; %bb.1097:                             ;   in Loop: Header=BB8_1096 Depth=1
	global_load_b32 v0, v[10:11], off offset:20 scope:SCOPE_SYS
	s_wait_loadcnt 0x0
	global_inv scope:SCOPE_SYS
	v_and_b32_e32 v0, 1, v0
	s_branch .LBB8_1093
.LBB8_1098:
	global_load_b64 v[6:7], v[8:9], off
	s_and_saveexec_b32 s3, s0
	s_cbranch_execz .LBB8_1102
; %bb.1099:
	v_mov_b32_e32 v10, 0
	s_clause 0x2
	global_load_b64 v[2:3], v10, s[34:35] offset:40
	global_load_b64 v[11:12], v10, s[34:35] offset:24 scope:SCOPE_SYS
	global_load_b64 v[8:9], v10, s[34:35]
	s_wait_loadcnt 0x2
	v_add_co_u32 v13, vcc_lo, v2, 1
	s_wait_alu 0xfffd
	v_add_co_ci_u32_e32 v14, vcc_lo, 0, v3, vcc_lo
	s_delay_alu instid0(VALU_DEP_2) | instskip(SKIP_1) | instid1(VALU_DEP_2)
	v_add_co_u32 v0, vcc_lo, v13, s2
	s_wait_alu 0xfffd
	v_add_co_ci_u32_e32 v1, vcc_lo, s1, v14, vcc_lo
	s_delay_alu instid0(VALU_DEP_1) | instskip(SKIP_2) | instid1(VALU_DEP_1)
	v_cmp_eq_u64_e32 vcc_lo, 0, v[0:1]
	s_wait_alu 0xfffd
	v_dual_cndmask_b32 v1, v1, v14 :: v_dual_cndmask_b32 v0, v0, v13
	v_and_b32_e32 v3, v1, v3
	s_delay_alu instid0(VALU_DEP_2) | instskip(NEXT) | instid1(VALU_DEP_2)
	v_and_b32_e32 v2, v0, v2
	v_mul_lo_u32 v3, 24, v3
	s_delay_alu instid0(VALU_DEP_2) | instskip(SKIP_2) | instid1(VALU_DEP_3)
	v_mul_lo_u32 v13, 0, v2
	v_mul_hi_u32 v14, 24, v2
	v_mul_lo_u32 v2, 24, v2
	v_add_nc_u32_e32 v3, v3, v13
	s_wait_loadcnt 0x0
	s_delay_alu instid0(VALU_DEP_2) | instskip(SKIP_1) | instid1(VALU_DEP_3)
	v_add_co_u32 v8, vcc_lo, v8, v2
	v_mov_b32_e32 v2, v11
	v_add_nc_u32_e32 v3, v3, v14
	s_wait_alu 0xfffd
	s_delay_alu instid0(VALU_DEP_1)
	v_add_co_ci_u32_e32 v9, vcc_lo, v9, v3, vcc_lo
	v_mov_b32_e32 v3, v12
	global_store_b64 v[8:9], v[11:12], off
	global_wb scope:SCOPE_SYS
	s_wait_storecnt 0x0
	global_atomic_cmpswap_b64 v[2:3], v10, v[0:3], s[34:35] offset:24 th:TH_ATOMIC_RETURN scope:SCOPE_SYS
	s_wait_loadcnt 0x0
	v_cmp_ne_u64_e32 vcc_lo, v[2:3], v[11:12]
	s_and_b32 exec_lo, exec_lo, vcc_lo
	s_cbranch_execz .LBB8_1102
; %bb.1100:
	s_mov_b32 s0, 0
.LBB8_1101:                             ; =>This Inner Loop Header: Depth=1
	s_sleep 1
	global_store_b64 v[8:9], v[2:3], off
	global_wb scope:SCOPE_SYS
	s_wait_storecnt 0x0
	global_atomic_cmpswap_b64 v[11:12], v10, v[0:3], s[34:35] offset:24 th:TH_ATOMIC_RETURN scope:SCOPE_SYS
	s_wait_loadcnt 0x0
	v_cmp_eq_u64_e32 vcc_lo, v[11:12], v[2:3]
	v_dual_mov_b32 v2, v11 :: v_dual_mov_b32 v3, v12
	s_wait_alu 0xfffe
	s_or_b32 s0, vcc_lo, s0
	s_wait_alu 0xfffe
	s_and_not1_b32 exec_lo, exec_lo, s0
	s_cbranch_execnz .LBB8_1101
.LBB8_1102:
	s_wait_alu 0xfffe
	s_or_b32 exec_lo, exec_lo, s3
.LBB8_1103:
	v_readfirstlane_b32 s0, v52
	v_mov_b32_e32 v10, 0
	v_mov_b32_e32 v11, 0
	s_wait_alu 0xf1ff
	s_delay_alu instid0(VALU_DEP_3) | instskip(NEXT) | instid1(VALU_DEP_1)
	v_cmp_eq_u32_e64 s0, s0, v52
	s_and_saveexec_b32 s1, s0
	s_cbranch_execz .LBB8_1109
; %bb.1104:
	s_wait_loadcnt 0x0
	v_mov_b32_e32 v0, 0
	s_mov_b32 s2, exec_lo
	global_load_b64 v[12:13], v0, s[34:35] offset:24 scope:SCOPE_SYS
	s_wait_loadcnt 0x0
	global_inv scope:SCOPE_SYS
	s_clause 0x1
	global_load_b64 v[1:2], v0, s[34:35] offset:40
	global_load_b64 v[8:9], v0, s[34:35]
	s_wait_loadcnt 0x1
	v_and_b32_e32 v1, v1, v12
	v_and_b32_e32 v2, v2, v13
	s_delay_alu instid0(VALU_DEP_2) | instskip(NEXT) | instid1(VALU_DEP_2)
	v_mul_lo_u32 v3, 0, v1
	v_mul_lo_u32 v2, 24, v2
	v_mul_hi_u32 v10, 24, v1
	v_mul_lo_u32 v1, 24, v1
	s_delay_alu instid0(VALU_DEP_3) | instskip(SKIP_1) | instid1(VALU_DEP_2)
	v_add_nc_u32_e32 v2, v2, v3
	s_wait_loadcnt 0x0
	v_add_co_u32 v1, vcc_lo, v8, v1
	s_delay_alu instid0(VALU_DEP_2) | instskip(SKIP_1) | instid1(VALU_DEP_1)
	v_add_nc_u32_e32 v2, v2, v10
	s_wait_alu 0xfffd
	v_add_co_ci_u32_e32 v2, vcc_lo, v9, v2, vcc_lo
	global_load_b64 v[10:11], v[1:2], off scope:SCOPE_SYS
	s_wait_loadcnt 0x0
	global_atomic_cmpswap_b64 v[10:11], v0, v[10:13], s[34:35] offset:24 th:TH_ATOMIC_RETURN scope:SCOPE_SYS
	s_wait_loadcnt 0x0
	global_inv scope:SCOPE_SYS
	v_cmpx_ne_u64_e64 v[10:11], v[12:13]
	s_cbranch_execz .LBB8_1108
; %bb.1105:
	s_mov_b32 s3, 0
.LBB8_1106:                             ; =>This Inner Loop Header: Depth=1
	s_sleep 1
	s_clause 0x1
	global_load_b64 v[1:2], v0, s[34:35] offset:40
	global_load_b64 v[8:9], v0, s[34:35]
	v_dual_mov_b32 v13, v11 :: v_dual_mov_b32 v12, v10
	s_wait_loadcnt 0x1
	s_delay_alu instid0(VALU_DEP_1) | instskip(SKIP_1) | instid1(VALU_DEP_1)
	v_and_b32_e32 v1, v1, v12
	s_wait_loadcnt 0x0
	v_mad_co_u64_u32 v[8:9], null, v1, 24, v[8:9]
	s_delay_alu instid0(VALU_DEP_1) | instskip(NEXT) | instid1(VALU_DEP_1)
	v_dual_mov_b32 v1, v9 :: v_dual_and_b32 v2, v2, v13
	v_mad_co_u64_u32 v[1:2], null, v2, 24, v[1:2]
	s_delay_alu instid0(VALU_DEP_1)
	v_mov_b32_e32 v9, v1
	global_load_b64 v[10:11], v[8:9], off scope:SCOPE_SYS
	s_wait_loadcnt 0x0
	global_atomic_cmpswap_b64 v[10:11], v0, v[10:13], s[34:35] offset:24 th:TH_ATOMIC_RETURN scope:SCOPE_SYS
	s_wait_loadcnt 0x0
	global_inv scope:SCOPE_SYS
	v_cmp_eq_u64_e32 vcc_lo, v[10:11], v[12:13]
	s_wait_alu 0xfffe
	s_or_b32 s3, vcc_lo, s3
	s_wait_alu 0xfffe
	s_and_not1_b32 exec_lo, exec_lo, s3
	s_cbranch_execnz .LBB8_1106
; %bb.1107:
	s_or_b32 exec_lo, exec_lo, s3
.LBB8_1108:
	s_wait_alu 0xfffe
	s_or_b32 exec_lo, exec_lo, s2
.LBB8_1109:
	s_wait_alu 0xfffe
	s_or_b32 exec_lo, exec_lo, s1
	v_readfirstlane_b32 s2, v10
	s_wait_loadcnt 0x0
	v_mov_b32_e32 v9, 0
	v_readfirstlane_b32 s1, v11
	s_mov_b32 s3, exec_lo
	s_clause 0x1
	global_load_b64 v[12:13], v9, s[34:35] offset:40
	global_load_b128 v[0:3], v9, s[34:35]
	s_wait_loadcnt 0x1
	s_wait_alu 0xf1ff
	v_and_b32_e32 v12, s2, v12
	v_and_b32_e32 v13, s1, v13
	s_delay_alu instid0(VALU_DEP_2) | instskip(NEXT) | instid1(VALU_DEP_2)
	v_mul_lo_u32 v10, 0, v12
	v_mul_lo_u32 v8, 24, v13
	v_mul_hi_u32 v11, 24, v12
	v_mul_lo_u32 v14, 24, v12
	s_delay_alu instid0(VALU_DEP_3) | instskip(SKIP_1) | instid1(VALU_DEP_2)
	v_add_nc_u32_e32 v8, v8, v10
	s_wait_loadcnt 0x0
	v_add_co_u32 v10, vcc_lo, v0, v14
	s_delay_alu instid0(VALU_DEP_2) | instskip(SKIP_1) | instid1(VALU_DEP_1)
	v_add_nc_u32_e32 v8, v8, v11
	s_wait_alu 0xfffd
	v_add_co_ci_u32_e32 v11, vcc_lo, v1, v8, vcc_lo
	s_and_saveexec_b32 s4, s0
	s_cbranch_execz .LBB8_1111
; %bb.1110:
	s_wait_alu 0xfffe
	v_dual_mov_b32 v8, s3 :: v_dual_mov_b32 v17, 1
	v_dual_mov_b32 v16, 2 :: v_dual_mov_b32 v15, v9
	s_delay_alu instid0(VALU_DEP_2)
	v_mov_b32_e32 v14, v8
	global_store_b128 v[10:11], v[14:17], off offset:8
.LBB8_1111:
	s_wait_alu 0xfffe
	s_or_b32 exec_lo, exec_lo, s4
	v_lshlrev_b64_e32 v[12:13], 12, v[12:13]
	s_mov_b32 s4, 0
	v_and_or_b32 v6, 0xffffff1d, v6, 34
	s_wait_alu 0xfffe
	s_mov_b32 s7, s4
	s_mov_b32 s5, s4
	;; [unrolled: 1-line block ×3, first 2 shown]
	v_add_co_u32 v2, vcc_lo, v2, v12
	s_wait_alu 0xfffd
	v_add_co_ci_u32_e32 v3, vcc_lo, v3, v13, vcc_lo
	s_wait_alu 0xfffe
	v_dual_mov_b32 v8, 58 :: v_dual_mov_b32 v15, s7
	v_readfirstlane_b32 s10, v2
	s_delay_alu instid0(VALU_DEP_3)
	v_readfirstlane_b32 s11, v3
	v_dual_mov_b32 v14, s6 :: v_dual_mov_b32 v13, s5
	v_mov_b32_e32 v12, s4
	s_clause 0x3
	global_store_b128 v51, v[6:9], s[10:11]
	global_store_b128 v51, v[12:15], s[10:11] offset:16
	global_store_b128 v51, v[12:15], s[10:11] offset:32
	;; [unrolled: 1-line block ×3, first 2 shown]
	s_and_saveexec_b32 s3, s0
	s_cbranch_execz .LBB8_1119
; %bb.1112:
	v_mov_b32_e32 v8, 0
	s_mov_b32 s4, exec_lo
	s_clause 0x1
	global_load_b64 v[14:15], v8, s[34:35] offset:32 scope:SCOPE_SYS
	global_load_b64 v[2:3], v8, s[34:35] offset:40
	v_dual_mov_b32 v13, s1 :: v_dual_mov_b32 v12, s2
	s_wait_loadcnt 0x0
	v_and_b32_e32 v3, s1, v3
	v_and_b32_e32 v2, s2, v2
	s_delay_alu instid0(VALU_DEP_2) | instskip(NEXT) | instid1(VALU_DEP_2)
	v_mul_lo_u32 v3, 24, v3
	v_mul_lo_u32 v6, 0, v2
	v_mul_hi_u32 v7, 24, v2
	v_mul_lo_u32 v2, 24, v2
	s_delay_alu instid0(VALU_DEP_3) | instskip(NEXT) | instid1(VALU_DEP_2)
	v_add_nc_u32_e32 v3, v3, v6
	v_add_co_u32 v6, vcc_lo, v0, v2
	s_delay_alu instid0(VALU_DEP_2) | instskip(SKIP_1) | instid1(VALU_DEP_1)
	v_add_nc_u32_e32 v3, v3, v7
	s_wait_alu 0xfffd
	v_add_co_ci_u32_e32 v7, vcc_lo, v1, v3, vcc_lo
	global_store_b64 v[6:7], v[14:15], off
	global_wb scope:SCOPE_SYS
	s_wait_storecnt 0x0
	global_atomic_cmpswap_b64 v[2:3], v8, v[12:15], s[34:35] offset:32 th:TH_ATOMIC_RETURN scope:SCOPE_SYS
	s_wait_loadcnt 0x0
	v_cmpx_ne_u64_e64 v[2:3], v[14:15]
	s_cbranch_execz .LBB8_1115
; %bb.1113:
	s_mov_b32 s5, 0
.LBB8_1114:                             ; =>This Inner Loop Header: Depth=1
	v_dual_mov_b32 v0, s2 :: v_dual_mov_b32 v1, s1
	s_sleep 1
	global_store_b64 v[6:7], v[2:3], off
	global_wb scope:SCOPE_SYS
	s_wait_storecnt 0x0
	global_atomic_cmpswap_b64 v[0:1], v8, v[0:3], s[34:35] offset:32 th:TH_ATOMIC_RETURN scope:SCOPE_SYS
	s_wait_loadcnt 0x0
	v_cmp_eq_u64_e32 vcc_lo, v[0:1], v[2:3]
	v_dual_mov_b32 v3, v1 :: v_dual_mov_b32 v2, v0
	s_wait_alu 0xfffe
	s_or_b32 s5, vcc_lo, s5
	s_wait_alu 0xfffe
	s_and_not1_b32 exec_lo, exec_lo, s5
	s_cbranch_execnz .LBB8_1114
.LBB8_1115:
	s_wait_alu 0xfffe
	s_or_b32 exec_lo, exec_lo, s4
	v_mov_b32_e32 v3, 0
	s_mov_b32 s5, exec_lo
	s_mov_b32 s4, exec_lo
	s_wait_alu 0xfffe
	v_mbcnt_lo_u32_b32 v2, s5, 0
	global_load_b64 v[0:1], v3, s[34:35] offset:16
	v_cmpx_eq_u32_e32 0, v2
	s_cbranch_execz .LBB8_1117
; %bb.1116:
	s_bcnt1_i32_b32 s5, s5
	s_wait_alu 0xfffe
	v_mov_b32_e32 v2, s5
	global_wb scope:SCOPE_SYS
	s_wait_loadcnt 0x0
	global_atomic_add_u64 v[0:1], v[2:3], off offset:8 scope:SCOPE_SYS
.LBB8_1117:
	s_or_b32 exec_lo, exec_lo, s4
	s_wait_loadcnt 0x0
	global_load_b64 v[2:3], v[0:1], off offset:16
	s_wait_loadcnt 0x0
	v_cmp_eq_u64_e32 vcc_lo, 0, v[2:3]
	s_cbranch_vccnz .LBB8_1119
; %bb.1118:
	global_load_b32 v0, v[0:1], off offset:24
	s_wait_loadcnt 0x0
	v_dual_mov_b32 v1, 0 :: v_dual_and_b32 v6, 0xffffff, v0
	global_wb scope:SCOPE_SYS
	s_wait_storecnt 0x0
	global_store_b64 v[2:3], v[0:1], off scope:SCOPE_SYS
	v_readfirstlane_b32 m0, v6
	s_sendmsg sendmsg(MSG_INTERRUPT)
.LBB8_1119:
	s_wait_alu 0xfffe
	s_or_b32 exec_lo, exec_lo, s3
	s_branch .LBB8_1123
.LBB8_1120:                             ;   in Loop: Header=BB8_1123 Depth=1
	s_wait_alu 0xfffe
	s_or_b32 exec_lo, exec_lo, s3
	s_delay_alu instid0(VALU_DEP_1) | instskip(NEXT) | instid1(VALU_DEP_1)
	v_readfirstlane_b32 s3, v0
	s_cmp_eq_u32 s3, 0
	s_cbranch_scc1 .LBB8_1122
; %bb.1121:                             ;   in Loop: Header=BB8_1123 Depth=1
	s_sleep 1
	s_cbranch_execnz .LBB8_1123
	s_branch .LBB8_1125
.LBB8_1122:
	s_branch .LBB8_1125
.LBB8_1123:                             ; =>This Inner Loop Header: Depth=1
	v_mov_b32_e32 v0, 1
	s_and_saveexec_b32 s3, s0
	s_cbranch_execz .LBB8_1120
; %bb.1124:                             ;   in Loop: Header=BB8_1123 Depth=1
	global_load_b32 v0, v[10:11], off offset:20 scope:SCOPE_SYS
	s_wait_loadcnt 0x0
	global_inv scope:SCOPE_SYS
	v_and_b32_e32 v0, 1, v0
	s_branch .LBB8_1120
.LBB8_1125:
	s_and_saveexec_b32 s3, s0
	s_cbranch_execz .LBB8_1129
; %bb.1126:
	v_mov_b32_e32 v8, 0
	s_clause 0x2
	global_load_b64 v[2:3], v8, s[34:35] offset:40
	global_load_b64 v[9:10], v8, s[34:35] offset:24 scope:SCOPE_SYS
	global_load_b64 v[6:7], v8, s[34:35]
	s_wait_loadcnt 0x2
	v_add_co_u32 v11, vcc_lo, v2, 1
	s_wait_alu 0xfffd
	v_add_co_ci_u32_e32 v12, vcc_lo, 0, v3, vcc_lo
	s_delay_alu instid0(VALU_DEP_2) | instskip(SKIP_1) | instid1(VALU_DEP_2)
	v_add_co_u32 v0, vcc_lo, v11, s2
	s_wait_alu 0xfffd
	v_add_co_ci_u32_e32 v1, vcc_lo, s1, v12, vcc_lo
	s_delay_alu instid0(VALU_DEP_1) | instskip(SKIP_2) | instid1(VALU_DEP_1)
	v_cmp_eq_u64_e32 vcc_lo, 0, v[0:1]
	s_wait_alu 0xfffd
	v_dual_cndmask_b32 v1, v1, v12 :: v_dual_cndmask_b32 v0, v0, v11
	v_and_b32_e32 v3, v1, v3
	s_delay_alu instid0(VALU_DEP_2) | instskip(NEXT) | instid1(VALU_DEP_2)
	v_and_b32_e32 v2, v0, v2
	v_mul_lo_u32 v3, 24, v3
	s_delay_alu instid0(VALU_DEP_2) | instskip(SKIP_2) | instid1(VALU_DEP_3)
	v_mul_lo_u32 v11, 0, v2
	v_mul_hi_u32 v12, 24, v2
	v_mul_lo_u32 v2, 24, v2
	v_add_nc_u32_e32 v3, v3, v11
	s_wait_loadcnt 0x0
	s_delay_alu instid0(VALU_DEP_2) | instskip(NEXT) | instid1(VALU_DEP_2)
	v_add_co_u32 v6, vcc_lo, v6, v2
	v_dual_mov_b32 v2, v9 :: v_dual_add_nc_u32 v3, v3, v12
	s_wait_alu 0xfffd
	s_delay_alu instid0(VALU_DEP_1)
	v_add_co_ci_u32_e32 v7, vcc_lo, v7, v3, vcc_lo
	v_mov_b32_e32 v3, v10
	global_store_b64 v[6:7], v[9:10], off
	global_wb scope:SCOPE_SYS
	s_wait_storecnt 0x0
	global_atomic_cmpswap_b64 v[2:3], v8, v[0:3], s[34:35] offset:24 th:TH_ATOMIC_RETURN scope:SCOPE_SYS
	s_wait_loadcnt 0x0
	v_cmp_ne_u64_e32 vcc_lo, v[2:3], v[9:10]
	s_and_b32 exec_lo, exec_lo, vcc_lo
	s_cbranch_execz .LBB8_1129
; %bb.1127:
	s_mov_b32 s0, 0
.LBB8_1128:                             ; =>This Inner Loop Header: Depth=1
	s_sleep 1
	global_store_b64 v[6:7], v[2:3], off
	global_wb scope:SCOPE_SYS
	s_wait_storecnt 0x0
	global_atomic_cmpswap_b64 v[9:10], v8, v[0:3], s[34:35] offset:24 th:TH_ATOMIC_RETURN scope:SCOPE_SYS
	s_wait_loadcnt 0x0
	v_cmp_eq_u64_e32 vcc_lo, v[9:10], v[2:3]
	v_dual_mov_b32 v2, v9 :: v_dual_mov_b32 v3, v10
	s_wait_alu 0xfffe
	s_or_b32 s0, vcc_lo, s0
	s_wait_alu 0xfffe
	s_and_not1_b32 exec_lo, exec_lo, s0
	s_cbranch_execnz .LBB8_1128
.LBB8_1129:
	s_wait_alu 0xfffe
	s_or_b32 exec_lo, exec_lo, s3
	v_readfirstlane_b32 s0, v52
	v_mov_b32_e32 v8, 0
	v_mov_b32_e32 v9, 0
	s_wait_alu 0xf1ff
	s_delay_alu instid0(VALU_DEP_3) | instskip(NEXT) | instid1(VALU_DEP_1)
	v_cmp_eq_u32_e64 s0, s0, v52
	s_and_saveexec_b32 s1, s0
	s_cbranch_execz .LBB8_1135
; %bb.1130:
	v_mov_b32_e32 v0, 0
	s_mov_b32 s2, exec_lo
	global_load_b64 v[10:11], v0, s[34:35] offset:24 scope:SCOPE_SYS
	s_wait_loadcnt 0x0
	global_inv scope:SCOPE_SYS
	s_clause 0x1
	global_load_b64 v[1:2], v0, s[34:35] offset:40
	global_load_b64 v[6:7], v0, s[34:35]
	s_wait_loadcnt 0x1
	v_and_b32_e32 v1, v1, v10
	v_and_b32_e32 v2, v2, v11
	s_delay_alu instid0(VALU_DEP_2) | instskip(NEXT) | instid1(VALU_DEP_2)
	v_mul_lo_u32 v3, 0, v1
	v_mul_lo_u32 v2, 24, v2
	v_mul_hi_u32 v8, 24, v1
	v_mul_lo_u32 v1, 24, v1
	s_delay_alu instid0(VALU_DEP_3) | instskip(SKIP_1) | instid1(VALU_DEP_2)
	v_add_nc_u32_e32 v2, v2, v3
	s_wait_loadcnt 0x0
	v_add_co_u32 v1, vcc_lo, v6, v1
	s_delay_alu instid0(VALU_DEP_2) | instskip(SKIP_1) | instid1(VALU_DEP_1)
	v_add_nc_u32_e32 v2, v2, v8
	s_wait_alu 0xfffd
	v_add_co_ci_u32_e32 v2, vcc_lo, v7, v2, vcc_lo
	global_load_b64 v[8:9], v[1:2], off scope:SCOPE_SYS
	s_wait_loadcnt 0x0
	global_atomic_cmpswap_b64 v[8:9], v0, v[8:11], s[34:35] offset:24 th:TH_ATOMIC_RETURN scope:SCOPE_SYS
	s_wait_loadcnt 0x0
	global_inv scope:SCOPE_SYS
	v_cmpx_ne_u64_e64 v[8:9], v[10:11]
	s_cbranch_execz .LBB8_1134
; %bb.1131:
	s_mov_b32 s3, 0
.LBB8_1132:                             ; =>This Inner Loop Header: Depth=1
	s_sleep 1
	s_clause 0x1
	global_load_b64 v[1:2], v0, s[34:35] offset:40
	global_load_b64 v[6:7], v0, s[34:35]
	v_dual_mov_b32 v11, v9 :: v_dual_mov_b32 v10, v8
	s_wait_loadcnt 0x1
	s_delay_alu instid0(VALU_DEP_1) | instskip(SKIP_1) | instid1(VALU_DEP_1)
	v_and_b32_e32 v1, v1, v10
	s_wait_loadcnt 0x0
	v_mad_co_u64_u32 v[6:7], null, v1, 24, v[6:7]
	s_delay_alu instid0(VALU_DEP_1) | instskip(NEXT) | instid1(VALU_DEP_1)
	v_dual_mov_b32 v1, v7 :: v_dual_and_b32 v2, v2, v11
	v_mad_co_u64_u32 v[1:2], null, v2, 24, v[1:2]
	s_delay_alu instid0(VALU_DEP_1)
	v_mov_b32_e32 v7, v1
	global_load_b64 v[8:9], v[6:7], off scope:SCOPE_SYS
	s_wait_loadcnt 0x0
	global_atomic_cmpswap_b64 v[8:9], v0, v[8:11], s[34:35] offset:24 th:TH_ATOMIC_RETURN scope:SCOPE_SYS
	s_wait_loadcnt 0x0
	global_inv scope:SCOPE_SYS
	v_cmp_eq_u64_e32 vcc_lo, v[8:9], v[10:11]
	s_wait_alu 0xfffe
	s_or_b32 s3, vcc_lo, s3
	s_wait_alu 0xfffe
	s_and_not1_b32 exec_lo, exec_lo, s3
	s_cbranch_execnz .LBB8_1132
; %bb.1133:
	s_or_b32 exec_lo, exec_lo, s3
.LBB8_1134:
	s_wait_alu 0xfffe
	s_or_b32 exec_lo, exec_lo, s2
.LBB8_1135:
	s_wait_alu 0xfffe
	s_or_b32 exec_lo, exec_lo, s1
	v_readfirstlane_b32 s2, v8
	v_mov_b32_e32 v7, 0
	v_readfirstlane_b32 s1, v9
	s_mov_b32 s3, exec_lo
	s_clause 0x1
	global_load_b64 v[10:11], v7, s[34:35] offset:40
	global_load_b128 v[0:3], v7, s[34:35]
	s_wait_loadcnt 0x1
	s_wait_alu 0xf1ff
	v_and_b32_e32 v12, s2, v10
	v_and_b32_e32 v13, s1, v11
	s_delay_alu instid0(VALU_DEP_2) | instskip(NEXT) | instid1(VALU_DEP_2)
	v_mul_lo_u32 v8, 0, v12
	v_mul_lo_u32 v6, 24, v13
	v_mul_hi_u32 v9, 24, v12
	v_mul_lo_u32 v10, 24, v12
	s_delay_alu instid0(VALU_DEP_3) | instskip(SKIP_1) | instid1(VALU_DEP_2)
	v_add_nc_u32_e32 v6, v6, v8
	s_wait_loadcnt 0x0
	v_add_co_u32 v10, vcc_lo, v0, v10
	s_delay_alu instid0(VALU_DEP_2) | instskip(SKIP_1) | instid1(VALU_DEP_1)
	v_add_nc_u32_e32 v6, v6, v9
	s_wait_alu 0xfffd
	v_add_co_ci_u32_e32 v11, vcc_lo, v1, v6, vcc_lo
	s_and_saveexec_b32 s4, s0
	s_cbranch_execz .LBB8_1137
; %bb.1136:
	s_wait_alu 0xfffe
	v_dual_mov_b32 v6, s3 :: v_dual_mov_b32 v9, 1
	v_mov_b32_e32 v8, 2
	global_store_b128 v[10:11], v[6:9], off offset:8
.LBB8_1137:
	s_wait_alu 0xfffe
	s_or_b32 exec_lo, exec_lo, s4
	v_lshlrev_b64_e32 v[12:13], 12, v[12:13]
	s_mov_b32 s4, 0
	v_dual_mov_b32 v6, 33 :: v_dual_mov_b32 v9, v7
	s_wait_alu 0xfffe
	s_mov_b32 s7, s4
	s_mov_b32 s5, s4
	v_add_co_u32 v2, vcc_lo, v2, v12
	s_wait_alu 0xfffd
	v_add_co_ci_u32_e32 v3, vcc_lo, v3, v13, vcc_lo
	s_mov_b32 s6, s4
	s_delay_alu instid0(VALU_DEP_2)
	v_add_co_u32 v12, vcc_lo, v2, v51
	s_wait_alu 0xfffe
	v_dual_mov_b32 v8, v7 :: v_dual_mov_b32 v17, s7
	v_readfirstlane_b32 s10, v2
	v_readfirstlane_b32 s11, v3
	s_wait_alu 0xfffd
	v_add_co_ci_u32_e32 v13, vcc_lo, 0, v3, vcc_lo
	v_dual_mov_b32 v16, s6 :: v_dual_mov_b32 v15, s5
	v_mov_b32_e32 v14, s4
	s_clause 0x3
	global_store_b128 v51, v[6:9], s[10:11]
	global_store_b128 v51, v[14:17], s[10:11] offset:16
	global_store_b128 v51, v[14:17], s[10:11] offset:32
	;; [unrolled: 1-line block ×3, first 2 shown]
	s_and_saveexec_b32 s3, s0
	s_cbranch_execz .LBB8_1145
; %bb.1138:
	v_mov_b32_e32 v8, 0
	s_mov_b32 s4, exec_lo
	s_clause 0x1
	global_load_b64 v[16:17], v8, s[34:35] offset:32 scope:SCOPE_SYS
	global_load_b64 v[2:3], v8, s[34:35] offset:40
	v_dual_mov_b32 v15, s1 :: v_dual_mov_b32 v14, s2
	s_wait_loadcnt 0x0
	v_and_b32_e32 v3, s1, v3
	v_and_b32_e32 v2, s2, v2
	s_delay_alu instid0(VALU_DEP_2) | instskip(NEXT) | instid1(VALU_DEP_2)
	v_mul_lo_u32 v3, 24, v3
	v_mul_lo_u32 v6, 0, v2
	v_mul_hi_u32 v7, 24, v2
	v_mul_lo_u32 v2, 24, v2
	s_delay_alu instid0(VALU_DEP_3) | instskip(NEXT) | instid1(VALU_DEP_2)
	v_add_nc_u32_e32 v3, v3, v6
	v_add_co_u32 v6, vcc_lo, v0, v2
	s_delay_alu instid0(VALU_DEP_2) | instskip(SKIP_1) | instid1(VALU_DEP_1)
	v_add_nc_u32_e32 v3, v3, v7
	s_wait_alu 0xfffd
	v_add_co_ci_u32_e32 v7, vcc_lo, v1, v3, vcc_lo
	global_store_b64 v[6:7], v[16:17], off
	global_wb scope:SCOPE_SYS
	s_wait_storecnt 0x0
	global_atomic_cmpswap_b64 v[2:3], v8, v[14:17], s[34:35] offset:32 th:TH_ATOMIC_RETURN scope:SCOPE_SYS
	s_wait_loadcnt 0x0
	v_cmpx_ne_u64_e64 v[2:3], v[16:17]
	s_cbranch_execz .LBB8_1141
; %bb.1139:
	s_mov_b32 s5, 0
.LBB8_1140:                             ; =>This Inner Loop Header: Depth=1
	v_dual_mov_b32 v0, s2 :: v_dual_mov_b32 v1, s1
	s_sleep 1
	global_store_b64 v[6:7], v[2:3], off
	global_wb scope:SCOPE_SYS
	s_wait_storecnt 0x0
	global_atomic_cmpswap_b64 v[0:1], v8, v[0:3], s[34:35] offset:32 th:TH_ATOMIC_RETURN scope:SCOPE_SYS
	s_wait_loadcnt 0x0
	v_cmp_eq_u64_e32 vcc_lo, v[0:1], v[2:3]
	v_dual_mov_b32 v3, v1 :: v_dual_mov_b32 v2, v0
	s_wait_alu 0xfffe
	s_or_b32 s5, vcc_lo, s5
	s_wait_alu 0xfffe
	s_and_not1_b32 exec_lo, exec_lo, s5
	s_cbranch_execnz .LBB8_1140
.LBB8_1141:
	s_wait_alu 0xfffe
	s_or_b32 exec_lo, exec_lo, s4
	v_mov_b32_e32 v3, 0
	s_mov_b32 s5, exec_lo
	s_mov_b32 s4, exec_lo
	s_wait_alu 0xfffe
	v_mbcnt_lo_u32_b32 v2, s5, 0
	global_load_b64 v[0:1], v3, s[34:35] offset:16
	v_cmpx_eq_u32_e32 0, v2
	s_cbranch_execz .LBB8_1143
; %bb.1142:
	s_bcnt1_i32_b32 s5, s5
	s_wait_alu 0xfffe
	v_mov_b32_e32 v2, s5
	global_wb scope:SCOPE_SYS
	s_wait_loadcnt 0x0
	global_atomic_add_u64 v[0:1], v[2:3], off offset:8 scope:SCOPE_SYS
.LBB8_1143:
	s_or_b32 exec_lo, exec_lo, s4
	s_wait_loadcnt 0x0
	global_load_b64 v[2:3], v[0:1], off offset:16
	s_wait_loadcnt 0x0
	v_cmp_eq_u64_e32 vcc_lo, 0, v[2:3]
	s_cbranch_vccnz .LBB8_1145
; %bb.1144:
	global_load_b32 v0, v[0:1], off offset:24
	s_wait_loadcnt 0x0
	v_dual_mov_b32 v1, 0 :: v_dual_and_b32 v6, 0xffffff, v0
	global_wb scope:SCOPE_SYS
	s_wait_storecnt 0x0
	global_store_b64 v[2:3], v[0:1], off scope:SCOPE_SYS
	v_readfirstlane_b32 m0, v6
	s_sendmsg sendmsg(MSG_INTERRUPT)
.LBB8_1145:
	s_wait_alu 0xfffe
	s_or_b32 exec_lo, exec_lo, s3
	s_branch .LBB8_1149
.LBB8_1146:                             ;   in Loop: Header=BB8_1149 Depth=1
	s_wait_alu 0xfffe
	s_or_b32 exec_lo, exec_lo, s3
	s_delay_alu instid0(VALU_DEP_1) | instskip(NEXT) | instid1(VALU_DEP_1)
	v_readfirstlane_b32 s3, v0
	s_cmp_eq_u32 s3, 0
	s_cbranch_scc1 .LBB8_1148
; %bb.1147:                             ;   in Loop: Header=BB8_1149 Depth=1
	s_sleep 1
	s_cbranch_execnz .LBB8_1149
	s_branch .LBB8_1151
.LBB8_1148:
	s_branch .LBB8_1151
.LBB8_1149:                             ; =>This Inner Loop Header: Depth=1
	v_mov_b32_e32 v0, 1
	s_and_saveexec_b32 s3, s0
	s_cbranch_execz .LBB8_1146
; %bb.1150:                             ;   in Loop: Header=BB8_1149 Depth=1
	global_load_b32 v0, v[10:11], off offset:20 scope:SCOPE_SYS
	s_wait_loadcnt 0x0
	global_inv scope:SCOPE_SYS
	v_and_b32_e32 v0, 1, v0
	s_branch .LBB8_1146
.LBB8_1151:
	global_load_b64 v[0:1], v[12:13], off
	s_and_saveexec_b32 s3, s0
	s_cbranch_execz .LBB8_1155
; %bb.1152:
	v_mov_b32_e32 v10, 0
	s_clause 0x2
	global_load_b64 v[2:3], v10, s[34:35] offset:40
	global_load_b64 v[11:12], v10, s[34:35] offset:24 scope:SCOPE_SYS
	global_load_b64 v[8:9], v10, s[34:35]
	s_wait_loadcnt 0x2
	v_add_co_u32 v13, vcc_lo, v2, 1
	s_wait_alu 0xfffd
	v_add_co_ci_u32_e32 v14, vcc_lo, 0, v3, vcc_lo
	s_delay_alu instid0(VALU_DEP_2) | instskip(SKIP_1) | instid1(VALU_DEP_2)
	v_add_co_u32 v6, vcc_lo, v13, s2
	s_wait_alu 0xfffd
	v_add_co_ci_u32_e32 v7, vcc_lo, s1, v14, vcc_lo
	s_delay_alu instid0(VALU_DEP_1) | instskip(SKIP_2) | instid1(VALU_DEP_1)
	v_cmp_eq_u64_e32 vcc_lo, 0, v[6:7]
	s_wait_alu 0xfffd
	v_dual_cndmask_b32 v7, v7, v14 :: v_dual_cndmask_b32 v6, v6, v13
	v_and_b32_e32 v3, v7, v3
	s_delay_alu instid0(VALU_DEP_2) | instskip(NEXT) | instid1(VALU_DEP_2)
	v_and_b32_e32 v2, v6, v2
	v_mul_lo_u32 v3, 24, v3
	s_delay_alu instid0(VALU_DEP_2) | instskip(SKIP_2) | instid1(VALU_DEP_3)
	v_mul_lo_u32 v13, 0, v2
	v_mul_hi_u32 v14, 24, v2
	v_mul_lo_u32 v2, 24, v2
	v_add_nc_u32_e32 v3, v3, v13
	s_wait_loadcnt 0x0
	s_delay_alu instid0(VALU_DEP_2) | instskip(SKIP_1) | instid1(VALU_DEP_3)
	v_add_co_u32 v2, vcc_lo, v8, v2
	v_mov_b32_e32 v8, v11
	v_add_nc_u32_e32 v3, v3, v14
	s_wait_alu 0xfffd
	s_delay_alu instid0(VALU_DEP_1)
	v_add_co_ci_u32_e32 v3, vcc_lo, v9, v3, vcc_lo
	v_mov_b32_e32 v9, v12
	global_store_b64 v[2:3], v[11:12], off
	global_wb scope:SCOPE_SYS
	s_wait_storecnt 0x0
	global_atomic_cmpswap_b64 v[8:9], v10, v[6:9], s[34:35] offset:24 th:TH_ATOMIC_RETURN scope:SCOPE_SYS
	s_wait_loadcnt 0x0
	v_cmp_ne_u64_e32 vcc_lo, v[8:9], v[11:12]
	s_and_b32 exec_lo, exec_lo, vcc_lo
	s_cbranch_execz .LBB8_1155
; %bb.1153:
	s_mov_b32 s0, 0
.LBB8_1154:                             ; =>This Inner Loop Header: Depth=1
	s_sleep 1
	global_store_b64 v[2:3], v[8:9], off
	global_wb scope:SCOPE_SYS
	s_wait_storecnt 0x0
	global_atomic_cmpswap_b64 v[11:12], v10, v[6:9], s[34:35] offset:24 th:TH_ATOMIC_RETURN scope:SCOPE_SYS
	s_wait_loadcnt 0x0
	v_cmp_eq_u64_e32 vcc_lo, v[11:12], v[8:9]
	v_dual_mov_b32 v8, v11 :: v_dual_mov_b32 v9, v12
	s_wait_alu 0xfffe
	s_or_b32 s0, vcc_lo, s0
	s_wait_alu 0xfffe
	s_and_not1_b32 exec_lo, exec_lo, s0
	s_cbranch_execnz .LBB8_1154
.LBB8_1155:
	s_wait_alu 0xfffe
	s_or_b32 exec_lo, exec_lo, s3
	s_delay_alu instid0(SALU_CYCLE_1)
	s_and_b32 vcc_lo, exec_lo, s38
	s_wait_alu 0xfffe
	s_cbranch_vccz .LBB8_1234
; %bb.1156:
	s_wait_loadcnt 0x0
	v_dual_mov_b32 v10, 0 :: v_dual_and_b32 v33, 2, v0
	v_dual_mov_b32 v7, v1 :: v_dual_and_b32 v6, -3, v0
	v_dual_mov_b32 v11, 2 :: v_dual_mov_b32 v12, 1
	s_mov_b64 s[4:5], 3
	s_getpc_b64 s[2:3]
	s_wait_alu 0xfffe
	s_sext_i32_i16 s3, s3
	s_add_co_u32 s2, s2, .str.8@rel32@lo+12
	s_wait_alu 0xfffe
	s_add_co_ci_u32 s3, s3, .str.8@rel32@hi+24
	s_branch .LBB8_1158
.LBB8_1157:                             ;   in Loop: Header=BB8_1158 Depth=1
	s_wait_alu 0xfffe
	s_or_b32 exec_lo, exec_lo, s11
	s_sub_nc_u64 s[4:5], s[4:5], s[6:7]
	s_add_nc_u64 s[2:3], s[2:3], s[6:7]
	s_wait_alu 0xfffe
	s_cmp_lg_u64 s[4:5], 0
	s_cbranch_scc0 .LBB8_1233
.LBB8_1158:                             ; =>This Loop Header: Depth=1
                                        ;     Child Loop BB8_1167 Depth 2
                                        ;     Child Loop BB8_1163 Depth 2
	;; [unrolled: 1-line block ×11, first 2 shown]
	v_cmp_lt_u64_e64 s0, s[4:5], 56
	v_cmp_gt_u64_e64 s1, s[4:5], 7
                                        ; implicit-def: $vgpr15_vgpr16
                                        ; implicit-def: $sgpr18
	s_delay_alu instid0(VALU_DEP_2) | instskip(SKIP_2) | instid1(VALU_DEP_1)
	s_and_b32 s0, s0, exec_lo
	s_cselect_b32 s7, s5, 0
	s_cselect_b32 s6, s4, 56
	s_and_b32 vcc_lo, exec_lo, s1
	s_mov_b32 s0, -1
	s_wait_alu 0xfffe
	s_cbranch_vccz .LBB8_1165
; %bb.1159:                             ;   in Loop: Header=BB8_1158 Depth=1
	s_and_not1_b32 vcc_lo, exec_lo, s0
	s_mov_b64 s[0:1], s[2:3]
	s_wait_alu 0xfffe
	s_cbranch_vccz .LBB8_1169
.LBB8_1160:                             ;   in Loop: Header=BB8_1158 Depth=1
	s_wait_alu 0xfffe
	s_cmp_gt_u32 s18, 7
	s_cbranch_scc1 .LBB8_1170
.LBB8_1161:                             ;   in Loop: Header=BB8_1158 Depth=1
	v_mov_b32_e32 v17, 0
	v_mov_b32_e32 v18, 0
	s_cmp_eq_u32 s18, 0
	s_cbranch_scc1 .LBB8_1164
; %bb.1162:                             ;   in Loop: Header=BB8_1158 Depth=1
	s_mov_b64 s[10:11], 0
	s_mov_b64 s[16:17], 0
.LBB8_1163:                             ;   Parent Loop BB8_1158 Depth=1
                                        ; =>  This Inner Loop Header: Depth=2
	s_wait_alu 0xfffe
	s_add_nc_u64 s[20:21], s[0:1], s[16:17]
	s_add_nc_u64 s[16:17], s[16:17], 1
	global_load_u8 v2, v10, s[20:21]
	s_wait_alu 0xfffe
	s_cmp_lg_u32 s18, s16
	s_wait_loadcnt 0x0
	v_and_b32_e32 v9, 0xffff, v2
	s_delay_alu instid0(VALU_DEP_1) | instskip(SKIP_1) | instid1(VALU_DEP_1)
	v_lshlrev_b64_e32 v[2:3], s10, v[9:10]
	s_add_nc_u64 s[10:11], s[10:11], 8
	v_or_b32_e32 v17, v2, v17
	s_delay_alu instid0(VALU_DEP_2)
	v_or_b32_e32 v18, v3, v18
	s_cbranch_scc1 .LBB8_1163
.LBB8_1164:                             ;   in Loop: Header=BB8_1158 Depth=1
	s_mov_b32 s19, 0
	s_cbranch_execz .LBB8_1171
	s_branch .LBB8_1172
.LBB8_1165:                             ;   in Loop: Header=BB8_1158 Depth=1
	v_mov_b32_e32 v15, 0
	v_mov_b32_e32 v16, 0
	s_cmp_eq_u64 s[4:5], 0
	s_mov_b64 s[0:1], 0
	s_cbranch_scc1 .LBB8_1168
; %bb.1166:                             ;   in Loop: Header=BB8_1158 Depth=1
	v_mov_b32_e32 v15, 0
	v_mov_b32_e32 v16, 0
	s_mov_b64 s[10:11], 0
.LBB8_1167:                             ;   Parent Loop BB8_1158 Depth=1
                                        ; =>  This Inner Loop Header: Depth=2
	s_wait_alu 0xfffe
	s_add_nc_u64 s[16:17], s[2:3], s[10:11]
	s_add_nc_u64 s[10:11], s[10:11], 1
	global_load_u8 v2, v10, s[16:17]
	s_wait_alu 0xfffe
	s_cmp_lg_u32 s6, s10
	s_wait_loadcnt 0x0
	v_and_b32_e32 v9, 0xffff, v2
	s_delay_alu instid0(VALU_DEP_1) | instskip(SKIP_1) | instid1(VALU_DEP_1)
	v_lshlrev_b64_e32 v[2:3], s0, v[9:10]
	s_add_nc_u64 s[0:1], s[0:1], 8
	v_or_b32_e32 v15, v2, v15
	s_delay_alu instid0(VALU_DEP_2)
	v_or_b32_e32 v16, v3, v16
	s_cbranch_scc1 .LBB8_1167
.LBB8_1168:                             ;   in Loop: Header=BB8_1158 Depth=1
	s_mov_b32 s18, 0
	s_mov_b64 s[0:1], s[2:3]
	s_cbranch_execnz .LBB8_1160
.LBB8_1169:                             ;   in Loop: Header=BB8_1158 Depth=1
	global_load_b64 v[15:16], v10, s[2:3]
	s_add_co_i32 s18, s6, -8
	s_add_nc_u64 s[0:1], s[2:3], 8
	s_wait_alu 0xfffe
	s_cmp_gt_u32 s18, 7
	s_cbranch_scc0 .LBB8_1161
.LBB8_1170:                             ;   in Loop: Header=BB8_1158 Depth=1
                                        ; implicit-def: $vgpr17_vgpr18
                                        ; implicit-def: $sgpr19
.LBB8_1171:                             ;   in Loop: Header=BB8_1158 Depth=1
	global_load_b64 v[17:18], v10, s[0:1]
	s_add_co_i32 s19, s18, -8
	s_add_nc_u64 s[0:1], s[0:1], 8
.LBB8_1172:                             ;   in Loop: Header=BB8_1158 Depth=1
	s_wait_alu 0xfffe
	s_cmp_gt_u32 s19, 7
	s_cbranch_scc1 .LBB8_1177
; %bb.1173:                             ;   in Loop: Header=BB8_1158 Depth=1
	v_mov_b32_e32 v19, 0
	v_mov_b32_e32 v20, 0
	s_cmp_eq_u32 s19, 0
	s_cbranch_scc1 .LBB8_1176
; %bb.1174:                             ;   in Loop: Header=BB8_1158 Depth=1
	s_mov_b64 s[10:11], 0
	s_mov_b64 s[16:17], 0
.LBB8_1175:                             ;   Parent Loop BB8_1158 Depth=1
                                        ; =>  This Inner Loop Header: Depth=2
	s_wait_alu 0xfffe
	s_add_nc_u64 s[20:21], s[0:1], s[16:17]
	s_add_nc_u64 s[16:17], s[16:17], 1
	global_load_u8 v2, v10, s[20:21]
	s_wait_alu 0xfffe
	s_cmp_lg_u32 s19, s16
	s_wait_loadcnt 0x0
	v_and_b32_e32 v9, 0xffff, v2
	s_delay_alu instid0(VALU_DEP_1) | instskip(SKIP_1) | instid1(VALU_DEP_1)
	v_lshlrev_b64_e32 v[2:3], s10, v[9:10]
	s_add_nc_u64 s[10:11], s[10:11], 8
	v_or_b32_e32 v19, v2, v19
	s_delay_alu instid0(VALU_DEP_2)
	v_or_b32_e32 v20, v3, v20
	s_cbranch_scc1 .LBB8_1175
.LBB8_1176:                             ;   in Loop: Header=BB8_1158 Depth=1
	s_mov_b32 s18, 0
	s_cbranch_execz .LBB8_1178
	s_branch .LBB8_1179
.LBB8_1177:                             ;   in Loop: Header=BB8_1158 Depth=1
                                        ; implicit-def: $sgpr18
.LBB8_1178:                             ;   in Loop: Header=BB8_1158 Depth=1
	global_load_b64 v[19:20], v10, s[0:1]
	s_add_co_i32 s18, s19, -8
	s_add_nc_u64 s[0:1], s[0:1], 8
.LBB8_1179:                             ;   in Loop: Header=BB8_1158 Depth=1
	s_wait_alu 0xfffe
	s_cmp_gt_u32 s18, 7
	s_cbranch_scc1 .LBB8_1184
; %bb.1180:                             ;   in Loop: Header=BB8_1158 Depth=1
	v_mov_b32_e32 v21, 0
	v_mov_b32_e32 v22, 0
	s_cmp_eq_u32 s18, 0
	s_cbranch_scc1 .LBB8_1183
; %bb.1181:                             ;   in Loop: Header=BB8_1158 Depth=1
	s_mov_b64 s[10:11], 0
	s_mov_b64 s[16:17], 0
.LBB8_1182:                             ;   Parent Loop BB8_1158 Depth=1
                                        ; =>  This Inner Loop Header: Depth=2
	s_wait_alu 0xfffe
	s_add_nc_u64 s[20:21], s[0:1], s[16:17]
	s_add_nc_u64 s[16:17], s[16:17], 1
	global_load_u8 v2, v10, s[20:21]
	s_wait_alu 0xfffe
	s_cmp_lg_u32 s18, s16
	s_wait_loadcnt 0x0
	v_and_b32_e32 v9, 0xffff, v2
	s_delay_alu instid0(VALU_DEP_1) | instskip(SKIP_1) | instid1(VALU_DEP_1)
	v_lshlrev_b64_e32 v[2:3], s10, v[9:10]
	s_add_nc_u64 s[10:11], s[10:11], 8
	v_or_b32_e32 v21, v2, v21
	s_delay_alu instid0(VALU_DEP_2)
	v_or_b32_e32 v22, v3, v22
	s_cbranch_scc1 .LBB8_1182
.LBB8_1183:                             ;   in Loop: Header=BB8_1158 Depth=1
	s_mov_b32 s19, 0
	s_cbranch_execz .LBB8_1185
	s_branch .LBB8_1186
.LBB8_1184:                             ;   in Loop: Header=BB8_1158 Depth=1
                                        ; implicit-def: $vgpr21_vgpr22
                                        ; implicit-def: $sgpr19
.LBB8_1185:                             ;   in Loop: Header=BB8_1158 Depth=1
	global_load_b64 v[21:22], v10, s[0:1]
	s_add_co_i32 s19, s18, -8
	s_add_nc_u64 s[0:1], s[0:1], 8
.LBB8_1186:                             ;   in Loop: Header=BB8_1158 Depth=1
	s_wait_alu 0xfffe
	s_cmp_gt_u32 s19, 7
	s_cbranch_scc1 .LBB8_1191
; %bb.1187:                             ;   in Loop: Header=BB8_1158 Depth=1
	v_mov_b32_e32 v23, 0
	v_mov_b32_e32 v24, 0
	s_cmp_eq_u32 s19, 0
	s_cbranch_scc1 .LBB8_1190
; %bb.1188:                             ;   in Loop: Header=BB8_1158 Depth=1
	s_mov_b64 s[10:11], 0
	s_mov_b64 s[16:17], 0
.LBB8_1189:                             ;   Parent Loop BB8_1158 Depth=1
                                        ; =>  This Inner Loop Header: Depth=2
	s_wait_alu 0xfffe
	s_add_nc_u64 s[20:21], s[0:1], s[16:17]
	s_add_nc_u64 s[16:17], s[16:17], 1
	global_load_u8 v2, v10, s[20:21]
	s_wait_alu 0xfffe
	s_cmp_lg_u32 s19, s16
	s_wait_loadcnt 0x0
	v_and_b32_e32 v9, 0xffff, v2
	s_delay_alu instid0(VALU_DEP_1) | instskip(SKIP_1) | instid1(VALU_DEP_1)
	v_lshlrev_b64_e32 v[2:3], s10, v[9:10]
	s_add_nc_u64 s[10:11], s[10:11], 8
	v_or_b32_e32 v23, v2, v23
	s_delay_alu instid0(VALU_DEP_2)
	v_or_b32_e32 v24, v3, v24
	s_cbranch_scc1 .LBB8_1189
.LBB8_1190:                             ;   in Loop: Header=BB8_1158 Depth=1
	s_mov_b32 s18, 0
	s_cbranch_execz .LBB8_1192
	s_branch .LBB8_1193
.LBB8_1191:                             ;   in Loop: Header=BB8_1158 Depth=1
                                        ; implicit-def: $sgpr18
.LBB8_1192:                             ;   in Loop: Header=BB8_1158 Depth=1
	global_load_b64 v[23:24], v10, s[0:1]
	s_add_co_i32 s18, s19, -8
	s_add_nc_u64 s[0:1], s[0:1], 8
.LBB8_1193:                             ;   in Loop: Header=BB8_1158 Depth=1
	s_wait_alu 0xfffe
	s_cmp_gt_u32 s18, 7
	s_cbranch_scc1 .LBB8_1198
; %bb.1194:                             ;   in Loop: Header=BB8_1158 Depth=1
	v_mov_b32_e32 v25, 0
	v_mov_b32_e32 v26, 0
	s_cmp_eq_u32 s18, 0
	s_cbranch_scc1 .LBB8_1197
; %bb.1195:                             ;   in Loop: Header=BB8_1158 Depth=1
	s_mov_b64 s[10:11], 0
	s_mov_b64 s[16:17], 0
.LBB8_1196:                             ;   Parent Loop BB8_1158 Depth=1
                                        ; =>  This Inner Loop Header: Depth=2
	s_wait_alu 0xfffe
	s_add_nc_u64 s[20:21], s[0:1], s[16:17]
	s_add_nc_u64 s[16:17], s[16:17], 1
	global_load_u8 v2, v10, s[20:21]
	s_wait_alu 0xfffe
	s_cmp_lg_u32 s18, s16
	s_wait_loadcnt 0x0
	v_and_b32_e32 v9, 0xffff, v2
	s_delay_alu instid0(VALU_DEP_1) | instskip(SKIP_1) | instid1(VALU_DEP_1)
	v_lshlrev_b64_e32 v[2:3], s10, v[9:10]
	s_add_nc_u64 s[10:11], s[10:11], 8
	v_or_b32_e32 v25, v2, v25
	s_delay_alu instid0(VALU_DEP_2)
	v_or_b32_e32 v26, v3, v26
	s_cbranch_scc1 .LBB8_1196
.LBB8_1197:                             ;   in Loop: Header=BB8_1158 Depth=1
	s_mov_b32 s19, 0
	s_cbranch_execz .LBB8_1199
	s_branch .LBB8_1200
.LBB8_1198:                             ;   in Loop: Header=BB8_1158 Depth=1
                                        ; implicit-def: $vgpr25_vgpr26
                                        ; implicit-def: $sgpr19
.LBB8_1199:                             ;   in Loop: Header=BB8_1158 Depth=1
	global_load_b64 v[25:26], v10, s[0:1]
	s_add_co_i32 s19, s18, -8
	s_add_nc_u64 s[0:1], s[0:1], 8
.LBB8_1200:                             ;   in Loop: Header=BB8_1158 Depth=1
	s_wait_alu 0xfffe
	s_cmp_gt_u32 s19, 7
	s_cbranch_scc1 .LBB8_1205
; %bb.1201:                             ;   in Loop: Header=BB8_1158 Depth=1
	v_mov_b32_e32 v27, 0
	v_mov_b32_e32 v28, 0
	s_cmp_eq_u32 s19, 0
	s_cbranch_scc1 .LBB8_1204
; %bb.1202:                             ;   in Loop: Header=BB8_1158 Depth=1
	s_mov_b64 s[10:11], 0
	s_mov_b64 s[16:17], s[0:1]
.LBB8_1203:                             ;   Parent Loop BB8_1158 Depth=1
                                        ; =>  This Inner Loop Header: Depth=2
	global_load_u8 v2, v10, s[16:17]
	s_add_co_i32 s19, s19, -1
	s_wait_alu 0xfffe
	s_add_nc_u64 s[16:17], s[16:17], 1
	s_cmp_lg_u32 s19, 0
	s_wait_loadcnt 0x0
	v_and_b32_e32 v9, 0xffff, v2
	s_delay_alu instid0(VALU_DEP_1) | instskip(SKIP_1) | instid1(VALU_DEP_1)
	v_lshlrev_b64_e32 v[2:3], s10, v[9:10]
	s_add_nc_u64 s[10:11], s[10:11], 8
	v_or_b32_e32 v27, v2, v27
	s_delay_alu instid0(VALU_DEP_2)
	v_or_b32_e32 v28, v3, v28
	s_cbranch_scc1 .LBB8_1203
.LBB8_1204:                             ;   in Loop: Header=BB8_1158 Depth=1
	s_cbranch_execz .LBB8_1206
	s_branch .LBB8_1207
.LBB8_1205:                             ;   in Loop: Header=BB8_1158 Depth=1
.LBB8_1206:                             ;   in Loop: Header=BB8_1158 Depth=1
	global_load_b64 v[27:28], v10, s[0:1]
.LBB8_1207:                             ;   in Loop: Header=BB8_1158 Depth=1
	v_readfirstlane_b32 s0, v52
	v_mov_b32_e32 v2, 0
	v_mov_b32_e32 v3, 0
	s_wait_alu 0xf1ff
	s_delay_alu instid0(VALU_DEP_3) | instskip(NEXT) | instid1(VALU_DEP_1)
	v_cmp_eq_u32_e64 s0, s0, v52
	s_and_saveexec_b32 s1, s0
	s_cbranch_execz .LBB8_1213
; %bb.1208:                             ;   in Loop: Header=BB8_1158 Depth=1
	global_load_b64 v[31:32], v10, s[34:35] offset:24 scope:SCOPE_SYS
	s_wait_loadcnt 0x0
	global_inv scope:SCOPE_SYS
	s_clause 0x1
	global_load_b64 v[2:3], v10, s[34:35] offset:40
	global_load_b64 v[8:9], v10, s[34:35]
	s_mov_b32 s10, exec_lo
	s_wait_loadcnt 0x1
	v_and_b32_e32 v3, v3, v32
	v_and_b32_e32 v2, v2, v31
	s_delay_alu instid0(VALU_DEP_2) | instskip(NEXT) | instid1(VALU_DEP_2)
	v_mul_lo_u32 v3, 24, v3
	v_mul_lo_u32 v13, 0, v2
	v_mul_hi_u32 v14, 24, v2
	v_mul_lo_u32 v2, 24, v2
	s_delay_alu instid0(VALU_DEP_3) | instskip(SKIP_1) | instid1(VALU_DEP_2)
	v_add_nc_u32_e32 v3, v3, v13
	s_wait_loadcnt 0x0
	v_add_co_u32 v2, vcc_lo, v8, v2
	s_delay_alu instid0(VALU_DEP_2) | instskip(SKIP_1) | instid1(VALU_DEP_1)
	v_add_nc_u32_e32 v3, v3, v14
	s_wait_alu 0xfffd
	v_add_co_ci_u32_e32 v3, vcc_lo, v9, v3, vcc_lo
	global_load_b64 v[29:30], v[2:3], off scope:SCOPE_SYS
	s_wait_loadcnt 0x0
	global_atomic_cmpswap_b64 v[2:3], v10, v[29:32], s[34:35] offset:24 th:TH_ATOMIC_RETURN scope:SCOPE_SYS
	s_wait_loadcnt 0x0
	global_inv scope:SCOPE_SYS
	v_cmpx_ne_u64_e64 v[2:3], v[31:32]
	s_cbranch_execz .LBB8_1212
; %bb.1209:                             ;   in Loop: Header=BB8_1158 Depth=1
	s_mov_b32 s11, 0
.LBB8_1210:                             ;   Parent Loop BB8_1158 Depth=1
                                        ; =>  This Inner Loop Header: Depth=2
	s_sleep 1
	s_clause 0x1
	global_load_b64 v[8:9], v10, s[34:35] offset:40
	global_load_b64 v[13:14], v10, s[34:35]
	v_dual_mov_b32 v32, v3 :: v_dual_mov_b32 v31, v2
	s_wait_loadcnt 0x1
	s_delay_alu instid0(VALU_DEP_1) | instskip(NEXT) | instid1(VALU_DEP_2)
	v_and_b32_e32 v2, v8, v31
	v_and_b32_e32 v8, v9, v32
	s_wait_loadcnt 0x0
	s_delay_alu instid0(VALU_DEP_2) | instskip(NEXT) | instid1(VALU_DEP_1)
	v_mad_co_u64_u32 v[2:3], null, v2, 24, v[13:14]
	v_mad_co_u64_u32 v[8:9], null, v8, 24, v[3:4]
	s_delay_alu instid0(VALU_DEP_1)
	v_mov_b32_e32 v3, v8
	global_load_b64 v[29:30], v[2:3], off scope:SCOPE_SYS
	s_wait_loadcnt 0x0
	global_atomic_cmpswap_b64 v[2:3], v10, v[29:32], s[34:35] offset:24 th:TH_ATOMIC_RETURN scope:SCOPE_SYS
	s_wait_loadcnt 0x0
	global_inv scope:SCOPE_SYS
	v_cmp_eq_u64_e32 vcc_lo, v[2:3], v[31:32]
	s_wait_alu 0xfffe
	s_or_b32 s11, vcc_lo, s11
	s_wait_alu 0xfffe
	s_and_not1_b32 exec_lo, exec_lo, s11
	s_cbranch_execnz .LBB8_1210
; %bb.1211:                             ;   in Loop: Header=BB8_1158 Depth=1
	s_or_b32 exec_lo, exec_lo, s11
.LBB8_1212:                             ;   in Loop: Header=BB8_1158 Depth=1
	s_wait_alu 0xfffe
	s_or_b32 exec_lo, exec_lo, s10
.LBB8_1213:                             ;   in Loop: Header=BB8_1158 Depth=1
	s_wait_alu 0xfffe
	s_or_b32 exec_lo, exec_lo, s1
	s_clause 0x1
	global_load_b64 v[8:9], v10, s[34:35] offset:40
	global_load_b128 v[29:32], v10, s[34:35]
	v_readfirstlane_b32 s1, v3
	v_readfirstlane_b32 s10, v2
	s_mov_b32 s11, exec_lo
	s_wait_loadcnt 0x1
	s_wait_alu 0xf1ff
	v_and_b32_e32 v14, s1, v9
	v_and_b32_e32 v13, s10, v8
	s_delay_alu instid0(VALU_DEP_2) | instskip(NEXT) | instid1(VALU_DEP_2)
	v_mul_lo_u32 v2, 24, v14
	v_mul_lo_u32 v3, 0, v13
	v_mul_hi_u32 v8, 24, v13
	v_mul_lo_u32 v9, 24, v13
	s_delay_alu instid0(VALU_DEP_3) | instskip(NEXT) | instid1(VALU_DEP_1)
	v_add_nc_u32_e32 v2, v2, v3
	v_add_nc_u32_e32 v3, v2, v8
	s_wait_loadcnt 0x0
	s_delay_alu instid0(VALU_DEP_3) | instskip(SKIP_1) | instid1(VALU_DEP_2)
	v_add_co_u32 v2, vcc_lo, v29, v9
	s_wait_alu 0xfffd
	v_add_co_ci_u32_e32 v3, vcc_lo, v30, v3, vcc_lo
	s_and_saveexec_b32 s16, s0
	s_cbranch_execz .LBB8_1215
; %bb.1214:                             ;   in Loop: Header=BB8_1158 Depth=1
	s_wait_alu 0xfffe
	v_mov_b32_e32 v9, s11
	global_store_b128 v[2:3], v[9:12], off offset:8
.LBB8_1215:                             ;   in Loop: Header=BB8_1158 Depth=1
	s_wait_alu 0xfffe
	s_or_b32 exec_lo, exec_lo, s16
	v_cmp_gt_u64_e64 vcc_lo, s[4:5], 56
	v_lshlrev_b64_e32 v[8:9], 12, v[13:14]
	v_or_b32_e32 v34, 0, v7
	v_or_b32_e32 v35, v6, v33
	s_lshl_b32 s11, s6, 2
	s_wait_alu 0xfffe
	s_add_co_i32 s11, s11, 28
	s_wait_alu 0xfffd
	v_cndmask_b32_e32 v14, v34, v7, vcc_lo
	v_cndmask_b32_e32 v6, v35, v6, vcc_lo
	v_add_co_u32 v31, vcc_lo, v31, v8
	s_wait_alu 0xfffd
	v_add_co_ci_u32_e32 v32, vcc_lo, v32, v9, vcc_lo
	s_wait_alu 0xfffe
	s_and_b32 s11, s11, 0x1e0
	v_readfirstlane_b32 s16, v31
	s_wait_alu 0xfffe
	v_and_or_b32 v13, 0xffffff1f, v6, s11
	v_readfirstlane_b32 s17, v32
	s_clause 0x3
	global_store_b128 v51, v[13:16], s[16:17]
	global_store_b128 v51, v[17:20], s[16:17] offset:16
	global_store_b128 v51, v[21:24], s[16:17] offset:32
	;; [unrolled: 1-line block ×3, first 2 shown]
	s_and_saveexec_b32 s11, s0
	s_cbranch_execz .LBB8_1223
; %bb.1216:                             ;   in Loop: Header=BB8_1158 Depth=1
	s_clause 0x1
	global_load_b64 v[17:18], v10, s[34:35] offset:32 scope:SCOPE_SYS
	global_load_b64 v[6:7], v10, s[34:35] offset:40
	s_mov_b32 s16, exec_lo
	v_dual_mov_b32 v15, s10 :: v_dual_mov_b32 v16, s1
	s_wait_loadcnt 0x0
	v_and_b32_e32 v7, s1, v7
	v_and_b32_e32 v6, s10, v6
	s_delay_alu instid0(VALU_DEP_2) | instskip(NEXT) | instid1(VALU_DEP_2)
	v_mul_lo_u32 v7, 24, v7
	v_mul_lo_u32 v8, 0, v6
	v_mul_hi_u32 v9, 24, v6
	v_mul_lo_u32 v6, 24, v6
	s_delay_alu instid0(VALU_DEP_3) | instskip(NEXT) | instid1(VALU_DEP_2)
	v_add_nc_u32_e32 v7, v7, v8
	v_add_co_u32 v13, vcc_lo, v29, v6
	s_delay_alu instid0(VALU_DEP_2) | instskip(SKIP_1) | instid1(VALU_DEP_1)
	v_add_nc_u32_e32 v7, v7, v9
	s_wait_alu 0xfffd
	v_add_co_ci_u32_e32 v14, vcc_lo, v30, v7, vcc_lo
	global_store_b64 v[13:14], v[17:18], off
	global_wb scope:SCOPE_SYS
	s_wait_storecnt 0x0
	global_atomic_cmpswap_b64 v[8:9], v10, v[15:18], s[34:35] offset:32 th:TH_ATOMIC_RETURN scope:SCOPE_SYS
	s_wait_loadcnt 0x0
	v_cmpx_ne_u64_e64 v[8:9], v[17:18]
	s_cbranch_execz .LBB8_1219
; %bb.1217:                             ;   in Loop: Header=BB8_1158 Depth=1
	s_mov_b32 s17, 0
.LBB8_1218:                             ;   Parent Loop BB8_1158 Depth=1
                                        ; =>  This Inner Loop Header: Depth=2
	v_dual_mov_b32 v6, s10 :: v_dual_mov_b32 v7, s1
	s_sleep 1
	global_store_b64 v[13:14], v[8:9], off
	global_wb scope:SCOPE_SYS
	s_wait_storecnt 0x0
	global_atomic_cmpswap_b64 v[6:7], v10, v[6:9], s[34:35] offset:32 th:TH_ATOMIC_RETURN scope:SCOPE_SYS
	s_wait_loadcnt 0x0
	v_cmp_eq_u64_e32 vcc_lo, v[6:7], v[8:9]
	v_dual_mov_b32 v9, v7 :: v_dual_mov_b32 v8, v6
	s_wait_alu 0xfffe
	s_or_b32 s17, vcc_lo, s17
	s_wait_alu 0xfffe
	s_and_not1_b32 exec_lo, exec_lo, s17
	s_cbranch_execnz .LBB8_1218
.LBB8_1219:                             ;   in Loop: Header=BB8_1158 Depth=1
	s_wait_alu 0xfffe
	s_or_b32 exec_lo, exec_lo, s16
	global_load_b64 v[6:7], v10, s[34:35] offset:16
	s_mov_b32 s17, exec_lo
	s_mov_b32 s16, exec_lo
	s_wait_alu 0xfffe
	v_mbcnt_lo_u32_b32 v8, s17, 0
	s_delay_alu instid0(VALU_DEP_1)
	v_cmpx_eq_u32_e32 0, v8
	s_cbranch_execz .LBB8_1221
; %bb.1220:                             ;   in Loop: Header=BB8_1158 Depth=1
	s_bcnt1_i32_b32 s17, s17
	s_wait_alu 0xfffe
	v_mov_b32_e32 v9, s17
	global_wb scope:SCOPE_SYS
	s_wait_loadcnt 0x0
	global_atomic_add_u64 v[6:7], v[9:10], off offset:8 scope:SCOPE_SYS
.LBB8_1221:                             ;   in Loop: Header=BB8_1158 Depth=1
	s_or_b32 exec_lo, exec_lo, s16
	s_wait_loadcnt 0x0
	global_load_b64 v[13:14], v[6:7], off offset:16
	s_wait_loadcnt 0x0
	v_cmp_eq_u64_e32 vcc_lo, 0, v[13:14]
	s_cbranch_vccnz .LBB8_1223
; %bb.1222:                             ;   in Loop: Header=BB8_1158 Depth=1
	global_load_b32 v9, v[6:7], off offset:24
	s_wait_loadcnt 0x0
	v_and_b32_e32 v6, 0xffffff, v9
	global_wb scope:SCOPE_SYS
	s_wait_storecnt 0x0
	global_store_b64 v[13:14], v[9:10], off scope:SCOPE_SYS
	v_readfirstlane_b32 m0, v6
	s_sendmsg sendmsg(MSG_INTERRUPT)
.LBB8_1223:                             ;   in Loop: Header=BB8_1158 Depth=1
	s_wait_alu 0xfffe
	s_or_b32 exec_lo, exec_lo, s11
	v_add_co_u32 v6, vcc_lo, v31, v51
	s_wait_alu 0xfffd
	v_add_co_ci_u32_e32 v7, vcc_lo, 0, v32, vcc_lo
	s_branch .LBB8_1227
.LBB8_1224:                             ;   in Loop: Header=BB8_1227 Depth=2
	s_wait_alu 0xfffe
	s_or_b32 exec_lo, exec_lo, s11
	s_delay_alu instid0(VALU_DEP_1) | instskip(NEXT) | instid1(VALU_DEP_1)
	v_readfirstlane_b32 s11, v8
	s_cmp_eq_u32 s11, 0
	s_cbranch_scc1 .LBB8_1226
; %bb.1225:                             ;   in Loop: Header=BB8_1227 Depth=2
	s_sleep 1
	s_cbranch_execnz .LBB8_1227
	s_branch .LBB8_1229
.LBB8_1226:                             ;   in Loop: Header=BB8_1158 Depth=1
	s_branch .LBB8_1229
.LBB8_1227:                             ;   Parent Loop BB8_1158 Depth=1
                                        ; =>  This Inner Loop Header: Depth=2
	v_mov_b32_e32 v8, 1
	s_and_saveexec_b32 s11, s0
	s_cbranch_execz .LBB8_1224
; %bb.1228:                             ;   in Loop: Header=BB8_1227 Depth=2
	global_load_b32 v8, v[2:3], off offset:20 scope:SCOPE_SYS
	s_wait_loadcnt 0x0
	global_inv scope:SCOPE_SYS
	v_and_b32_e32 v8, 1, v8
	s_branch .LBB8_1224
.LBB8_1229:                             ;   in Loop: Header=BB8_1158 Depth=1
	global_load_b128 v[6:9], v[6:7], off
	s_and_saveexec_b32 s11, s0
	s_cbranch_execz .LBB8_1157
; %bb.1230:                             ;   in Loop: Header=BB8_1158 Depth=1
	s_clause 0x2
	global_load_b64 v[2:3], v10, s[34:35] offset:40
	global_load_b64 v[8:9], v10, s[34:35] offset:24 scope:SCOPE_SYS
	global_load_b64 v[15:16], v10, s[34:35]
	s_wait_loadcnt 0x2
	v_add_co_u32 v17, vcc_lo, v2, 1
	s_wait_alu 0xfffd
	v_add_co_ci_u32_e32 v18, vcc_lo, 0, v3, vcc_lo
	s_delay_alu instid0(VALU_DEP_2) | instskip(SKIP_1) | instid1(VALU_DEP_2)
	v_add_co_u32 v13, vcc_lo, v17, s10
	s_wait_alu 0xfffd
	v_add_co_ci_u32_e32 v14, vcc_lo, s1, v18, vcc_lo
	s_delay_alu instid0(VALU_DEP_1) | instskip(SKIP_2) | instid1(VALU_DEP_1)
	v_cmp_eq_u64_e32 vcc_lo, 0, v[13:14]
	s_wait_alu 0xfffd
	v_dual_cndmask_b32 v14, v14, v18 :: v_dual_cndmask_b32 v13, v13, v17
	v_and_b32_e32 v3, v14, v3
	s_delay_alu instid0(VALU_DEP_2) | instskip(NEXT) | instid1(VALU_DEP_2)
	v_and_b32_e32 v2, v13, v2
	v_mul_lo_u32 v3, 24, v3
	s_delay_alu instid0(VALU_DEP_2) | instskip(SKIP_2) | instid1(VALU_DEP_3)
	v_mul_lo_u32 v17, 0, v2
	v_mul_hi_u32 v18, 24, v2
	v_mul_lo_u32 v2, 24, v2
	v_add_nc_u32_e32 v3, v3, v17
	s_wait_loadcnt 0x0
	s_delay_alu instid0(VALU_DEP_2) | instskip(SKIP_1) | instid1(VALU_DEP_3)
	v_add_co_u32 v2, vcc_lo, v15, v2
	v_mov_b32_e32 v15, v8
	v_add_nc_u32_e32 v3, v3, v18
	s_wait_alu 0xfffd
	s_delay_alu instid0(VALU_DEP_1)
	v_add_co_ci_u32_e32 v3, vcc_lo, v16, v3, vcc_lo
	v_mov_b32_e32 v16, v9
	global_store_b64 v[2:3], v[8:9], off
	global_wb scope:SCOPE_SYS
	s_wait_storecnt 0x0
	global_atomic_cmpswap_b64 v[15:16], v10, v[13:16], s[34:35] offset:24 th:TH_ATOMIC_RETURN scope:SCOPE_SYS
	s_wait_loadcnt 0x0
	v_cmp_ne_u64_e32 vcc_lo, v[15:16], v[8:9]
	s_and_b32 exec_lo, exec_lo, vcc_lo
	s_cbranch_execz .LBB8_1157
; %bb.1231:                             ;   in Loop: Header=BB8_1158 Depth=1
	s_mov_b32 s0, 0
.LBB8_1232:                             ;   Parent Loop BB8_1158 Depth=1
                                        ; =>  This Inner Loop Header: Depth=2
	s_sleep 1
	global_store_b64 v[2:3], v[15:16], off
	global_wb scope:SCOPE_SYS
	s_wait_storecnt 0x0
	global_atomic_cmpswap_b64 v[8:9], v10, v[13:16], s[34:35] offset:24 th:TH_ATOMIC_RETURN scope:SCOPE_SYS
	s_wait_loadcnt 0x0
	v_cmp_eq_u64_e32 vcc_lo, v[8:9], v[15:16]
	v_dual_mov_b32 v16, v9 :: v_dual_mov_b32 v15, v8
	s_wait_alu 0xfffe
	s_or_b32 s0, vcc_lo, s0
	s_wait_alu 0xfffe
	s_and_not1_b32 exec_lo, exec_lo, s0
	s_cbranch_execnz .LBB8_1232
	s_branch .LBB8_1157
.LBB8_1233:
	s_branch .LBB8_1262
.LBB8_1234:
                                        ; implicit-def: $vgpr6_vgpr7
	s_cbranch_execz .LBB8_1262
; %bb.1235:
	v_readfirstlane_b32 s0, v52
	v_mov_b32_e32 v10, 0
	v_mov_b32_e32 v11, 0
	s_wait_alu 0xf1ff
	s_delay_alu instid0(VALU_DEP_3) | instskip(NEXT) | instid1(VALU_DEP_1)
	v_cmp_eq_u32_e64 s0, s0, v52
	s_and_saveexec_b32 s1, s0
	s_cbranch_execz .LBB8_1241
; %bb.1236:
	v_mov_b32_e32 v2, 0
	s_mov_b32 s2, exec_lo
	global_load_b64 v[8:9], v2, s[34:35] offset:24 scope:SCOPE_SYS
	s_wait_loadcnt 0x0
	global_inv scope:SCOPE_SYS
	s_clause 0x1
	global_load_b64 v[6:7], v2, s[34:35] offset:40
	global_load_b64 v[10:11], v2, s[34:35]
	s_wait_loadcnt 0x1
	v_and_b32_e32 v3, v7, v9
	v_and_b32_e32 v6, v6, v8
	s_delay_alu instid0(VALU_DEP_2) | instskip(NEXT) | instid1(VALU_DEP_2)
	v_mul_lo_u32 v3, 24, v3
	v_mul_lo_u32 v7, 0, v6
	v_mul_hi_u32 v12, 24, v6
	v_mul_lo_u32 v6, 24, v6
	s_delay_alu instid0(VALU_DEP_3) | instskip(SKIP_1) | instid1(VALU_DEP_2)
	v_add_nc_u32_e32 v3, v3, v7
	s_wait_loadcnt 0x0
	v_add_co_u32 v6, vcc_lo, v10, v6
	s_delay_alu instid0(VALU_DEP_2) | instskip(SKIP_1) | instid1(VALU_DEP_1)
	v_add_nc_u32_e32 v3, v3, v12
	s_wait_alu 0xfffd
	v_add_co_ci_u32_e32 v7, vcc_lo, v11, v3, vcc_lo
	global_load_b64 v[6:7], v[6:7], off scope:SCOPE_SYS
	s_wait_loadcnt 0x0
	global_atomic_cmpswap_b64 v[10:11], v2, v[6:9], s[34:35] offset:24 th:TH_ATOMIC_RETURN scope:SCOPE_SYS
	s_wait_loadcnt 0x0
	global_inv scope:SCOPE_SYS
	v_cmpx_ne_u64_e64 v[10:11], v[8:9]
	s_cbranch_execz .LBB8_1240
; %bb.1237:
	s_mov_b32 s3, 0
.LBB8_1238:                             ; =>This Inner Loop Header: Depth=1
	s_sleep 1
	s_clause 0x1
	global_load_b64 v[6:7], v2, s[34:35] offset:40
	global_load_b64 v[12:13], v2, s[34:35]
	v_dual_mov_b32 v8, v10 :: v_dual_mov_b32 v9, v11
	s_wait_loadcnt 0x1
	s_delay_alu instid0(VALU_DEP_1) | instskip(NEXT) | instid1(VALU_DEP_2)
	v_and_b32_e32 v3, v6, v8
	v_and_b32_e32 v6, v7, v9
	s_wait_loadcnt 0x0
	s_delay_alu instid0(VALU_DEP_2) | instskip(NEXT) | instid1(VALU_DEP_1)
	v_mad_co_u64_u32 v[10:11], null, v3, 24, v[12:13]
	v_mov_b32_e32 v3, v11
	s_delay_alu instid0(VALU_DEP_1) | instskip(NEXT) | instid1(VALU_DEP_1)
	v_mad_co_u64_u32 v[6:7], null, v6, 24, v[3:4]
	v_mov_b32_e32 v11, v6
	global_load_b64 v[6:7], v[10:11], off scope:SCOPE_SYS
	s_wait_loadcnt 0x0
	global_atomic_cmpswap_b64 v[10:11], v2, v[6:9], s[34:35] offset:24 th:TH_ATOMIC_RETURN scope:SCOPE_SYS
	s_wait_loadcnt 0x0
	global_inv scope:SCOPE_SYS
	v_cmp_eq_u64_e32 vcc_lo, v[10:11], v[8:9]
	s_wait_alu 0xfffe
	s_or_b32 s3, vcc_lo, s3
	s_wait_alu 0xfffe
	s_and_not1_b32 exec_lo, exec_lo, s3
	s_cbranch_execnz .LBB8_1238
; %bb.1239:
	s_or_b32 exec_lo, exec_lo, s3
.LBB8_1240:
	s_wait_alu 0xfffe
	s_or_b32 exec_lo, exec_lo, s2
.LBB8_1241:
	s_wait_alu 0xfffe
	s_or_b32 exec_lo, exec_lo, s1
	v_readfirstlane_b32 s1, v11
	v_mov_b32_e32 v2, 0
	v_readfirstlane_b32 s2, v10
	s_mov_b32 s3, exec_lo
	s_clause 0x1
	global_load_b64 v[12:13], v2, s[34:35] offset:40
	global_load_b128 v[6:9], v2, s[34:35]
	s_wait_loadcnt 0x1
	s_wait_alu 0xf1ff
	v_and_b32_e32 v13, s1, v13
	v_and_b32_e32 v12, s2, v12
	s_delay_alu instid0(VALU_DEP_2) | instskip(NEXT) | instid1(VALU_DEP_2)
	v_mul_lo_u32 v3, 24, v13
	v_mul_lo_u32 v10, 0, v12
	v_mul_hi_u32 v11, 24, v12
	v_mul_lo_u32 v14, 24, v12
	s_delay_alu instid0(VALU_DEP_3) | instskip(SKIP_1) | instid1(VALU_DEP_2)
	v_add_nc_u32_e32 v3, v3, v10
	s_wait_loadcnt 0x0
	v_add_co_u32 v10, vcc_lo, v6, v14
	s_delay_alu instid0(VALU_DEP_2) | instskip(SKIP_1) | instid1(VALU_DEP_1)
	v_add_nc_u32_e32 v3, v3, v11
	s_wait_alu 0xfffd
	v_add_co_ci_u32_e32 v11, vcc_lo, v7, v3, vcc_lo
	s_and_saveexec_b32 s4, s0
	s_cbranch_execz .LBB8_1243
; %bb.1242:
	s_wait_alu 0xfffe
	v_dual_mov_b32 v14, s3 :: v_dual_mov_b32 v15, v2
	v_dual_mov_b32 v16, 2 :: v_dual_mov_b32 v17, 1
	global_store_b128 v[10:11], v[14:17], off offset:8
.LBB8_1243:
	s_wait_alu 0xfffe
	s_or_b32 exec_lo, exec_lo, s4
	v_lshlrev_b64_e32 v[12:13], 12, v[12:13]
	s_mov_b32 s4, 0
	v_and_or_b32 v0, 0xffffff1f, v0, 32
	s_wait_alu 0xfffe
	s_mov_b32 s7, s4
	s_mov_b32 s5, s4
	;; [unrolled: 1-line block ×3, first 2 shown]
	v_add_co_u32 v8, vcc_lo, v8, v12
	s_wait_alu 0xfffd
	v_add_co_ci_u32_e32 v9, vcc_lo, v9, v13, vcc_lo
	v_mov_b32_e32 v3, v2
	s_delay_alu instid0(VALU_DEP_3) | instskip(SKIP_1) | instid1(VALU_DEP_4)
	v_readfirstlane_b32 s10, v8
	v_add_co_u32 v8, vcc_lo, v8, v51
	v_readfirstlane_b32 s11, v9
	s_wait_alu 0xfffe
	v_dual_mov_b32 v15, s7 :: v_dual_mov_b32 v12, s4
	s_wait_alu 0xfffd
	v_add_co_ci_u32_e32 v9, vcc_lo, 0, v9, vcc_lo
	v_dual_mov_b32 v14, s6 :: v_dual_mov_b32 v13, s5
	s_clause 0x3
	global_store_b128 v51, v[0:3], s[10:11]
	global_store_b128 v51, v[12:15], s[10:11] offset:16
	global_store_b128 v51, v[12:15], s[10:11] offset:32
	;; [unrolled: 1-line block ×3, first 2 shown]
	s_and_saveexec_b32 s3, s0
	s_cbranch_execz .LBB8_1251
; %bb.1244:
	v_mov_b32_e32 v12, 0
	s_mov_b32 s4, exec_lo
	s_clause 0x1
	global_load_b64 v[15:16], v12, s[34:35] offset:32 scope:SCOPE_SYS
	global_load_b64 v[0:1], v12, s[34:35] offset:40
	v_dual_mov_b32 v13, s2 :: v_dual_mov_b32 v14, s1
	s_wait_loadcnt 0x0
	v_and_b32_e32 v1, s1, v1
	v_and_b32_e32 v0, s2, v0
	s_delay_alu instid0(VALU_DEP_2) | instskip(NEXT) | instid1(VALU_DEP_2)
	v_mul_lo_u32 v1, 24, v1
	v_mul_lo_u32 v2, 0, v0
	v_mul_hi_u32 v3, 24, v0
	v_mul_lo_u32 v0, 24, v0
	s_delay_alu instid0(VALU_DEP_3) | instskip(NEXT) | instid1(VALU_DEP_2)
	v_add_nc_u32_e32 v1, v1, v2
	v_add_co_u32 v6, vcc_lo, v6, v0
	s_delay_alu instid0(VALU_DEP_2) | instskip(SKIP_1) | instid1(VALU_DEP_1)
	v_add_nc_u32_e32 v1, v1, v3
	s_wait_alu 0xfffd
	v_add_co_ci_u32_e32 v7, vcc_lo, v7, v1, vcc_lo
	global_store_b64 v[6:7], v[15:16], off
	global_wb scope:SCOPE_SYS
	s_wait_storecnt 0x0
	global_atomic_cmpswap_b64 v[2:3], v12, v[13:16], s[34:35] offset:32 th:TH_ATOMIC_RETURN scope:SCOPE_SYS
	s_wait_loadcnt 0x0
	v_cmpx_ne_u64_e64 v[2:3], v[15:16]
	s_cbranch_execz .LBB8_1247
; %bb.1245:
	s_mov_b32 s5, 0
.LBB8_1246:                             ; =>This Inner Loop Header: Depth=1
	v_dual_mov_b32 v0, s2 :: v_dual_mov_b32 v1, s1
	s_sleep 1
	global_store_b64 v[6:7], v[2:3], off
	global_wb scope:SCOPE_SYS
	s_wait_storecnt 0x0
	global_atomic_cmpswap_b64 v[0:1], v12, v[0:3], s[34:35] offset:32 th:TH_ATOMIC_RETURN scope:SCOPE_SYS
	s_wait_loadcnt 0x0
	v_cmp_eq_u64_e32 vcc_lo, v[0:1], v[2:3]
	v_dual_mov_b32 v3, v1 :: v_dual_mov_b32 v2, v0
	s_wait_alu 0xfffe
	s_or_b32 s5, vcc_lo, s5
	s_wait_alu 0xfffe
	s_and_not1_b32 exec_lo, exec_lo, s5
	s_cbranch_execnz .LBB8_1246
.LBB8_1247:
	s_wait_alu 0xfffe
	s_or_b32 exec_lo, exec_lo, s4
	v_mov_b32_e32 v3, 0
	s_mov_b32 s5, exec_lo
	s_mov_b32 s4, exec_lo
	s_wait_alu 0xfffe
	v_mbcnt_lo_u32_b32 v2, s5, 0
	global_load_b64 v[0:1], v3, s[34:35] offset:16
	v_cmpx_eq_u32_e32 0, v2
	s_cbranch_execz .LBB8_1249
; %bb.1248:
	s_bcnt1_i32_b32 s5, s5
	s_wait_alu 0xfffe
	v_mov_b32_e32 v2, s5
	global_wb scope:SCOPE_SYS
	s_wait_loadcnt 0x0
	global_atomic_add_u64 v[0:1], v[2:3], off offset:8 scope:SCOPE_SYS
.LBB8_1249:
	s_or_b32 exec_lo, exec_lo, s4
	s_wait_loadcnt 0x0
	global_load_b64 v[2:3], v[0:1], off offset:16
	s_wait_loadcnt 0x0
	v_cmp_eq_u64_e32 vcc_lo, 0, v[2:3]
	s_cbranch_vccnz .LBB8_1251
; %bb.1250:
	global_load_b32 v0, v[0:1], off offset:24
	s_wait_loadcnt 0x0
	v_dual_mov_b32 v1, 0 :: v_dual_and_b32 v6, 0xffffff, v0
	global_wb scope:SCOPE_SYS
	s_wait_storecnt 0x0
	global_store_b64 v[2:3], v[0:1], off scope:SCOPE_SYS
	v_readfirstlane_b32 m0, v6
	s_sendmsg sendmsg(MSG_INTERRUPT)
.LBB8_1251:
	s_wait_alu 0xfffe
	s_or_b32 exec_lo, exec_lo, s3
	s_branch .LBB8_1255
.LBB8_1252:                             ;   in Loop: Header=BB8_1255 Depth=1
	s_wait_alu 0xfffe
	s_or_b32 exec_lo, exec_lo, s3
	s_delay_alu instid0(VALU_DEP_1) | instskip(NEXT) | instid1(VALU_DEP_1)
	v_readfirstlane_b32 s3, v0
	s_cmp_eq_u32 s3, 0
	s_cbranch_scc1 .LBB8_1254
; %bb.1253:                             ;   in Loop: Header=BB8_1255 Depth=1
	s_sleep 1
	s_cbranch_execnz .LBB8_1255
	s_branch .LBB8_1257
.LBB8_1254:
	s_branch .LBB8_1257
.LBB8_1255:                             ; =>This Inner Loop Header: Depth=1
	v_mov_b32_e32 v0, 1
	s_and_saveexec_b32 s3, s0
	s_cbranch_execz .LBB8_1252
; %bb.1256:                             ;   in Loop: Header=BB8_1255 Depth=1
	global_load_b32 v0, v[10:11], off offset:20 scope:SCOPE_SYS
	s_wait_loadcnt 0x0
	global_inv scope:SCOPE_SYS
	v_and_b32_e32 v0, 1, v0
	s_branch .LBB8_1252
.LBB8_1257:
	global_load_b64 v[6:7], v[8:9], off
	s_and_saveexec_b32 s3, s0
	s_cbranch_execz .LBB8_1261
; %bb.1258:
	v_mov_b32_e32 v10, 0
	s_clause 0x2
	global_load_b64 v[2:3], v10, s[34:35] offset:40
	global_load_b64 v[11:12], v10, s[34:35] offset:24 scope:SCOPE_SYS
	global_load_b64 v[8:9], v10, s[34:35]
	s_wait_loadcnt 0x2
	v_add_co_u32 v13, vcc_lo, v2, 1
	s_wait_alu 0xfffd
	v_add_co_ci_u32_e32 v14, vcc_lo, 0, v3, vcc_lo
	s_delay_alu instid0(VALU_DEP_2) | instskip(SKIP_1) | instid1(VALU_DEP_2)
	v_add_co_u32 v0, vcc_lo, v13, s2
	s_wait_alu 0xfffd
	v_add_co_ci_u32_e32 v1, vcc_lo, s1, v14, vcc_lo
	s_delay_alu instid0(VALU_DEP_1) | instskip(SKIP_2) | instid1(VALU_DEP_1)
	v_cmp_eq_u64_e32 vcc_lo, 0, v[0:1]
	s_wait_alu 0xfffd
	v_dual_cndmask_b32 v1, v1, v14 :: v_dual_cndmask_b32 v0, v0, v13
	v_and_b32_e32 v3, v1, v3
	s_delay_alu instid0(VALU_DEP_2) | instskip(NEXT) | instid1(VALU_DEP_2)
	v_and_b32_e32 v2, v0, v2
	v_mul_lo_u32 v3, 24, v3
	s_delay_alu instid0(VALU_DEP_2) | instskip(SKIP_2) | instid1(VALU_DEP_3)
	v_mul_lo_u32 v13, 0, v2
	v_mul_hi_u32 v14, 24, v2
	v_mul_lo_u32 v2, 24, v2
	v_add_nc_u32_e32 v3, v3, v13
	s_wait_loadcnt 0x0
	s_delay_alu instid0(VALU_DEP_2) | instskip(SKIP_1) | instid1(VALU_DEP_3)
	v_add_co_u32 v8, vcc_lo, v8, v2
	v_mov_b32_e32 v2, v11
	v_add_nc_u32_e32 v3, v3, v14
	s_wait_alu 0xfffd
	s_delay_alu instid0(VALU_DEP_1)
	v_add_co_ci_u32_e32 v9, vcc_lo, v9, v3, vcc_lo
	v_mov_b32_e32 v3, v12
	global_store_b64 v[8:9], v[11:12], off
	global_wb scope:SCOPE_SYS
	s_wait_storecnt 0x0
	global_atomic_cmpswap_b64 v[2:3], v10, v[0:3], s[34:35] offset:24 th:TH_ATOMIC_RETURN scope:SCOPE_SYS
	s_wait_loadcnt 0x0
	v_cmp_ne_u64_e32 vcc_lo, v[2:3], v[11:12]
	s_and_b32 exec_lo, exec_lo, vcc_lo
	s_cbranch_execz .LBB8_1261
; %bb.1259:
	s_mov_b32 s0, 0
.LBB8_1260:                             ; =>This Inner Loop Header: Depth=1
	s_sleep 1
	global_store_b64 v[8:9], v[2:3], off
	global_wb scope:SCOPE_SYS
	s_wait_storecnt 0x0
	global_atomic_cmpswap_b64 v[11:12], v10, v[0:3], s[34:35] offset:24 th:TH_ATOMIC_RETURN scope:SCOPE_SYS
	s_wait_loadcnt 0x0
	v_cmp_eq_u64_e32 vcc_lo, v[11:12], v[2:3]
	v_dual_mov_b32 v2, v11 :: v_dual_mov_b32 v3, v12
	s_wait_alu 0xfffe
	s_or_b32 s0, vcc_lo, s0
	s_wait_alu 0xfffe
	s_and_not1_b32 exec_lo, exec_lo, s0
	s_cbranch_execnz .LBB8_1260
.LBB8_1261:
	s_wait_alu 0xfffe
	s_or_b32 exec_lo, exec_lo, s3
.LBB8_1262:
	v_readfirstlane_b32 s0, v52
	v_mov_b32_e32 v10, 0
	v_mov_b32_e32 v11, 0
	s_wait_alu 0xf1ff
	s_delay_alu instid0(VALU_DEP_3) | instskip(NEXT) | instid1(VALU_DEP_1)
	v_cmp_eq_u32_e64 s0, s0, v52
	s_and_saveexec_b32 s1, s0
	s_cbranch_execz .LBB8_1268
; %bb.1263:
	s_wait_loadcnt 0x0
	v_mov_b32_e32 v0, 0
	s_mov_b32 s2, exec_lo
	global_load_b64 v[12:13], v0, s[34:35] offset:24 scope:SCOPE_SYS
	s_wait_loadcnt 0x0
	global_inv scope:SCOPE_SYS
	s_clause 0x1
	global_load_b64 v[1:2], v0, s[34:35] offset:40
	global_load_b64 v[8:9], v0, s[34:35]
	s_wait_loadcnt 0x1
	v_and_b32_e32 v1, v1, v12
	v_and_b32_e32 v2, v2, v13
	s_delay_alu instid0(VALU_DEP_2) | instskip(NEXT) | instid1(VALU_DEP_2)
	v_mul_lo_u32 v3, 0, v1
	v_mul_lo_u32 v2, 24, v2
	v_mul_hi_u32 v10, 24, v1
	v_mul_lo_u32 v1, 24, v1
	s_delay_alu instid0(VALU_DEP_3) | instskip(SKIP_1) | instid1(VALU_DEP_2)
	v_add_nc_u32_e32 v2, v2, v3
	s_wait_loadcnt 0x0
	v_add_co_u32 v1, vcc_lo, v8, v1
	s_delay_alu instid0(VALU_DEP_2) | instskip(SKIP_1) | instid1(VALU_DEP_1)
	v_add_nc_u32_e32 v2, v2, v10
	s_wait_alu 0xfffd
	v_add_co_ci_u32_e32 v2, vcc_lo, v9, v2, vcc_lo
	global_load_b64 v[10:11], v[1:2], off scope:SCOPE_SYS
	s_wait_loadcnt 0x0
	global_atomic_cmpswap_b64 v[10:11], v0, v[10:13], s[34:35] offset:24 th:TH_ATOMIC_RETURN scope:SCOPE_SYS
	s_wait_loadcnt 0x0
	global_inv scope:SCOPE_SYS
	v_cmpx_ne_u64_e64 v[10:11], v[12:13]
	s_cbranch_execz .LBB8_1267
; %bb.1264:
	s_mov_b32 s3, 0
.LBB8_1265:                             ; =>This Inner Loop Header: Depth=1
	s_sleep 1
	s_clause 0x1
	global_load_b64 v[1:2], v0, s[34:35] offset:40
	global_load_b64 v[8:9], v0, s[34:35]
	v_dual_mov_b32 v13, v11 :: v_dual_mov_b32 v12, v10
	s_wait_loadcnt 0x1
	s_delay_alu instid0(VALU_DEP_1) | instskip(SKIP_1) | instid1(VALU_DEP_1)
	v_and_b32_e32 v1, v1, v12
	s_wait_loadcnt 0x0
	v_mad_co_u64_u32 v[8:9], null, v1, 24, v[8:9]
	s_delay_alu instid0(VALU_DEP_1) | instskip(NEXT) | instid1(VALU_DEP_1)
	v_dual_mov_b32 v1, v9 :: v_dual_and_b32 v2, v2, v13
	v_mad_co_u64_u32 v[1:2], null, v2, 24, v[1:2]
	s_delay_alu instid0(VALU_DEP_1)
	v_mov_b32_e32 v9, v1
	global_load_b64 v[10:11], v[8:9], off scope:SCOPE_SYS
	s_wait_loadcnt 0x0
	global_atomic_cmpswap_b64 v[10:11], v0, v[10:13], s[34:35] offset:24 th:TH_ATOMIC_RETURN scope:SCOPE_SYS
	s_wait_loadcnt 0x0
	global_inv scope:SCOPE_SYS
	v_cmp_eq_u64_e32 vcc_lo, v[10:11], v[12:13]
	s_wait_alu 0xfffe
	s_or_b32 s3, vcc_lo, s3
	s_wait_alu 0xfffe
	s_and_not1_b32 exec_lo, exec_lo, s3
	s_cbranch_execnz .LBB8_1265
; %bb.1266:
	s_or_b32 exec_lo, exec_lo, s3
.LBB8_1267:
	s_wait_alu 0xfffe
	s_or_b32 exec_lo, exec_lo, s2
.LBB8_1268:
	s_wait_alu 0xfffe
	s_or_b32 exec_lo, exec_lo, s1
	v_readfirstlane_b32 s2, v10
	s_wait_loadcnt 0x0
	v_mov_b32_e32 v9, 0
	v_readfirstlane_b32 s1, v11
	s_mov_b32 s3, exec_lo
	s_clause 0x1
	global_load_b64 v[12:13], v9, s[34:35] offset:40
	global_load_b128 v[0:3], v9, s[34:35]
	s_wait_loadcnt 0x1
	s_wait_alu 0xf1ff
	v_and_b32_e32 v12, s2, v12
	v_and_b32_e32 v13, s1, v13
	s_delay_alu instid0(VALU_DEP_2) | instskip(NEXT) | instid1(VALU_DEP_2)
	v_mul_lo_u32 v10, 0, v12
	v_mul_lo_u32 v8, 24, v13
	v_mul_hi_u32 v11, 24, v12
	v_mul_lo_u32 v14, 24, v12
	s_delay_alu instid0(VALU_DEP_3) | instskip(SKIP_1) | instid1(VALU_DEP_2)
	v_add_nc_u32_e32 v8, v8, v10
	s_wait_loadcnt 0x0
	v_add_co_u32 v10, vcc_lo, v0, v14
	s_delay_alu instid0(VALU_DEP_2) | instskip(SKIP_1) | instid1(VALU_DEP_1)
	v_add_nc_u32_e32 v8, v8, v11
	s_wait_alu 0xfffd
	v_add_co_ci_u32_e32 v11, vcc_lo, v1, v8, vcc_lo
	s_and_saveexec_b32 s4, s0
	s_cbranch_execz .LBB8_1270
; %bb.1269:
	s_wait_alu 0xfffe
	v_dual_mov_b32 v8, s3 :: v_dual_mov_b32 v17, 1
	v_dual_mov_b32 v16, 2 :: v_dual_mov_b32 v15, v9
	s_delay_alu instid0(VALU_DEP_2)
	v_mov_b32_e32 v14, v8
	global_store_b128 v[10:11], v[14:17], off offset:8
.LBB8_1270:
	s_wait_alu 0xfffe
	s_or_b32 exec_lo, exec_lo, s4
	v_lshlrev_b64_e32 v[12:13], 12, v[12:13]
	s_mov_b32 s4, 0
	v_and_or_b32 v6, 0xffffff1d, v6, 34
	s_wait_alu 0xfffe
	s_mov_b32 s7, s4
	s_mov_b32 s5, s4
	;; [unrolled: 1-line block ×3, first 2 shown]
	v_add_co_u32 v2, vcc_lo, v2, v12
	s_wait_alu 0xfffd
	v_add_co_ci_u32_e32 v3, vcc_lo, v3, v13, vcc_lo
	s_wait_alu 0xfffe
	v_dual_mov_b32 v8, 10 :: v_dual_mov_b32 v15, s7
	v_readfirstlane_b32 s10, v2
	s_delay_alu instid0(VALU_DEP_3)
	v_readfirstlane_b32 s11, v3
	v_dual_mov_b32 v14, s6 :: v_dual_mov_b32 v13, s5
	v_mov_b32_e32 v12, s4
	s_clause 0x3
	global_store_b128 v51, v[6:9], s[10:11]
	global_store_b128 v51, v[12:15], s[10:11] offset:16
	global_store_b128 v51, v[12:15], s[10:11] offset:32
	global_store_b128 v51, v[12:15], s[10:11] offset:48
	s_and_saveexec_b32 s3, s0
	s_cbranch_execz .LBB8_1278
; %bb.1271:
	v_mov_b32_e32 v8, 0
	s_mov_b32 s4, exec_lo
	s_clause 0x1
	global_load_b64 v[14:15], v8, s[34:35] offset:32 scope:SCOPE_SYS
	global_load_b64 v[2:3], v8, s[34:35] offset:40
	v_dual_mov_b32 v13, s1 :: v_dual_mov_b32 v12, s2
	s_wait_loadcnt 0x0
	v_and_b32_e32 v3, s1, v3
	v_and_b32_e32 v2, s2, v2
	s_delay_alu instid0(VALU_DEP_2) | instskip(NEXT) | instid1(VALU_DEP_2)
	v_mul_lo_u32 v3, 24, v3
	v_mul_lo_u32 v6, 0, v2
	v_mul_hi_u32 v7, 24, v2
	v_mul_lo_u32 v2, 24, v2
	s_delay_alu instid0(VALU_DEP_3) | instskip(NEXT) | instid1(VALU_DEP_2)
	v_add_nc_u32_e32 v3, v3, v6
	v_add_co_u32 v6, vcc_lo, v0, v2
	s_delay_alu instid0(VALU_DEP_2) | instskip(SKIP_1) | instid1(VALU_DEP_1)
	v_add_nc_u32_e32 v3, v3, v7
	s_wait_alu 0xfffd
	v_add_co_ci_u32_e32 v7, vcc_lo, v1, v3, vcc_lo
	global_store_b64 v[6:7], v[14:15], off
	global_wb scope:SCOPE_SYS
	s_wait_storecnt 0x0
	global_atomic_cmpswap_b64 v[2:3], v8, v[12:15], s[34:35] offset:32 th:TH_ATOMIC_RETURN scope:SCOPE_SYS
	s_wait_loadcnt 0x0
	v_cmpx_ne_u64_e64 v[2:3], v[14:15]
	s_cbranch_execz .LBB8_1274
; %bb.1272:
	s_mov_b32 s5, 0
.LBB8_1273:                             ; =>This Inner Loop Header: Depth=1
	v_dual_mov_b32 v0, s2 :: v_dual_mov_b32 v1, s1
	s_sleep 1
	global_store_b64 v[6:7], v[2:3], off
	global_wb scope:SCOPE_SYS
	s_wait_storecnt 0x0
	global_atomic_cmpswap_b64 v[0:1], v8, v[0:3], s[34:35] offset:32 th:TH_ATOMIC_RETURN scope:SCOPE_SYS
	s_wait_loadcnt 0x0
	v_cmp_eq_u64_e32 vcc_lo, v[0:1], v[2:3]
	v_dual_mov_b32 v3, v1 :: v_dual_mov_b32 v2, v0
	s_wait_alu 0xfffe
	s_or_b32 s5, vcc_lo, s5
	s_wait_alu 0xfffe
	s_and_not1_b32 exec_lo, exec_lo, s5
	s_cbranch_execnz .LBB8_1273
.LBB8_1274:
	s_wait_alu 0xfffe
	s_or_b32 exec_lo, exec_lo, s4
	v_mov_b32_e32 v3, 0
	s_mov_b32 s5, exec_lo
	s_mov_b32 s4, exec_lo
	s_wait_alu 0xfffe
	v_mbcnt_lo_u32_b32 v2, s5, 0
	global_load_b64 v[0:1], v3, s[34:35] offset:16
	v_cmpx_eq_u32_e32 0, v2
	s_cbranch_execz .LBB8_1276
; %bb.1275:
	s_bcnt1_i32_b32 s5, s5
	s_wait_alu 0xfffe
	v_mov_b32_e32 v2, s5
	global_wb scope:SCOPE_SYS
	s_wait_loadcnt 0x0
	global_atomic_add_u64 v[0:1], v[2:3], off offset:8 scope:SCOPE_SYS
.LBB8_1276:
	s_or_b32 exec_lo, exec_lo, s4
	s_wait_loadcnt 0x0
	global_load_b64 v[2:3], v[0:1], off offset:16
	s_wait_loadcnt 0x0
	v_cmp_eq_u64_e32 vcc_lo, 0, v[2:3]
	s_cbranch_vccnz .LBB8_1278
; %bb.1277:
	global_load_b32 v0, v[0:1], off offset:24
	s_wait_loadcnt 0x0
	v_dual_mov_b32 v1, 0 :: v_dual_and_b32 v6, 0xffffff, v0
	global_wb scope:SCOPE_SYS
	s_wait_storecnt 0x0
	global_store_b64 v[2:3], v[0:1], off scope:SCOPE_SYS
	v_readfirstlane_b32 m0, v6
	s_sendmsg sendmsg(MSG_INTERRUPT)
.LBB8_1278:
	s_wait_alu 0xfffe
	s_or_b32 exec_lo, exec_lo, s3
	s_branch .LBB8_1282
.LBB8_1279:                             ;   in Loop: Header=BB8_1282 Depth=1
	s_wait_alu 0xfffe
	s_or_b32 exec_lo, exec_lo, s3
	s_delay_alu instid0(VALU_DEP_1) | instskip(NEXT) | instid1(VALU_DEP_1)
	v_readfirstlane_b32 s3, v0
	s_cmp_eq_u32 s3, 0
	s_cbranch_scc1 .LBB8_1281
; %bb.1280:                             ;   in Loop: Header=BB8_1282 Depth=1
	s_sleep 1
	s_cbranch_execnz .LBB8_1282
	s_branch .LBB8_1284
.LBB8_1281:
	s_branch .LBB8_1284
.LBB8_1282:                             ; =>This Inner Loop Header: Depth=1
	v_mov_b32_e32 v0, 1
	s_and_saveexec_b32 s3, s0
	s_cbranch_execz .LBB8_1279
; %bb.1283:                             ;   in Loop: Header=BB8_1282 Depth=1
	global_load_b32 v0, v[10:11], off offset:20 scope:SCOPE_SYS
	s_wait_loadcnt 0x0
	global_inv scope:SCOPE_SYS
	v_and_b32_e32 v0, 1, v0
	s_branch .LBB8_1279
.LBB8_1284:
	s_and_saveexec_b32 s3, s0
	s_cbranch_execz .LBB8_1288
; %bb.1285:
	v_mov_b32_e32 v8, 0
	s_clause 0x2
	global_load_b64 v[2:3], v8, s[34:35] offset:40
	global_load_b64 v[9:10], v8, s[34:35] offset:24 scope:SCOPE_SYS
	global_load_b64 v[6:7], v8, s[34:35]
	s_wait_loadcnt 0x2
	v_add_co_u32 v11, vcc_lo, v2, 1
	s_wait_alu 0xfffd
	v_add_co_ci_u32_e32 v12, vcc_lo, 0, v3, vcc_lo
	s_delay_alu instid0(VALU_DEP_2) | instskip(SKIP_1) | instid1(VALU_DEP_2)
	v_add_co_u32 v0, vcc_lo, v11, s2
	s_wait_alu 0xfffd
	v_add_co_ci_u32_e32 v1, vcc_lo, s1, v12, vcc_lo
	s_delay_alu instid0(VALU_DEP_1) | instskip(SKIP_2) | instid1(VALU_DEP_1)
	v_cmp_eq_u64_e32 vcc_lo, 0, v[0:1]
	s_wait_alu 0xfffd
	v_dual_cndmask_b32 v1, v1, v12 :: v_dual_cndmask_b32 v0, v0, v11
	v_and_b32_e32 v3, v1, v3
	s_delay_alu instid0(VALU_DEP_2) | instskip(NEXT) | instid1(VALU_DEP_2)
	v_and_b32_e32 v2, v0, v2
	v_mul_lo_u32 v3, 24, v3
	s_delay_alu instid0(VALU_DEP_2) | instskip(SKIP_2) | instid1(VALU_DEP_3)
	v_mul_lo_u32 v11, 0, v2
	v_mul_hi_u32 v12, 24, v2
	v_mul_lo_u32 v2, 24, v2
	v_add_nc_u32_e32 v3, v3, v11
	s_wait_loadcnt 0x0
	s_delay_alu instid0(VALU_DEP_2) | instskip(NEXT) | instid1(VALU_DEP_2)
	v_add_co_u32 v6, vcc_lo, v6, v2
	v_dual_mov_b32 v2, v9 :: v_dual_add_nc_u32 v3, v3, v12
	s_wait_alu 0xfffd
	s_delay_alu instid0(VALU_DEP_1)
	v_add_co_ci_u32_e32 v7, vcc_lo, v7, v3, vcc_lo
	v_mov_b32_e32 v3, v10
	global_store_b64 v[6:7], v[9:10], off
	global_wb scope:SCOPE_SYS
	s_wait_storecnt 0x0
	global_atomic_cmpswap_b64 v[2:3], v8, v[0:3], s[34:35] offset:24 th:TH_ATOMIC_RETURN scope:SCOPE_SYS
	s_wait_loadcnt 0x0
	v_cmp_ne_u64_e32 vcc_lo, v[2:3], v[9:10]
	s_and_b32 exec_lo, exec_lo, vcc_lo
	s_cbranch_execz .LBB8_1288
; %bb.1286:
	s_mov_b32 s0, 0
.LBB8_1287:                             ; =>This Inner Loop Header: Depth=1
	s_sleep 1
	global_store_b64 v[6:7], v[2:3], off
	global_wb scope:SCOPE_SYS
	s_wait_storecnt 0x0
	global_atomic_cmpswap_b64 v[9:10], v8, v[0:3], s[34:35] offset:24 th:TH_ATOMIC_RETURN scope:SCOPE_SYS
	s_wait_loadcnt 0x0
	v_cmp_eq_u64_e32 vcc_lo, v[9:10], v[2:3]
	v_dual_mov_b32 v2, v9 :: v_dual_mov_b32 v3, v10
	s_wait_alu 0xfffe
	s_or_b32 s0, vcc_lo, s0
	s_wait_alu 0xfffe
	s_and_not1_b32 exec_lo, exec_lo, s0
	s_cbranch_execnz .LBB8_1287
.LBB8_1288:
	s_wait_alu 0xfffe
	s_or_b32 exec_lo, exec_lo, s3
	v_readfirstlane_b32 s0, v52
	v_mov_b32_e32 v8, 0
	v_mov_b32_e32 v9, 0
	s_wait_alu 0xf1ff
	s_delay_alu instid0(VALU_DEP_3) | instskip(NEXT) | instid1(VALU_DEP_1)
	v_cmp_eq_u32_e64 s0, s0, v52
	s_and_saveexec_b32 s1, s0
	s_cbranch_execz .LBB8_1294
; %bb.1289:
	v_mov_b32_e32 v0, 0
	s_mov_b32 s2, exec_lo
	global_load_b64 v[10:11], v0, s[34:35] offset:24 scope:SCOPE_SYS
	s_wait_loadcnt 0x0
	global_inv scope:SCOPE_SYS
	s_clause 0x1
	global_load_b64 v[1:2], v0, s[34:35] offset:40
	global_load_b64 v[6:7], v0, s[34:35]
	s_wait_loadcnt 0x1
	v_and_b32_e32 v1, v1, v10
	v_and_b32_e32 v2, v2, v11
	s_delay_alu instid0(VALU_DEP_2) | instskip(NEXT) | instid1(VALU_DEP_2)
	v_mul_lo_u32 v3, 0, v1
	v_mul_lo_u32 v2, 24, v2
	v_mul_hi_u32 v8, 24, v1
	v_mul_lo_u32 v1, 24, v1
	s_delay_alu instid0(VALU_DEP_3) | instskip(SKIP_1) | instid1(VALU_DEP_2)
	v_add_nc_u32_e32 v2, v2, v3
	s_wait_loadcnt 0x0
	v_add_co_u32 v1, vcc_lo, v6, v1
	s_delay_alu instid0(VALU_DEP_2) | instskip(SKIP_1) | instid1(VALU_DEP_1)
	v_add_nc_u32_e32 v2, v2, v8
	s_wait_alu 0xfffd
	v_add_co_ci_u32_e32 v2, vcc_lo, v7, v2, vcc_lo
	global_load_b64 v[8:9], v[1:2], off scope:SCOPE_SYS
	s_wait_loadcnt 0x0
	global_atomic_cmpswap_b64 v[8:9], v0, v[8:11], s[34:35] offset:24 th:TH_ATOMIC_RETURN scope:SCOPE_SYS
	s_wait_loadcnt 0x0
	global_inv scope:SCOPE_SYS
	v_cmpx_ne_u64_e64 v[8:9], v[10:11]
	s_cbranch_execz .LBB8_1293
; %bb.1290:
	s_mov_b32 s3, 0
.LBB8_1291:                             ; =>This Inner Loop Header: Depth=1
	s_sleep 1
	s_clause 0x1
	global_load_b64 v[1:2], v0, s[34:35] offset:40
	global_load_b64 v[6:7], v0, s[34:35]
	v_dual_mov_b32 v11, v9 :: v_dual_mov_b32 v10, v8
	s_wait_loadcnt 0x1
	s_delay_alu instid0(VALU_DEP_1) | instskip(SKIP_1) | instid1(VALU_DEP_1)
	v_and_b32_e32 v1, v1, v10
	s_wait_loadcnt 0x0
	v_mad_co_u64_u32 v[6:7], null, v1, 24, v[6:7]
	s_delay_alu instid0(VALU_DEP_1) | instskip(NEXT) | instid1(VALU_DEP_1)
	v_dual_mov_b32 v1, v7 :: v_dual_and_b32 v2, v2, v11
	v_mad_co_u64_u32 v[1:2], null, v2, 24, v[1:2]
	s_delay_alu instid0(VALU_DEP_1)
	v_mov_b32_e32 v7, v1
	global_load_b64 v[8:9], v[6:7], off scope:SCOPE_SYS
	s_wait_loadcnt 0x0
	global_atomic_cmpswap_b64 v[8:9], v0, v[8:11], s[34:35] offset:24 th:TH_ATOMIC_RETURN scope:SCOPE_SYS
	s_wait_loadcnt 0x0
	global_inv scope:SCOPE_SYS
	v_cmp_eq_u64_e32 vcc_lo, v[8:9], v[10:11]
	s_wait_alu 0xfffe
	s_or_b32 s3, vcc_lo, s3
	s_wait_alu 0xfffe
	s_and_not1_b32 exec_lo, exec_lo, s3
	s_cbranch_execnz .LBB8_1291
; %bb.1292:
	s_or_b32 exec_lo, exec_lo, s3
.LBB8_1293:
	s_wait_alu 0xfffe
	s_or_b32 exec_lo, exec_lo, s2
.LBB8_1294:
	s_wait_alu 0xfffe
	s_or_b32 exec_lo, exec_lo, s1
	v_readfirstlane_b32 s2, v8
	v_mov_b32_e32 v7, 0
	v_readfirstlane_b32 s1, v9
	s_mov_b32 s3, exec_lo
	s_clause 0x1
	global_load_b64 v[10:11], v7, s[34:35] offset:40
	global_load_b128 v[0:3], v7, s[34:35]
	s_wait_loadcnt 0x1
	s_wait_alu 0xf1ff
	v_and_b32_e32 v12, s2, v10
	v_and_b32_e32 v13, s1, v11
	s_delay_alu instid0(VALU_DEP_2) | instskip(NEXT) | instid1(VALU_DEP_2)
	v_mul_lo_u32 v8, 0, v12
	v_mul_lo_u32 v6, 24, v13
	v_mul_hi_u32 v9, 24, v12
	v_mul_lo_u32 v10, 24, v12
	s_delay_alu instid0(VALU_DEP_3) | instskip(SKIP_1) | instid1(VALU_DEP_2)
	v_add_nc_u32_e32 v6, v6, v8
	s_wait_loadcnt 0x0
	v_add_co_u32 v10, vcc_lo, v0, v10
	s_delay_alu instid0(VALU_DEP_2) | instskip(SKIP_1) | instid1(VALU_DEP_1)
	v_add_nc_u32_e32 v6, v6, v9
	s_wait_alu 0xfffd
	v_add_co_ci_u32_e32 v11, vcc_lo, v1, v6, vcc_lo
	s_and_saveexec_b32 s4, s0
	s_cbranch_execz .LBB8_1296
; %bb.1295:
	s_wait_alu 0xfffe
	v_dual_mov_b32 v6, s3 :: v_dual_mov_b32 v9, 1
	v_mov_b32_e32 v8, 2
	global_store_b128 v[10:11], v[6:9], off offset:8
.LBB8_1296:
	s_wait_alu 0xfffe
	s_or_b32 exec_lo, exec_lo, s4
	v_lshlrev_b64_e32 v[12:13], 12, v[12:13]
	s_mov_b32 s4, 0
	v_dual_mov_b32 v6, 33 :: v_dual_mov_b32 v9, v7
	s_wait_alu 0xfffe
	s_mov_b32 s7, s4
	s_mov_b32 s5, s4
	v_add_co_u32 v2, vcc_lo, v2, v12
	s_wait_alu 0xfffd
	v_add_co_ci_u32_e32 v3, vcc_lo, v3, v13, vcc_lo
	s_mov_b32 s6, s4
	s_delay_alu instid0(VALU_DEP_2)
	v_add_co_u32 v12, vcc_lo, v2, v51
	s_wait_alu 0xfffe
	v_dual_mov_b32 v8, v7 :: v_dual_mov_b32 v17, s7
	v_readfirstlane_b32 s10, v2
	v_readfirstlane_b32 s11, v3
	s_wait_alu 0xfffd
	v_add_co_ci_u32_e32 v13, vcc_lo, 0, v3, vcc_lo
	v_dual_mov_b32 v16, s6 :: v_dual_mov_b32 v15, s5
	v_mov_b32_e32 v14, s4
	s_clause 0x3
	global_store_b128 v51, v[6:9], s[10:11]
	global_store_b128 v51, v[14:17], s[10:11] offset:16
	global_store_b128 v51, v[14:17], s[10:11] offset:32
	;; [unrolled: 1-line block ×3, first 2 shown]
	s_and_saveexec_b32 s3, s0
	s_cbranch_execz .LBB8_1304
; %bb.1297:
	v_mov_b32_e32 v8, 0
	s_mov_b32 s4, exec_lo
	s_clause 0x1
	global_load_b64 v[16:17], v8, s[34:35] offset:32 scope:SCOPE_SYS
	global_load_b64 v[2:3], v8, s[34:35] offset:40
	v_dual_mov_b32 v15, s1 :: v_dual_mov_b32 v14, s2
	s_wait_loadcnt 0x0
	v_and_b32_e32 v3, s1, v3
	v_and_b32_e32 v2, s2, v2
	s_delay_alu instid0(VALU_DEP_2) | instskip(NEXT) | instid1(VALU_DEP_2)
	v_mul_lo_u32 v3, 24, v3
	v_mul_lo_u32 v6, 0, v2
	v_mul_hi_u32 v7, 24, v2
	v_mul_lo_u32 v2, 24, v2
	s_delay_alu instid0(VALU_DEP_3) | instskip(NEXT) | instid1(VALU_DEP_2)
	v_add_nc_u32_e32 v3, v3, v6
	v_add_co_u32 v6, vcc_lo, v0, v2
	s_delay_alu instid0(VALU_DEP_2) | instskip(SKIP_1) | instid1(VALU_DEP_1)
	v_add_nc_u32_e32 v3, v3, v7
	s_wait_alu 0xfffd
	v_add_co_ci_u32_e32 v7, vcc_lo, v1, v3, vcc_lo
	global_store_b64 v[6:7], v[16:17], off
	global_wb scope:SCOPE_SYS
	s_wait_storecnt 0x0
	global_atomic_cmpswap_b64 v[2:3], v8, v[14:17], s[34:35] offset:32 th:TH_ATOMIC_RETURN scope:SCOPE_SYS
	s_wait_loadcnt 0x0
	v_cmpx_ne_u64_e64 v[2:3], v[16:17]
	s_cbranch_execz .LBB8_1300
; %bb.1298:
	s_mov_b32 s5, 0
.LBB8_1299:                             ; =>This Inner Loop Header: Depth=1
	v_dual_mov_b32 v0, s2 :: v_dual_mov_b32 v1, s1
	s_sleep 1
	global_store_b64 v[6:7], v[2:3], off
	global_wb scope:SCOPE_SYS
	s_wait_storecnt 0x0
	global_atomic_cmpswap_b64 v[0:1], v8, v[0:3], s[34:35] offset:32 th:TH_ATOMIC_RETURN scope:SCOPE_SYS
	s_wait_loadcnt 0x0
	v_cmp_eq_u64_e32 vcc_lo, v[0:1], v[2:3]
	v_dual_mov_b32 v3, v1 :: v_dual_mov_b32 v2, v0
	s_wait_alu 0xfffe
	s_or_b32 s5, vcc_lo, s5
	s_wait_alu 0xfffe
	s_and_not1_b32 exec_lo, exec_lo, s5
	s_cbranch_execnz .LBB8_1299
.LBB8_1300:
	s_wait_alu 0xfffe
	s_or_b32 exec_lo, exec_lo, s4
	v_mov_b32_e32 v3, 0
	s_mov_b32 s5, exec_lo
	s_mov_b32 s4, exec_lo
	s_wait_alu 0xfffe
	v_mbcnt_lo_u32_b32 v2, s5, 0
	global_load_b64 v[0:1], v3, s[34:35] offset:16
	v_cmpx_eq_u32_e32 0, v2
	s_cbranch_execz .LBB8_1302
; %bb.1301:
	s_bcnt1_i32_b32 s5, s5
	s_wait_alu 0xfffe
	v_mov_b32_e32 v2, s5
	global_wb scope:SCOPE_SYS
	s_wait_loadcnt 0x0
	global_atomic_add_u64 v[0:1], v[2:3], off offset:8 scope:SCOPE_SYS
.LBB8_1302:
	s_or_b32 exec_lo, exec_lo, s4
	s_wait_loadcnt 0x0
	global_load_b64 v[2:3], v[0:1], off offset:16
	s_wait_loadcnt 0x0
	v_cmp_eq_u64_e32 vcc_lo, 0, v[2:3]
	s_cbranch_vccnz .LBB8_1304
; %bb.1303:
	global_load_b32 v0, v[0:1], off offset:24
	s_wait_loadcnt 0x0
	v_dual_mov_b32 v1, 0 :: v_dual_and_b32 v6, 0xffffff, v0
	global_wb scope:SCOPE_SYS
	s_wait_storecnt 0x0
	global_store_b64 v[2:3], v[0:1], off scope:SCOPE_SYS
	v_readfirstlane_b32 m0, v6
	s_sendmsg sendmsg(MSG_INTERRUPT)
.LBB8_1304:
	s_wait_alu 0xfffe
	s_or_b32 exec_lo, exec_lo, s3
	s_branch .LBB8_1308
.LBB8_1305:                             ;   in Loop: Header=BB8_1308 Depth=1
	s_wait_alu 0xfffe
	s_or_b32 exec_lo, exec_lo, s3
	s_delay_alu instid0(VALU_DEP_1) | instskip(NEXT) | instid1(VALU_DEP_1)
	v_readfirstlane_b32 s3, v0
	s_cmp_eq_u32 s3, 0
	s_cbranch_scc1 .LBB8_1307
; %bb.1306:                             ;   in Loop: Header=BB8_1308 Depth=1
	s_sleep 1
	s_cbranch_execnz .LBB8_1308
	s_branch .LBB8_1310
.LBB8_1307:
	s_branch .LBB8_1310
.LBB8_1308:                             ; =>This Inner Loop Header: Depth=1
	v_mov_b32_e32 v0, 1
	s_and_saveexec_b32 s3, s0
	s_cbranch_execz .LBB8_1305
; %bb.1309:                             ;   in Loop: Header=BB8_1308 Depth=1
	global_load_b32 v0, v[10:11], off offset:20 scope:SCOPE_SYS
	s_wait_loadcnt 0x0
	global_inv scope:SCOPE_SYS
	v_and_b32_e32 v0, 1, v0
	s_branch .LBB8_1305
.LBB8_1310:
	global_load_b64 v[6:7], v[12:13], off
	s_and_saveexec_b32 s3, s0
	s_cbranch_execz .LBB8_1314
; %bb.1311:
	v_mov_b32_e32 v10, 0
	s_clause 0x2
	global_load_b64 v[2:3], v10, s[34:35] offset:40
	global_load_b64 v[11:12], v10, s[34:35] offset:24 scope:SCOPE_SYS
	global_load_b64 v[8:9], v10, s[34:35]
	s_wait_loadcnt 0x2
	v_add_co_u32 v13, vcc_lo, v2, 1
	s_wait_alu 0xfffd
	v_add_co_ci_u32_e32 v14, vcc_lo, 0, v3, vcc_lo
	s_delay_alu instid0(VALU_DEP_2) | instskip(SKIP_1) | instid1(VALU_DEP_2)
	v_add_co_u32 v0, vcc_lo, v13, s2
	s_wait_alu 0xfffd
	v_add_co_ci_u32_e32 v1, vcc_lo, s1, v14, vcc_lo
	s_delay_alu instid0(VALU_DEP_1) | instskip(SKIP_2) | instid1(VALU_DEP_1)
	v_cmp_eq_u64_e32 vcc_lo, 0, v[0:1]
	s_wait_alu 0xfffd
	v_dual_cndmask_b32 v1, v1, v14 :: v_dual_cndmask_b32 v0, v0, v13
	v_and_b32_e32 v3, v1, v3
	s_delay_alu instid0(VALU_DEP_2) | instskip(NEXT) | instid1(VALU_DEP_2)
	v_and_b32_e32 v2, v0, v2
	v_mul_lo_u32 v3, 24, v3
	s_delay_alu instid0(VALU_DEP_2) | instskip(SKIP_2) | instid1(VALU_DEP_3)
	v_mul_lo_u32 v13, 0, v2
	v_mul_hi_u32 v14, 24, v2
	v_mul_lo_u32 v2, 24, v2
	v_add_nc_u32_e32 v3, v3, v13
	s_wait_loadcnt 0x0
	s_delay_alu instid0(VALU_DEP_2) | instskip(SKIP_1) | instid1(VALU_DEP_3)
	v_add_co_u32 v8, vcc_lo, v8, v2
	v_mov_b32_e32 v2, v11
	v_add_nc_u32_e32 v3, v3, v14
	s_wait_alu 0xfffd
	s_delay_alu instid0(VALU_DEP_1)
	v_add_co_ci_u32_e32 v9, vcc_lo, v9, v3, vcc_lo
	v_mov_b32_e32 v3, v12
	global_store_b64 v[8:9], v[11:12], off
	global_wb scope:SCOPE_SYS
	s_wait_storecnt 0x0
	global_atomic_cmpswap_b64 v[2:3], v10, v[0:3], s[34:35] offset:24 th:TH_ATOMIC_RETURN scope:SCOPE_SYS
	s_wait_loadcnt 0x0
	v_cmp_ne_u64_e32 vcc_lo, v[2:3], v[11:12]
	s_and_b32 exec_lo, exec_lo, vcc_lo
	s_cbranch_execz .LBB8_1314
; %bb.1312:
	s_mov_b32 s0, 0
.LBB8_1313:                             ; =>This Inner Loop Header: Depth=1
	s_sleep 1
	global_store_b64 v[8:9], v[2:3], off
	global_wb scope:SCOPE_SYS
	s_wait_storecnt 0x0
	global_atomic_cmpswap_b64 v[11:12], v10, v[0:3], s[34:35] offset:24 th:TH_ATOMIC_RETURN scope:SCOPE_SYS
	s_wait_loadcnt 0x0
	v_cmp_eq_u64_e32 vcc_lo, v[11:12], v[2:3]
	v_dual_mov_b32 v2, v11 :: v_dual_mov_b32 v3, v12
	s_wait_alu 0xfffe
	s_or_b32 s0, vcc_lo, s0
	s_wait_alu 0xfffe
	s_and_not1_b32 exec_lo, exec_lo, s0
	s_cbranch_execnz .LBB8_1313
.LBB8_1314:
	s_wait_alu 0xfffe
	s_or_b32 exec_lo, exec_lo, s3
	s_delay_alu instid0(SALU_CYCLE_1)
	s_and_b32 vcc_lo, exec_lo, s15
	s_wait_alu 0xfffe
	s_cbranch_vccz .LBB8_1393
; %bb.1315:
	s_wait_loadcnt 0x0
	v_dual_mov_b32 v9, 0 :: v_dual_and_b32 v32, 2, v6
	v_dual_mov_b32 v1, v7 :: v_dual_and_b32 v0, -3, v6
	v_dual_mov_b32 v10, 2 :: v_dual_mov_b32 v11, 1
	s_mov_b64 s[4:5], 3
	s_getpc_b64 s[2:3]
	s_wait_alu 0xfffe
	s_sext_i32_i16 s3, s3
	s_add_co_u32 s2, s2, .str.7@rel32@lo+12
	s_wait_alu 0xfffe
	s_add_co_ci_u32 s3, s3, .str.7@rel32@hi+24
	s_branch .LBB8_1317
.LBB8_1316:                             ;   in Loop: Header=BB8_1317 Depth=1
	s_wait_alu 0xfffe
	s_or_b32 exec_lo, exec_lo, s11
	s_sub_nc_u64 s[4:5], s[4:5], s[6:7]
	s_add_nc_u64 s[2:3], s[2:3], s[6:7]
	s_wait_alu 0xfffe
	s_cmp_lg_u64 s[4:5], 0
	s_cbranch_scc0 .LBB8_1392
.LBB8_1317:                             ; =>This Loop Header: Depth=1
                                        ;     Child Loop BB8_1326 Depth 2
                                        ;     Child Loop BB8_1322 Depth 2
	;; [unrolled: 1-line block ×11, first 2 shown]
	v_cmp_lt_u64_e64 s0, s[4:5], 56
	v_cmp_gt_u64_e64 s1, s[4:5], 7
                                        ; implicit-def: $vgpr2_vgpr3
                                        ; implicit-def: $sgpr15
	s_delay_alu instid0(VALU_DEP_2) | instskip(SKIP_2) | instid1(VALU_DEP_1)
	s_and_b32 s0, s0, exec_lo
	s_cselect_b32 s7, s5, 0
	s_cselect_b32 s6, s4, 56
	s_and_b32 vcc_lo, exec_lo, s1
	s_mov_b32 s0, -1
	s_wait_alu 0xfffe
	s_cbranch_vccz .LBB8_1324
; %bb.1318:                             ;   in Loop: Header=BB8_1317 Depth=1
	s_and_not1_b32 vcc_lo, exec_lo, s0
	s_mov_b64 s[0:1], s[2:3]
	s_wait_alu 0xfffe
	s_cbranch_vccz .LBB8_1328
.LBB8_1319:                             ;   in Loop: Header=BB8_1317 Depth=1
	s_wait_alu 0xfffe
	s_cmp_gt_u32 s15, 7
	s_cbranch_scc1 .LBB8_1329
.LBB8_1320:                             ;   in Loop: Header=BB8_1317 Depth=1
	v_mov_b32_e32 v12, 0
	v_mov_b32_e32 v13, 0
	s_cmp_eq_u32 s15, 0
	s_cbranch_scc1 .LBB8_1323
; %bb.1321:                             ;   in Loop: Header=BB8_1317 Depth=1
	s_mov_b64 s[10:11], 0
	s_mov_b64 s[16:17], 0
.LBB8_1322:                             ;   Parent Loop BB8_1317 Depth=1
                                        ; =>  This Inner Loop Header: Depth=2
	s_wait_alu 0xfffe
	s_add_nc_u64 s[18:19], s[0:1], s[16:17]
	s_add_nc_u64 s[16:17], s[16:17], 1
	global_load_u8 v8, v9, s[18:19]
	s_wait_alu 0xfffe
	s_cmp_lg_u32 s15, s16
	s_wait_loadcnt 0x0
	v_and_b32_e32 v8, 0xffff, v8
	s_delay_alu instid0(VALU_DEP_1) | instskip(SKIP_1) | instid1(VALU_DEP_1)
	v_lshlrev_b64_e32 v[14:15], s10, v[8:9]
	s_add_nc_u64 s[10:11], s[10:11], 8
	v_or_b32_e32 v12, v14, v12
	s_delay_alu instid0(VALU_DEP_2)
	v_or_b32_e32 v13, v15, v13
	s_cbranch_scc1 .LBB8_1322
.LBB8_1323:                             ;   in Loop: Header=BB8_1317 Depth=1
	s_mov_b32 s18, 0
	s_cbranch_execz .LBB8_1330
	s_branch .LBB8_1331
.LBB8_1324:                             ;   in Loop: Header=BB8_1317 Depth=1
	s_wait_loadcnt 0x0
	v_mov_b32_e32 v2, 0
	v_mov_b32_e32 v3, 0
	s_cmp_eq_u64 s[4:5], 0
	s_mov_b64 s[0:1], 0
	s_cbranch_scc1 .LBB8_1327
; %bb.1325:                             ;   in Loop: Header=BB8_1317 Depth=1
	v_mov_b32_e32 v2, 0
	v_mov_b32_e32 v3, 0
	s_mov_b64 s[10:11], 0
.LBB8_1326:                             ;   Parent Loop BB8_1317 Depth=1
                                        ; =>  This Inner Loop Header: Depth=2
	s_wait_alu 0xfffe
	s_add_nc_u64 s[16:17], s[2:3], s[10:11]
	s_add_nc_u64 s[10:11], s[10:11], 1
	global_load_u8 v8, v9, s[16:17]
	s_wait_alu 0xfffe
	s_cmp_lg_u32 s6, s10
	s_wait_loadcnt 0x0
	v_and_b32_e32 v8, 0xffff, v8
	s_delay_alu instid0(VALU_DEP_1) | instskip(SKIP_1) | instid1(VALU_DEP_1)
	v_lshlrev_b64_e32 v[12:13], s0, v[8:9]
	s_add_nc_u64 s[0:1], s[0:1], 8
	v_or_b32_e32 v2, v12, v2
	s_delay_alu instid0(VALU_DEP_2)
	v_or_b32_e32 v3, v13, v3
	s_cbranch_scc1 .LBB8_1326
.LBB8_1327:                             ;   in Loop: Header=BB8_1317 Depth=1
	s_mov_b32 s15, 0
	s_mov_b64 s[0:1], s[2:3]
	s_cbranch_execnz .LBB8_1319
.LBB8_1328:                             ;   in Loop: Header=BB8_1317 Depth=1
	global_load_b64 v[2:3], v9, s[2:3]
	s_add_co_i32 s15, s6, -8
	s_add_nc_u64 s[0:1], s[2:3], 8
	s_wait_alu 0xfffe
	s_cmp_gt_u32 s15, 7
	s_cbranch_scc0 .LBB8_1320
.LBB8_1329:                             ;   in Loop: Header=BB8_1317 Depth=1
                                        ; implicit-def: $vgpr12_vgpr13
                                        ; implicit-def: $sgpr18
.LBB8_1330:                             ;   in Loop: Header=BB8_1317 Depth=1
	global_load_b64 v[12:13], v9, s[0:1]
	s_add_co_i32 s18, s15, -8
	s_add_nc_u64 s[0:1], s[0:1], 8
.LBB8_1331:                             ;   in Loop: Header=BB8_1317 Depth=1
	s_wait_alu 0xfffe
	s_cmp_gt_u32 s18, 7
	s_cbranch_scc1 .LBB8_1336
; %bb.1332:                             ;   in Loop: Header=BB8_1317 Depth=1
	v_mov_b32_e32 v14, 0
	v_mov_b32_e32 v15, 0
	s_cmp_eq_u32 s18, 0
	s_cbranch_scc1 .LBB8_1335
; %bb.1333:                             ;   in Loop: Header=BB8_1317 Depth=1
	s_mov_b64 s[10:11], 0
	s_mov_b64 s[16:17], 0
.LBB8_1334:                             ;   Parent Loop BB8_1317 Depth=1
                                        ; =>  This Inner Loop Header: Depth=2
	s_wait_alu 0xfffe
	s_add_nc_u64 s[20:21], s[0:1], s[16:17]
	s_add_nc_u64 s[16:17], s[16:17], 1
	global_load_u8 v8, v9, s[20:21]
	s_wait_alu 0xfffe
	s_cmp_lg_u32 s18, s16
	s_wait_loadcnt 0x0
	v_and_b32_e32 v8, 0xffff, v8
	s_delay_alu instid0(VALU_DEP_1) | instskip(SKIP_1) | instid1(VALU_DEP_1)
	v_lshlrev_b64_e32 v[16:17], s10, v[8:9]
	s_add_nc_u64 s[10:11], s[10:11], 8
	v_or_b32_e32 v14, v16, v14
	s_delay_alu instid0(VALU_DEP_2)
	v_or_b32_e32 v15, v17, v15
	s_cbranch_scc1 .LBB8_1334
.LBB8_1335:                             ;   in Loop: Header=BB8_1317 Depth=1
	s_mov_b32 s15, 0
	s_cbranch_execz .LBB8_1337
	s_branch .LBB8_1338
.LBB8_1336:                             ;   in Loop: Header=BB8_1317 Depth=1
                                        ; implicit-def: $sgpr15
.LBB8_1337:                             ;   in Loop: Header=BB8_1317 Depth=1
	global_load_b64 v[14:15], v9, s[0:1]
	s_add_co_i32 s15, s18, -8
	s_add_nc_u64 s[0:1], s[0:1], 8
.LBB8_1338:                             ;   in Loop: Header=BB8_1317 Depth=1
	s_wait_alu 0xfffe
	s_cmp_gt_u32 s15, 7
	s_cbranch_scc1 .LBB8_1343
; %bb.1339:                             ;   in Loop: Header=BB8_1317 Depth=1
	v_mov_b32_e32 v16, 0
	v_mov_b32_e32 v17, 0
	s_cmp_eq_u32 s15, 0
	s_cbranch_scc1 .LBB8_1342
; %bb.1340:                             ;   in Loop: Header=BB8_1317 Depth=1
	s_mov_b64 s[10:11], 0
	s_mov_b64 s[16:17], 0
.LBB8_1341:                             ;   Parent Loop BB8_1317 Depth=1
                                        ; =>  This Inner Loop Header: Depth=2
	s_wait_alu 0xfffe
	s_add_nc_u64 s[18:19], s[0:1], s[16:17]
	s_add_nc_u64 s[16:17], s[16:17], 1
	global_load_u8 v8, v9, s[18:19]
	s_wait_alu 0xfffe
	s_cmp_lg_u32 s15, s16
	s_wait_loadcnt 0x0
	v_and_b32_e32 v8, 0xffff, v8
	s_delay_alu instid0(VALU_DEP_1) | instskip(SKIP_1) | instid1(VALU_DEP_1)
	v_lshlrev_b64_e32 v[18:19], s10, v[8:9]
	s_add_nc_u64 s[10:11], s[10:11], 8
	v_or_b32_e32 v16, v18, v16
	s_delay_alu instid0(VALU_DEP_2)
	v_or_b32_e32 v17, v19, v17
	s_cbranch_scc1 .LBB8_1341
.LBB8_1342:                             ;   in Loop: Header=BB8_1317 Depth=1
	s_mov_b32 s18, 0
	s_cbranch_execz .LBB8_1344
	s_branch .LBB8_1345
.LBB8_1343:                             ;   in Loop: Header=BB8_1317 Depth=1
                                        ; implicit-def: $vgpr16_vgpr17
                                        ; implicit-def: $sgpr18
.LBB8_1344:                             ;   in Loop: Header=BB8_1317 Depth=1
	global_load_b64 v[16:17], v9, s[0:1]
	s_add_co_i32 s18, s15, -8
	s_add_nc_u64 s[0:1], s[0:1], 8
.LBB8_1345:                             ;   in Loop: Header=BB8_1317 Depth=1
	s_wait_alu 0xfffe
	s_cmp_gt_u32 s18, 7
	s_cbranch_scc1 .LBB8_1350
; %bb.1346:                             ;   in Loop: Header=BB8_1317 Depth=1
	v_mov_b32_e32 v18, 0
	v_mov_b32_e32 v19, 0
	s_cmp_eq_u32 s18, 0
	s_cbranch_scc1 .LBB8_1349
; %bb.1347:                             ;   in Loop: Header=BB8_1317 Depth=1
	s_mov_b64 s[10:11], 0
	s_mov_b64 s[16:17], 0
.LBB8_1348:                             ;   Parent Loop BB8_1317 Depth=1
                                        ; =>  This Inner Loop Header: Depth=2
	s_wait_alu 0xfffe
	s_add_nc_u64 s[20:21], s[0:1], s[16:17]
	s_add_nc_u64 s[16:17], s[16:17], 1
	global_load_u8 v8, v9, s[20:21]
	s_wait_alu 0xfffe
	s_cmp_lg_u32 s18, s16
	s_wait_loadcnt 0x0
	v_and_b32_e32 v8, 0xffff, v8
	s_delay_alu instid0(VALU_DEP_1) | instskip(SKIP_1) | instid1(VALU_DEP_1)
	v_lshlrev_b64_e32 v[20:21], s10, v[8:9]
	s_add_nc_u64 s[10:11], s[10:11], 8
	v_or_b32_e32 v18, v20, v18
	s_delay_alu instid0(VALU_DEP_2)
	v_or_b32_e32 v19, v21, v19
	s_cbranch_scc1 .LBB8_1348
.LBB8_1349:                             ;   in Loop: Header=BB8_1317 Depth=1
	s_mov_b32 s15, 0
	s_cbranch_execz .LBB8_1351
	s_branch .LBB8_1352
.LBB8_1350:                             ;   in Loop: Header=BB8_1317 Depth=1
                                        ; implicit-def: $sgpr15
.LBB8_1351:                             ;   in Loop: Header=BB8_1317 Depth=1
	global_load_b64 v[18:19], v9, s[0:1]
	s_add_co_i32 s15, s18, -8
	s_add_nc_u64 s[0:1], s[0:1], 8
.LBB8_1352:                             ;   in Loop: Header=BB8_1317 Depth=1
	s_wait_alu 0xfffe
	s_cmp_gt_u32 s15, 7
	s_cbranch_scc1 .LBB8_1357
; %bb.1353:                             ;   in Loop: Header=BB8_1317 Depth=1
	v_mov_b32_e32 v20, 0
	v_mov_b32_e32 v21, 0
	s_cmp_eq_u32 s15, 0
	s_cbranch_scc1 .LBB8_1356
; %bb.1354:                             ;   in Loop: Header=BB8_1317 Depth=1
	s_mov_b64 s[10:11], 0
	s_mov_b64 s[16:17], 0
.LBB8_1355:                             ;   Parent Loop BB8_1317 Depth=1
                                        ; =>  This Inner Loop Header: Depth=2
	s_wait_alu 0xfffe
	s_add_nc_u64 s[18:19], s[0:1], s[16:17]
	s_add_nc_u64 s[16:17], s[16:17], 1
	global_load_u8 v8, v9, s[18:19]
	s_wait_alu 0xfffe
	s_cmp_lg_u32 s15, s16
	s_wait_loadcnt 0x0
	v_and_b32_e32 v8, 0xffff, v8
	s_delay_alu instid0(VALU_DEP_1) | instskip(SKIP_1) | instid1(VALU_DEP_1)
	v_lshlrev_b64_e32 v[22:23], s10, v[8:9]
	s_add_nc_u64 s[10:11], s[10:11], 8
	v_or_b32_e32 v20, v22, v20
	s_delay_alu instid0(VALU_DEP_2)
	v_or_b32_e32 v21, v23, v21
	s_cbranch_scc1 .LBB8_1355
.LBB8_1356:                             ;   in Loop: Header=BB8_1317 Depth=1
	s_mov_b32 s18, 0
	s_cbranch_execz .LBB8_1358
	s_branch .LBB8_1359
.LBB8_1357:                             ;   in Loop: Header=BB8_1317 Depth=1
                                        ; implicit-def: $vgpr20_vgpr21
                                        ; implicit-def: $sgpr18
.LBB8_1358:                             ;   in Loop: Header=BB8_1317 Depth=1
	global_load_b64 v[20:21], v9, s[0:1]
	s_add_co_i32 s18, s15, -8
	s_add_nc_u64 s[0:1], s[0:1], 8
.LBB8_1359:                             ;   in Loop: Header=BB8_1317 Depth=1
	s_wait_alu 0xfffe
	s_cmp_gt_u32 s18, 7
	s_cbranch_scc1 .LBB8_1364
; %bb.1360:                             ;   in Loop: Header=BB8_1317 Depth=1
	v_mov_b32_e32 v22, 0
	v_mov_b32_e32 v23, 0
	s_cmp_eq_u32 s18, 0
	s_cbranch_scc1 .LBB8_1363
; %bb.1361:                             ;   in Loop: Header=BB8_1317 Depth=1
	s_mov_b64 s[10:11], 0
	s_mov_b64 s[16:17], s[0:1]
.LBB8_1362:                             ;   Parent Loop BB8_1317 Depth=1
                                        ; =>  This Inner Loop Header: Depth=2
	global_load_u8 v8, v9, s[16:17]
	s_add_co_i32 s18, s18, -1
	s_wait_alu 0xfffe
	s_add_nc_u64 s[16:17], s[16:17], 1
	s_cmp_lg_u32 s18, 0
	s_wait_loadcnt 0x0
	v_and_b32_e32 v8, 0xffff, v8
	s_delay_alu instid0(VALU_DEP_1) | instskip(SKIP_1) | instid1(VALU_DEP_1)
	v_lshlrev_b64_e32 v[24:25], s10, v[8:9]
	s_add_nc_u64 s[10:11], s[10:11], 8
	v_or_b32_e32 v22, v24, v22
	s_delay_alu instid0(VALU_DEP_2)
	v_or_b32_e32 v23, v25, v23
	s_cbranch_scc1 .LBB8_1362
.LBB8_1363:                             ;   in Loop: Header=BB8_1317 Depth=1
	s_cbranch_execz .LBB8_1365
	s_branch .LBB8_1366
.LBB8_1364:                             ;   in Loop: Header=BB8_1317 Depth=1
.LBB8_1365:                             ;   in Loop: Header=BB8_1317 Depth=1
	global_load_b64 v[22:23], v9, s[0:1]
.LBB8_1366:                             ;   in Loop: Header=BB8_1317 Depth=1
	v_readfirstlane_b32 s0, v52
	v_mov_b32_e32 v28, 0
	v_mov_b32_e32 v29, 0
	s_wait_alu 0xf1ff
	s_delay_alu instid0(VALU_DEP_3) | instskip(NEXT) | instid1(VALU_DEP_1)
	v_cmp_eq_u32_e64 s0, s0, v52
	s_and_saveexec_b32 s1, s0
	s_cbranch_execz .LBB8_1372
; %bb.1367:                             ;   in Loop: Header=BB8_1317 Depth=1
	global_load_b64 v[26:27], v9, s[34:35] offset:24 scope:SCOPE_SYS
	s_wait_loadcnt 0x0
	global_inv scope:SCOPE_SYS
	s_clause 0x1
	global_load_b64 v[24:25], v9, s[34:35] offset:40
	global_load_b64 v[28:29], v9, s[34:35]
	s_mov_b32 s10, exec_lo
	s_wait_loadcnt 0x1
	v_and_b32_e32 v8, v25, v27
	v_and_b32_e32 v24, v24, v26
	s_delay_alu instid0(VALU_DEP_2) | instskip(NEXT) | instid1(VALU_DEP_2)
	v_mul_lo_u32 v8, 24, v8
	v_mul_lo_u32 v25, 0, v24
	v_mul_hi_u32 v30, 24, v24
	v_mul_lo_u32 v24, 24, v24
	s_delay_alu instid0(VALU_DEP_3) | instskip(SKIP_1) | instid1(VALU_DEP_2)
	v_add_nc_u32_e32 v8, v8, v25
	s_wait_loadcnt 0x0
	v_add_co_u32 v24, vcc_lo, v28, v24
	s_delay_alu instid0(VALU_DEP_2) | instskip(SKIP_1) | instid1(VALU_DEP_1)
	v_add_nc_u32_e32 v8, v8, v30
	s_wait_alu 0xfffd
	v_add_co_ci_u32_e32 v25, vcc_lo, v29, v8, vcc_lo
	global_load_b64 v[24:25], v[24:25], off scope:SCOPE_SYS
	s_wait_loadcnt 0x0
	global_atomic_cmpswap_b64 v[28:29], v9, v[24:27], s[34:35] offset:24 th:TH_ATOMIC_RETURN scope:SCOPE_SYS
	s_wait_loadcnt 0x0
	global_inv scope:SCOPE_SYS
	v_cmpx_ne_u64_e64 v[28:29], v[26:27]
	s_cbranch_execz .LBB8_1371
; %bb.1368:                             ;   in Loop: Header=BB8_1317 Depth=1
	s_mov_b32 s11, 0
.LBB8_1369:                             ;   Parent Loop BB8_1317 Depth=1
                                        ; =>  This Inner Loop Header: Depth=2
	s_sleep 1
	s_clause 0x1
	global_load_b64 v[24:25], v9, s[34:35] offset:40
	global_load_b64 v[30:31], v9, s[34:35]
	v_dual_mov_b32 v26, v28 :: v_dual_mov_b32 v27, v29
	s_wait_loadcnt 0x1
	s_delay_alu instid0(VALU_DEP_1) | instskip(NEXT) | instid1(VALU_DEP_2)
	v_and_b32_e32 v8, v24, v26
	v_and_b32_e32 v24, v25, v27
	s_wait_loadcnt 0x0
	s_delay_alu instid0(VALU_DEP_2) | instskip(NEXT) | instid1(VALU_DEP_1)
	v_mad_co_u64_u32 v[28:29], null, v8, 24, v[30:31]
	v_mov_b32_e32 v8, v29
	s_delay_alu instid0(VALU_DEP_1) | instskip(NEXT) | instid1(VALU_DEP_1)
	v_mad_co_u64_u32 v[24:25], null, v24, 24, v[8:9]
	v_mov_b32_e32 v29, v24
	global_load_b64 v[24:25], v[28:29], off scope:SCOPE_SYS
	s_wait_loadcnt 0x0
	global_atomic_cmpswap_b64 v[28:29], v9, v[24:27], s[34:35] offset:24 th:TH_ATOMIC_RETURN scope:SCOPE_SYS
	s_wait_loadcnt 0x0
	global_inv scope:SCOPE_SYS
	v_cmp_eq_u64_e32 vcc_lo, v[28:29], v[26:27]
	s_wait_alu 0xfffe
	s_or_b32 s11, vcc_lo, s11
	s_wait_alu 0xfffe
	s_and_not1_b32 exec_lo, exec_lo, s11
	s_cbranch_execnz .LBB8_1369
; %bb.1370:                             ;   in Loop: Header=BB8_1317 Depth=1
	s_or_b32 exec_lo, exec_lo, s11
.LBB8_1371:                             ;   in Loop: Header=BB8_1317 Depth=1
	s_wait_alu 0xfffe
	s_or_b32 exec_lo, exec_lo, s10
.LBB8_1372:                             ;   in Loop: Header=BB8_1317 Depth=1
	s_wait_alu 0xfffe
	s_or_b32 exec_lo, exec_lo, s1
	s_clause 0x1
	global_load_b64 v[30:31], v9, s[34:35] offset:40
	global_load_b128 v[24:27], v9, s[34:35]
	v_readfirstlane_b32 s1, v29
	v_readfirstlane_b32 s10, v28
	s_mov_b32 s11, exec_lo
	s_wait_loadcnt 0x1
	s_wait_alu 0xf1ff
	v_and_b32_e32 v31, s1, v31
	v_and_b32_e32 v30, s10, v30
	s_delay_alu instid0(VALU_DEP_2) | instskip(NEXT) | instid1(VALU_DEP_2)
	v_mul_lo_u32 v8, 24, v31
	v_mul_lo_u32 v28, 0, v30
	v_mul_hi_u32 v29, 24, v30
	v_mul_lo_u32 v33, 24, v30
	s_delay_alu instid0(VALU_DEP_3) | instskip(SKIP_1) | instid1(VALU_DEP_2)
	v_add_nc_u32_e32 v8, v8, v28
	s_wait_loadcnt 0x0
	v_add_co_u32 v28, vcc_lo, v24, v33
	s_delay_alu instid0(VALU_DEP_2) | instskip(SKIP_1) | instid1(VALU_DEP_1)
	v_add_nc_u32_e32 v8, v8, v29
	s_wait_alu 0xfffd
	v_add_co_ci_u32_e32 v29, vcc_lo, v25, v8, vcc_lo
	s_and_saveexec_b32 s15, s0
	s_cbranch_execz .LBB8_1374
; %bb.1373:                             ;   in Loop: Header=BB8_1317 Depth=1
	s_wait_alu 0xfffe
	v_mov_b32_e32 v8, s11
	global_store_b128 v[28:29], v[8:11], off offset:8
.LBB8_1374:                             ;   in Loop: Header=BB8_1317 Depth=1
	s_wait_alu 0xfffe
	s_or_b32 exec_lo, exec_lo, s15
	v_cmp_gt_u64_e64 vcc_lo, s[4:5], 56
	v_lshlrev_b64_e32 v[30:31], 12, v[30:31]
	v_or_b32_e32 v8, 0, v1
	v_or_b32_e32 v33, v0, v32
	s_lshl_b32 s11, s6, 2
	s_wait_alu 0xfffe
	s_add_co_i32 s11, s11, 28
	s_wait_alu 0xfffd
	v_dual_cndmask_b32 v1, v8, v1 :: v_dual_cndmask_b32 v0, v33, v0
	v_add_co_u32 v26, vcc_lo, v26, v30
	s_wait_alu 0xfffd
	v_add_co_ci_u32_e32 v27, vcc_lo, v27, v31, vcc_lo
	s_wait_alu 0xfffe
	s_and_b32 s11, s11, 0x1e0
	v_readfirstlane_b32 s16, v26
	s_wait_alu 0xfffe
	v_and_or_b32 v0, 0xffffff1f, v0, s11
	v_readfirstlane_b32 s17, v27
	s_clause 0x3
	global_store_b128 v51, v[0:3], s[16:17]
	global_store_b128 v51, v[12:15], s[16:17] offset:16
	global_store_b128 v51, v[16:19], s[16:17] offset:32
	;; [unrolled: 1-line block ×3, first 2 shown]
	s_and_saveexec_b32 s11, s0
	s_cbranch_execz .LBB8_1382
; %bb.1375:                             ;   in Loop: Header=BB8_1317 Depth=1
	s_clause 0x1
	global_load_b64 v[16:17], v9, s[34:35] offset:32 scope:SCOPE_SYS
	global_load_b64 v[0:1], v9, s[34:35] offset:40
	s_mov_b32 s15, exec_lo
	v_dual_mov_b32 v14, s10 :: v_dual_mov_b32 v15, s1
	s_wait_loadcnt 0x0
	v_and_b32_e32 v1, s1, v1
	v_and_b32_e32 v0, s10, v0
	s_delay_alu instid0(VALU_DEP_2) | instskip(NEXT) | instid1(VALU_DEP_2)
	v_mul_lo_u32 v1, 24, v1
	v_mul_lo_u32 v2, 0, v0
	v_mul_hi_u32 v3, 24, v0
	v_mul_lo_u32 v0, 24, v0
	s_delay_alu instid0(VALU_DEP_3) | instskip(NEXT) | instid1(VALU_DEP_2)
	v_add_nc_u32_e32 v1, v1, v2
	v_add_co_u32 v12, vcc_lo, v24, v0
	s_delay_alu instid0(VALU_DEP_2) | instskip(SKIP_1) | instid1(VALU_DEP_1)
	v_add_nc_u32_e32 v1, v1, v3
	s_wait_alu 0xfffd
	v_add_co_ci_u32_e32 v13, vcc_lo, v25, v1, vcc_lo
	global_store_b64 v[12:13], v[16:17], off
	global_wb scope:SCOPE_SYS
	s_wait_storecnt 0x0
	global_atomic_cmpswap_b64 v[2:3], v9, v[14:17], s[34:35] offset:32 th:TH_ATOMIC_RETURN scope:SCOPE_SYS
	s_wait_loadcnt 0x0
	v_cmpx_ne_u64_e64 v[2:3], v[16:17]
	s_cbranch_execz .LBB8_1378
; %bb.1376:                             ;   in Loop: Header=BB8_1317 Depth=1
	s_mov_b32 s16, 0
.LBB8_1377:                             ;   Parent Loop BB8_1317 Depth=1
                                        ; =>  This Inner Loop Header: Depth=2
	v_dual_mov_b32 v0, s10 :: v_dual_mov_b32 v1, s1
	s_sleep 1
	global_store_b64 v[12:13], v[2:3], off
	global_wb scope:SCOPE_SYS
	s_wait_storecnt 0x0
	global_atomic_cmpswap_b64 v[0:1], v9, v[0:3], s[34:35] offset:32 th:TH_ATOMIC_RETURN scope:SCOPE_SYS
	s_wait_loadcnt 0x0
	v_cmp_eq_u64_e32 vcc_lo, v[0:1], v[2:3]
	v_dual_mov_b32 v3, v1 :: v_dual_mov_b32 v2, v0
	s_wait_alu 0xfffe
	s_or_b32 s16, vcc_lo, s16
	s_wait_alu 0xfffe
	s_and_not1_b32 exec_lo, exec_lo, s16
	s_cbranch_execnz .LBB8_1377
.LBB8_1378:                             ;   in Loop: Header=BB8_1317 Depth=1
	s_wait_alu 0xfffe
	s_or_b32 exec_lo, exec_lo, s15
	global_load_b64 v[0:1], v9, s[34:35] offset:16
	s_mov_b32 s16, exec_lo
	s_mov_b32 s15, exec_lo
	s_wait_alu 0xfffe
	v_mbcnt_lo_u32_b32 v2, s16, 0
	s_delay_alu instid0(VALU_DEP_1)
	v_cmpx_eq_u32_e32 0, v2
	s_cbranch_execz .LBB8_1380
; %bb.1379:                             ;   in Loop: Header=BB8_1317 Depth=1
	s_bcnt1_i32_b32 s16, s16
	s_wait_alu 0xfffe
	v_mov_b32_e32 v8, s16
	global_wb scope:SCOPE_SYS
	s_wait_loadcnt 0x0
	global_atomic_add_u64 v[0:1], v[8:9], off offset:8 scope:SCOPE_SYS
.LBB8_1380:                             ;   in Loop: Header=BB8_1317 Depth=1
	s_or_b32 exec_lo, exec_lo, s15
	s_wait_loadcnt 0x0
	global_load_b64 v[2:3], v[0:1], off offset:16
	s_wait_loadcnt 0x0
	v_cmp_eq_u64_e32 vcc_lo, 0, v[2:3]
	s_cbranch_vccnz .LBB8_1382
; %bb.1381:                             ;   in Loop: Header=BB8_1317 Depth=1
	global_load_b32 v8, v[0:1], off offset:24
	s_wait_loadcnt 0x0
	v_and_b32_e32 v0, 0xffffff, v8
	global_wb scope:SCOPE_SYS
	s_wait_storecnt 0x0
	global_store_b64 v[2:3], v[8:9], off scope:SCOPE_SYS
	v_readfirstlane_b32 m0, v0
	s_sendmsg sendmsg(MSG_INTERRUPT)
.LBB8_1382:                             ;   in Loop: Header=BB8_1317 Depth=1
	s_wait_alu 0xfffe
	s_or_b32 exec_lo, exec_lo, s11
	v_add_co_u32 v0, vcc_lo, v26, v51
	s_wait_alu 0xfffd
	v_add_co_ci_u32_e32 v1, vcc_lo, 0, v27, vcc_lo
	s_branch .LBB8_1386
.LBB8_1383:                             ;   in Loop: Header=BB8_1386 Depth=2
	s_wait_alu 0xfffe
	s_or_b32 exec_lo, exec_lo, s11
	s_delay_alu instid0(VALU_DEP_1) | instskip(NEXT) | instid1(VALU_DEP_1)
	v_readfirstlane_b32 s11, v2
	s_cmp_eq_u32 s11, 0
	s_cbranch_scc1 .LBB8_1385
; %bb.1384:                             ;   in Loop: Header=BB8_1386 Depth=2
	s_sleep 1
	s_cbranch_execnz .LBB8_1386
	s_branch .LBB8_1388
.LBB8_1385:                             ;   in Loop: Header=BB8_1317 Depth=1
	s_branch .LBB8_1388
.LBB8_1386:                             ;   Parent Loop BB8_1317 Depth=1
                                        ; =>  This Inner Loop Header: Depth=2
	v_mov_b32_e32 v2, 1
	s_and_saveexec_b32 s11, s0
	s_cbranch_execz .LBB8_1383
; %bb.1387:                             ;   in Loop: Header=BB8_1386 Depth=2
	global_load_b32 v2, v[28:29], off offset:20 scope:SCOPE_SYS
	s_wait_loadcnt 0x0
	global_inv scope:SCOPE_SYS
	v_and_b32_e32 v2, 1, v2
	s_branch .LBB8_1383
.LBB8_1388:                             ;   in Loop: Header=BB8_1317 Depth=1
	global_load_b128 v[0:3], v[0:1], off
	s_and_saveexec_b32 s11, s0
	s_cbranch_execz .LBB8_1316
; %bb.1389:                             ;   in Loop: Header=BB8_1317 Depth=1
	s_clause 0x2
	global_load_b64 v[2:3], v9, s[34:35] offset:40
	global_load_b64 v[16:17], v9, s[34:35] offset:24 scope:SCOPE_SYS
	global_load_b64 v[14:15], v9, s[34:35]
	s_wait_loadcnt 0x2
	v_add_co_u32 v8, vcc_lo, v2, 1
	s_wait_alu 0xfffd
	v_add_co_ci_u32_e32 v18, vcc_lo, 0, v3, vcc_lo
	s_delay_alu instid0(VALU_DEP_2) | instskip(SKIP_1) | instid1(VALU_DEP_2)
	v_add_co_u32 v12, vcc_lo, v8, s10
	s_wait_alu 0xfffd
	v_add_co_ci_u32_e32 v13, vcc_lo, s1, v18, vcc_lo
	s_delay_alu instid0(VALU_DEP_1) | instskip(SKIP_2) | instid1(VALU_DEP_1)
	v_cmp_eq_u64_e32 vcc_lo, 0, v[12:13]
	s_wait_alu 0xfffd
	v_dual_cndmask_b32 v13, v13, v18 :: v_dual_cndmask_b32 v12, v12, v8
	v_and_b32_e32 v3, v13, v3
	s_delay_alu instid0(VALU_DEP_2) | instskip(NEXT) | instid1(VALU_DEP_1)
	v_and_b32_e32 v2, v12, v2
	v_mul_lo_u32 v8, 0, v2
	v_mul_hi_u32 v18, 24, v2
	v_mul_lo_u32 v2, 24, v2
	s_wait_loadcnt 0x0
	s_delay_alu instid0(VALU_DEP_1) | instskip(SKIP_2) | instid1(VALU_DEP_1)
	v_add_co_u32 v2, vcc_lo, v14, v2
	v_mov_b32_e32 v14, v16
	v_mul_lo_u32 v3, 24, v3
	v_add_nc_u32_e32 v3, v3, v8
	s_delay_alu instid0(VALU_DEP_1) | instskip(SKIP_1) | instid1(VALU_DEP_1)
	v_add_nc_u32_e32 v3, v3, v18
	s_wait_alu 0xfffd
	v_add_co_ci_u32_e32 v3, vcc_lo, v15, v3, vcc_lo
	v_mov_b32_e32 v15, v17
	global_store_b64 v[2:3], v[16:17], off
	global_wb scope:SCOPE_SYS
	s_wait_storecnt 0x0
	global_atomic_cmpswap_b64 v[14:15], v9, v[12:15], s[34:35] offset:24 th:TH_ATOMIC_RETURN scope:SCOPE_SYS
	s_wait_loadcnt 0x0
	v_cmp_ne_u64_e32 vcc_lo, v[14:15], v[16:17]
	s_and_b32 exec_lo, exec_lo, vcc_lo
	s_cbranch_execz .LBB8_1316
; %bb.1390:                             ;   in Loop: Header=BB8_1317 Depth=1
	s_mov_b32 s0, 0
.LBB8_1391:                             ;   Parent Loop BB8_1317 Depth=1
                                        ; =>  This Inner Loop Header: Depth=2
	s_sleep 1
	global_store_b64 v[2:3], v[14:15], off
	global_wb scope:SCOPE_SYS
	s_wait_storecnt 0x0
	global_atomic_cmpswap_b64 v[16:17], v9, v[12:15], s[34:35] offset:24 th:TH_ATOMIC_RETURN scope:SCOPE_SYS
	s_wait_loadcnt 0x0
	v_cmp_eq_u64_e32 vcc_lo, v[16:17], v[14:15]
	v_dual_mov_b32 v14, v16 :: v_dual_mov_b32 v15, v17
	s_wait_alu 0xfffe
	s_or_b32 s0, vcc_lo, s0
	s_wait_alu 0xfffe
	s_and_not1_b32 exec_lo, exec_lo, s0
	s_cbranch_execnz .LBB8_1391
	s_branch .LBB8_1316
.LBB8_1392:
	s_branch .LBB8_1421
.LBB8_1393:
                                        ; implicit-def: $vgpr0_vgpr1
	s_cbranch_execz .LBB8_1421
; %bb.1394:
	v_readfirstlane_b32 s0, v52
	v_mov_b32_e32 v9, 0
	v_mov_b32_e32 v10, 0
	s_wait_alu 0xf1ff
	s_delay_alu instid0(VALU_DEP_3) | instskip(NEXT) | instid1(VALU_DEP_1)
	v_cmp_eq_u32_e64 s0, s0, v52
	s_and_saveexec_b32 s1, s0
	s_cbranch_execz .LBB8_1400
; %bb.1395:
	s_wait_loadcnt 0x0
	v_mov_b32_e32 v0, 0
	s_mov_b32 s2, exec_lo
	global_load_b64 v[11:12], v0, s[34:35] offset:24 scope:SCOPE_SYS
	s_wait_loadcnt 0x0
	global_inv scope:SCOPE_SYS
	s_clause 0x1
	global_load_b64 v[1:2], v0, s[34:35] offset:40
	global_load_b64 v[8:9], v0, s[34:35]
	s_wait_loadcnt 0x1
	v_and_b32_e32 v1, v1, v11
	v_and_b32_e32 v2, v2, v12
	s_delay_alu instid0(VALU_DEP_2) | instskip(NEXT) | instid1(VALU_DEP_2)
	v_mul_lo_u32 v3, 0, v1
	v_mul_lo_u32 v2, 24, v2
	v_mul_hi_u32 v10, 24, v1
	v_mul_lo_u32 v1, 24, v1
	s_delay_alu instid0(VALU_DEP_3) | instskip(SKIP_1) | instid1(VALU_DEP_2)
	v_add_nc_u32_e32 v2, v2, v3
	s_wait_loadcnt 0x0
	v_add_co_u32 v1, vcc_lo, v8, v1
	s_delay_alu instid0(VALU_DEP_2) | instskip(SKIP_1) | instid1(VALU_DEP_1)
	v_add_nc_u32_e32 v2, v2, v10
	s_wait_alu 0xfffd
	v_add_co_ci_u32_e32 v2, vcc_lo, v9, v2, vcc_lo
	global_load_b64 v[9:10], v[1:2], off scope:SCOPE_SYS
	s_wait_loadcnt 0x0
	global_atomic_cmpswap_b64 v[9:10], v0, v[9:12], s[34:35] offset:24 th:TH_ATOMIC_RETURN scope:SCOPE_SYS
	s_wait_loadcnt 0x0
	global_inv scope:SCOPE_SYS
	v_cmpx_ne_u64_e64 v[9:10], v[11:12]
	s_cbranch_execz .LBB8_1399
; %bb.1396:
	s_mov_b32 s3, 0
.LBB8_1397:                             ; =>This Inner Loop Header: Depth=1
	s_sleep 1
	s_clause 0x1
	global_load_b64 v[1:2], v0, s[34:35] offset:40
	global_load_b64 v[13:14], v0, s[34:35]
	v_dual_mov_b32 v12, v10 :: v_dual_mov_b32 v11, v9
	s_wait_loadcnt 0x1
	s_delay_alu instid0(VALU_DEP_1) | instskip(SKIP_1) | instid1(VALU_DEP_1)
	v_and_b32_e32 v1, v1, v11
	s_wait_loadcnt 0x0
	v_mad_co_u64_u32 v[8:9], null, v1, 24, v[13:14]
	s_delay_alu instid0(VALU_DEP_1) | instskip(NEXT) | instid1(VALU_DEP_1)
	v_dual_mov_b32 v1, v9 :: v_dual_and_b32 v2, v2, v12
	v_mad_co_u64_u32 v[1:2], null, v2, 24, v[1:2]
	s_delay_alu instid0(VALU_DEP_1)
	v_mov_b32_e32 v9, v1
	global_load_b64 v[9:10], v[8:9], off scope:SCOPE_SYS
	s_wait_loadcnt 0x0
	global_atomic_cmpswap_b64 v[9:10], v0, v[9:12], s[34:35] offset:24 th:TH_ATOMIC_RETURN scope:SCOPE_SYS
	s_wait_loadcnt 0x0
	global_inv scope:SCOPE_SYS
	v_cmp_eq_u64_e32 vcc_lo, v[9:10], v[11:12]
	s_wait_alu 0xfffe
	s_or_b32 s3, vcc_lo, s3
	s_wait_alu 0xfffe
	s_and_not1_b32 exec_lo, exec_lo, s3
	s_cbranch_execnz .LBB8_1397
; %bb.1398:
	s_or_b32 exec_lo, exec_lo, s3
.LBB8_1399:
	s_wait_alu 0xfffe
	s_or_b32 exec_lo, exec_lo, s2
.LBB8_1400:
	s_wait_alu 0xfffe
	s_or_b32 exec_lo, exec_lo, s1
	v_readfirstlane_b32 s1, v10
	v_mov_b32_e32 v8, 0
	v_readfirstlane_b32 s2, v9
	s_mov_b32 s3, exec_lo
	s_clause 0x1
	global_load_b64 v[11:12], v8, s[34:35] offset:40
	global_load_b128 v[0:3], v8, s[34:35]
	s_wait_loadcnt 0x1
	s_wait_alu 0xf1ff
	v_and_b32_e32 v13, s1, v12
	v_and_b32_e32 v12, s2, v11
	s_delay_alu instid0(VALU_DEP_2) | instskip(NEXT) | instid1(VALU_DEP_2)
	v_mul_lo_u32 v9, 24, v13
	v_mul_lo_u32 v10, 0, v12
	v_mul_hi_u32 v11, 24, v12
	v_mul_lo_u32 v14, 24, v12
	s_delay_alu instid0(VALU_DEP_3) | instskip(SKIP_1) | instid1(VALU_DEP_2)
	v_add_nc_u32_e32 v9, v9, v10
	s_wait_loadcnt 0x0
	v_add_co_u32 v10, vcc_lo, v0, v14
	s_delay_alu instid0(VALU_DEP_2) | instskip(SKIP_1) | instid1(VALU_DEP_1)
	v_add_nc_u32_e32 v9, v9, v11
	s_wait_alu 0xfffd
	v_add_co_ci_u32_e32 v11, vcc_lo, v1, v9, vcc_lo
	s_and_saveexec_b32 s4, s0
	s_cbranch_execz .LBB8_1402
; %bb.1401:
	s_wait_alu 0xfffe
	v_dual_mov_b32 v14, s3 :: v_dual_mov_b32 v15, v8
	v_dual_mov_b32 v16, 2 :: v_dual_mov_b32 v17, 1
	global_store_b128 v[10:11], v[14:17], off offset:8
.LBB8_1402:
	s_wait_alu 0xfffe
	s_or_b32 exec_lo, exec_lo, s4
	v_lshlrev_b64_e32 v[12:13], 12, v[12:13]
	s_mov_b32 s4, 0
	v_and_or_b32 v6, 0xffffff1f, v6, 32
	s_wait_alu 0xfffe
	s_mov_b32 s7, s4
	s_mov_b32 s5, s4
	;; [unrolled: 1-line block ×3, first 2 shown]
	v_add_co_u32 v2, vcc_lo, v2, v12
	s_wait_alu 0xfffd
	v_add_co_ci_u32_e32 v3, vcc_lo, v3, v13, vcc_lo
	v_mov_b32_e32 v9, v8
	s_delay_alu instid0(VALU_DEP_3) | instskip(SKIP_1) | instid1(VALU_DEP_4)
	v_add_co_u32 v12, vcc_lo, v2, v51
	v_readfirstlane_b32 s10, v2
	v_readfirstlane_b32 s11, v3
	s_wait_alu 0xfffe
	v_dual_mov_b32 v17, s7 :: v_dual_mov_b32 v14, s4
	s_wait_alu 0xfffd
	v_add_co_ci_u32_e32 v13, vcc_lo, 0, v3, vcc_lo
	v_dual_mov_b32 v16, s6 :: v_dual_mov_b32 v15, s5
	s_clause 0x3
	global_store_b128 v51, v[6:9], s[10:11]
	global_store_b128 v51, v[14:17], s[10:11] offset:16
	global_store_b128 v51, v[14:17], s[10:11] offset:32
	;; [unrolled: 1-line block ×3, first 2 shown]
	s_and_saveexec_b32 s3, s0
	s_cbranch_execz .LBB8_1410
; %bb.1403:
	v_mov_b32_e32 v8, 0
	s_mov_b32 s4, exec_lo
	s_clause 0x1
	global_load_b64 v[16:17], v8, s[34:35] offset:32 scope:SCOPE_SYS
	global_load_b64 v[2:3], v8, s[34:35] offset:40
	v_dual_mov_b32 v15, s1 :: v_dual_mov_b32 v14, s2
	s_wait_loadcnt 0x0
	v_and_b32_e32 v3, s1, v3
	v_and_b32_e32 v2, s2, v2
	s_delay_alu instid0(VALU_DEP_2) | instskip(NEXT) | instid1(VALU_DEP_2)
	v_mul_lo_u32 v3, 24, v3
	v_mul_lo_u32 v6, 0, v2
	v_mul_hi_u32 v7, 24, v2
	v_mul_lo_u32 v2, 24, v2
	s_delay_alu instid0(VALU_DEP_3) | instskip(NEXT) | instid1(VALU_DEP_2)
	v_add_nc_u32_e32 v3, v3, v6
	v_add_co_u32 v6, vcc_lo, v0, v2
	s_delay_alu instid0(VALU_DEP_2) | instskip(SKIP_1) | instid1(VALU_DEP_1)
	v_add_nc_u32_e32 v3, v3, v7
	s_wait_alu 0xfffd
	v_add_co_ci_u32_e32 v7, vcc_lo, v1, v3, vcc_lo
	global_store_b64 v[6:7], v[16:17], off
	global_wb scope:SCOPE_SYS
	s_wait_storecnt 0x0
	global_atomic_cmpswap_b64 v[2:3], v8, v[14:17], s[34:35] offset:32 th:TH_ATOMIC_RETURN scope:SCOPE_SYS
	s_wait_loadcnt 0x0
	v_cmpx_ne_u64_e64 v[2:3], v[16:17]
	s_cbranch_execz .LBB8_1406
; %bb.1404:
	s_mov_b32 s5, 0
.LBB8_1405:                             ; =>This Inner Loop Header: Depth=1
	v_dual_mov_b32 v0, s2 :: v_dual_mov_b32 v1, s1
	s_sleep 1
	global_store_b64 v[6:7], v[2:3], off
	global_wb scope:SCOPE_SYS
	s_wait_storecnt 0x0
	global_atomic_cmpswap_b64 v[0:1], v8, v[0:3], s[34:35] offset:32 th:TH_ATOMIC_RETURN scope:SCOPE_SYS
	s_wait_loadcnt 0x0
	v_cmp_eq_u64_e32 vcc_lo, v[0:1], v[2:3]
	v_dual_mov_b32 v3, v1 :: v_dual_mov_b32 v2, v0
	s_wait_alu 0xfffe
	s_or_b32 s5, vcc_lo, s5
	s_wait_alu 0xfffe
	s_and_not1_b32 exec_lo, exec_lo, s5
	s_cbranch_execnz .LBB8_1405
.LBB8_1406:
	s_wait_alu 0xfffe
	s_or_b32 exec_lo, exec_lo, s4
	v_mov_b32_e32 v3, 0
	s_mov_b32 s5, exec_lo
	s_mov_b32 s4, exec_lo
	s_wait_alu 0xfffe
	v_mbcnt_lo_u32_b32 v2, s5, 0
	global_load_b64 v[0:1], v3, s[34:35] offset:16
	v_cmpx_eq_u32_e32 0, v2
	s_cbranch_execz .LBB8_1408
; %bb.1407:
	s_bcnt1_i32_b32 s5, s5
	s_wait_alu 0xfffe
	v_mov_b32_e32 v2, s5
	global_wb scope:SCOPE_SYS
	s_wait_loadcnt 0x0
	global_atomic_add_u64 v[0:1], v[2:3], off offset:8 scope:SCOPE_SYS
.LBB8_1408:
	s_or_b32 exec_lo, exec_lo, s4
	s_wait_loadcnt 0x0
	global_load_b64 v[2:3], v[0:1], off offset:16
	s_wait_loadcnt 0x0
	v_cmp_eq_u64_e32 vcc_lo, 0, v[2:3]
	s_cbranch_vccnz .LBB8_1410
; %bb.1409:
	global_load_b32 v0, v[0:1], off offset:24
	s_wait_loadcnt 0x0
	v_dual_mov_b32 v1, 0 :: v_dual_and_b32 v6, 0xffffff, v0
	global_wb scope:SCOPE_SYS
	s_wait_storecnt 0x0
	global_store_b64 v[2:3], v[0:1], off scope:SCOPE_SYS
	v_readfirstlane_b32 m0, v6
	s_sendmsg sendmsg(MSG_INTERRUPT)
.LBB8_1410:
	s_wait_alu 0xfffe
	s_or_b32 exec_lo, exec_lo, s3
	s_branch .LBB8_1414
.LBB8_1411:                             ;   in Loop: Header=BB8_1414 Depth=1
	s_wait_alu 0xfffe
	s_or_b32 exec_lo, exec_lo, s3
	s_delay_alu instid0(VALU_DEP_1) | instskip(NEXT) | instid1(VALU_DEP_1)
	v_readfirstlane_b32 s3, v0
	s_cmp_eq_u32 s3, 0
	s_cbranch_scc1 .LBB8_1413
; %bb.1412:                             ;   in Loop: Header=BB8_1414 Depth=1
	s_sleep 1
	s_cbranch_execnz .LBB8_1414
	s_branch .LBB8_1416
.LBB8_1413:
	s_branch .LBB8_1416
.LBB8_1414:                             ; =>This Inner Loop Header: Depth=1
	v_mov_b32_e32 v0, 1
	s_and_saveexec_b32 s3, s0
	s_cbranch_execz .LBB8_1411
; %bb.1415:                             ;   in Loop: Header=BB8_1414 Depth=1
	global_load_b32 v0, v[10:11], off offset:20 scope:SCOPE_SYS
	s_wait_loadcnt 0x0
	global_inv scope:SCOPE_SYS
	v_and_b32_e32 v0, 1, v0
	s_branch .LBB8_1411
.LBB8_1416:
	global_load_b64 v[0:1], v[12:13], off
	s_and_saveexec_b32 s3, s0
	s_cbranch_execz .LBB8_1420
; %bb.1417:
	v_mov_b32_e32 v10, 0
	s_clause 0x2
	global_load_b64 v[2:3], v10, s[34:35] offset:40
	global_load_b64 v[11:12], v10, s[34:35] offset:24 scope:SCOPE_SYS
	global_load_b64 v[8:9], v10, s[34:35]
	s_wait_loadcnt 0x2
	v_add_co_u32 v13, vcc_lo, v2, 1
	s_wait_alu 0xfffd
	v_add_co_ci_u32_e32 v14, vcc_lo, 0, v3, vcc_lo
	s_delay_alu instid0(VALU_DEP_2) | instskip(SKIP_1) | instid1(VALU_DEP_2)
	v_add_co_u32 v6, vcc_lo, v13, s2
	s_wait_alu 0xfffd
	v_add_co_ci_u32_e32 v7, vcc_lo, s1, v14, vcc_lo
	s_delay_alu instid0(VALU_DEP_1) | instskip(SKIP_2) | instid1(VALU_DEP_1)
	v_cmp_eq_u64_e32 vcc_lo, 0, v[6:7]
	s_wait_alu 0xfffd
	v_dual_cndmask_b32 v7, v7, v14 :: v_dual_cndmask_b32 v6, v6, v13
	v_and_b32_e32 v3, v7, v3
	s_delay_alu instid0(VALU_DEP_2) | instskip(NEXT) | instid1(VALU_DEP_2)
	v_and_b32_e32 v2, v6, v2
	v_mul_lo_u32 v3, 24, v3
	s_delay_alu instid0(VALU_DEP_2) | instskip(SKIP_2) | instid1(VALU_DEP_3)
	v_mul_lo_u32 v13, 0, v2
	v_mul_hi_u32 v14, 24, v2
	v_mul_lo_u32 v2, 24, v2
	v_add_nc_u32_e32 v3, v3, v13
	s_wait_loadcnt 0x0
	s_delay_alu instid0(VALU_DEP_2) | instskip(SKIP_1) | instid1(VALU_DEP_3)
	v_add_co_u32 v2, vcc_lo, v8, v2
	v_mov_b32_e32 v8, v11
	v_add_nc_u32_e32 v3, v3, v14
	s_wait_alu 0xfffd
	s_delay_alu instid0(VALU_DEP_1)
	v_add_co_ci_u32_e32 v3, vcc_lo, v9, v3, vcc_lo
	v_mov_b32_e32 v9, v12
	global_store_b64 v[2:3], v[11:12], off
	global_wb scope:SCOPE_SYS
	s_wait_storecnt 0x0
	global_atomic_cmpswap_b64 v[8:9], v10, v[6:9], s[34:35] offset:24 th:TH_ATOMIC_RETURN scope:SCOPE_SYS
	s_wait_loadcnt 0x0
	v_cmp_ne_u64_e32 vcc_lo, v[8:9], v[11:12]
	s_and_b32 exec_lo, exec_lo, vcc_lo
	s_cbranch_execz .LBB8_1420
; %bb.1418:
	s_mov_b32 s0, 0
.LBB8_1419:                             ; =>This Inner Loop Header: Depth=1
	s_sleep 1
	global_store_b64 v[2:3], v[8:9], off
	global_wb scope:SCOPE_SYS
	s_wait_storecnt 0x0
	global_atomic_cmpswap_b64 v[11:12], v10, v[6:9], s[34:35] offset:24 th:TH_ATOMIC_RETURN scope:SCOPE_SYS
	s_wait_loadcnt 0x0
	v_cmp_eq_u64_e32 vcc_lo, v[11:12], v[8:9]
	v_dual_mov_b32 v8, v11 :: v_dual_mov_b32 v9, v12
	s_wait_alu 0xfffe
	s_or_b32 s0, vcc_lo, s0
	s_wait_alu 0xfffe
	s_and_not1_b32 exec_lo, exec_lo, s0
	s_cbranch_execnz .LBB8_1419
.LBB8_1420:
	s_wait_alu 0xfffe
	s_or_b32 exec_lo, exec_lo, s3
.LBB8_1421:
	s_getpc_b64 s[2:3]
	s_wait_alu 0xfffe
	s_sext_i32_i16 s3, s3
	s_add_co_u32 s2, s2, .str.4@rel32@lo+12
	s_wait_alu 0xfffe
	s_add_co_ci_u32 s3, s3, .str.4@rel32@hi+24
	s_wait_alu 0xfffe
	s_cmp_lg_u64 s[2:3], 0
	s_cbranch_scc0 .LBB8_1500
; %bb.1422:
	s_wait_loadcnt 0x0
	v_dual_mov_b32 v11, v1 :: v_dual_and_b32 v10, -3, v0
	v_dual_mov_b32 v7, 0 :: v_dual_mov_b32 v8, 2
	v_mov_b32_e32 v9, 1
	s_mov_b64 s[4:5], 13
	s_branch .LBB8_1424
.LBB8_1423:                             ;   in Loop: Header=BB8_1424 Depth=1
	s_wait_alu 0xfffe
	s_or_b32 exec_lo, exec_lo, s11
	s_sub_nc_u64 s[4:5], s[4:5], s[6:7]
	s_add_nc_u64 s[2:3], s[2:3], s[6:7]
	s_wait_alu 0xfffe
	s_cmp_lg_u64 s[4:5], 0
	s_cbranch_scc0 .LBB8_1499
.LBB8_1424:                             ; =>This Loop Header: Depth=1
                                        ;     Child Loop BB8_1433 Depth 2
                                        ;     Child Loop BB8_1429 Depth 2
	;; [unrolled: 1-line block ×11, first 2 shown]
	s_wait_alu 0xfffe
	v_cmp_lt_u64_e64 s0, s[4:5], 56
	v_cmp_gt_u64_e64 s1, s[4:5], 7
                                        ; implicit-def: $sgpr15
	s_delay_alu instid0(VALU_DEP_2) | instskip(SKIP_2) | instid1(VALU_DEP_1)
	s_and_b32 s0, s0, exec_lo
	s_cselect_b32 s7, s5, 0
	s_cselect_b32 s6, s4, 56
	s_and_b32 vcc_lo, exec_lo, s1
	s_mov_b32 s0, -1
	s_wait_alu 0xfffe
	s_cbranch_vccz .LBB8_1431
; %bb.1425:                             ;   in Loop: Header=BB8_1424 Depth=1
	s_and_not1_b32 vcc_lo, exec_lo, s0
	s_mov_b64 s[0:1], s[2:3]
	s_wait_alu 0xfffe
	s_cbranch_vccz .LBB8_1435
.LBB8_1426:                             ;   in Loop: Header=BB8_1424 Depth=1
	s_wait_alu 0xfffe
	s_cmp_gt_u32 s15, 7
	s_cbranch_scc1 .LBB8_1436
.LBB8_1427:                             ;   in Loop: Header=BB8_1424 Depth=1
	v_mov_b32_e32 v14, 0
	v_mov_b32_e32 v15, 0
	s_cmp_eq_u32 s15, 0
	s_cbranch_scc1 .LBB8_1430
; %bb.1428:                             ;   in Loop: Header=BB8_1424 Depth=1
	s_mov_b64 s[10:11], 0
	s_mov_b64 s[16:17], 0
.LBB8_1429:                             ;   Parent Loop BB8_1424 Depth=1
                                        ; =>  This Inner Loop Header: Depth=2
	s_wait_alu 0xfffe
	s_add_nc_u64 s[18:19], s[0:1], s[16:17]
	s_add_nc_u64 s[16:17], s[16:17], 1
	global_load_u8 v2, v7, s[18:19]
	s_wait_alu 0xfffe
	s_cmp_lg_u32 s15, s16
	s_wait_loadcnt 0x0
	v_and_b32_e32 v6, 0xffff, v2
	s_delay_alu instid0(VALU_DEP_1) | instskip(SKIP_1) | instid1(VALU_DEP_1)
	v_lshlrev_b64_e32 v[2:3], s10, v[6:7]
	s_add_nc_u64 s[10:11], s[10:11], 8
	v_or_b32_e32 v14, v2, v14
	s_delay_alu instid0(VALU_DEP_2)
	v_or_b32_e32 v15, v3, v15
	s_cbranch_scc1 .LBB8_1429
.LBB8_1430:                             ;   in Loop: Header=BB8_1424 Depth=1
	s_mov_b32 s18, 0
	s_cbranch_execz .LBB8_1437
	s_branch .LBB8_1438
.LBB8_1431:                             ;   in Loop: Header=BB8_1424 Depth=1
	s_wait_loadcnt 0x0
	v_mov_b32_e32 v12, 0
	v_mov_b32_e32 v13, 0
	s_cmp_eq_u64 s[4:5], 0
	s_mov_b64 s[0:1], 0
	s_cbranch_scc1 .LBB8_1434
; %bb.1432:                             ;   in Loop: Header=BB8_1424 Depth=1
	v_mov_b32_e32 v12, 0
	v_mov_b32_e32 v13, 0
	s_mov_b64 s[10:11], 0
.LBB8_1433:                             ;   Parent Loop BB8_1424 Depth=1
                                        ; =>  This Inner Loop Header: Depth=2
	s_wait_alu 0xfffe
	s_add_nc_u64 s[16:17], s[2:3], s[10:11]
	s_add_nc_u64 s[10:11], s[10:11], 1
	global_load_u8 v2, v7, s[16:17]
	s_wait_alu 0xfffe
	s_cmp_lg_u32 s6, s10
	s_wait_loadcnt 0x0
	v_and_b32_e32 v6, 0xffff, v2
	s_delay_alu instid0(VALU_DEP_1) | instskip(SKIP_1) | instid1(VALU_DEP_1)
	v_lshlrev_b64_e32 v[2:3], s0, v[6:7]
	s_add_nc_u64 s[0:1], s[0:1], 8
	v_or_b32_e32 v12, v2, v12
	s_delay_alu instid0(VALU_DEP_2)
	v_or_b32_e32 v13, v3, v13
	s_cbranch_scc1 .LBB8_1433
.LBB8_1434:                             ;   in Loop: Header=BB8_1424 Depth=1
	s_mov_b32 s15, 0
	s_mov_b64 s[0:1], s[2:3]
	s_cbranch_execnz .LBB8_1426
.LBB8_1435:                             ;   in Loop: Header=BB8_1424 Depth=1
	global_load_b64 v[12:13], v7, s[2:3]
	s_add_co_i32 s15, s6, -8
	s_add_nc_u64 s[0:1], s[2:3], 8
	s_wait_alu 0xfffe
	s_cmp_gt_u32 s15, 7
	s_cbranch_scc0 .LBB8_1427
.LBB8_1436:                             ;   in Loop: Header=BB8_1424 Depth=1
                                        ; implicit-def: $vgpr14_vgpr15
                                        ; implicit-def: $sgpr18
.LBB8_1437:                             ;   in Loop: Header=BB8_1424 Depth=1
	global_load_b64 v[14:15], v7, s[0:1]
	s_add_co_i32 s18, s15, -8
	s_add_nc_u64 s[0:1], s[0:1], 8
.LBB8_1438:                             ;   in Loop: Header=BB8_1424 Depth=1
	s_wait_alu 0xfffe
	s_cmp_gt_u32 s18, 7
	s_cbranch_scc1 .LBB8_1443
; %bb.1439:                             ;   in Loop: Header=BB8_1424 Depth=1
	v_mov_b32_e32 v16, 0
	v_mov_b32_e32 v17, 0
	s_cmp_eq_u32 s18, 0
	s_cbranch_scc1 .LBB8_1442
; %bb.1440:                             ;   in Loop: Header=BB8_1424 Depth=1
	s_mov_b64 s[10:11], 0
	s_mov_b64 s[16:17], 0
.LBB8_1441:                             ;   Parent Loop BB8_1424 Depth=1
                                        ; =>  This Inner Loop Header: Depth=2
	s_wait_alu 0xfffe
	s_add_nc_u64 s[20:21], s[0:1], s[16:17]
	s_add_nc_u64 s[16:17], s[16:17], 1
	global_load_u8 v2, v7, s[20:21]
	s_wait_alu 0xfffe
	s_cmp_lg_u32 s18, s16
	s_wait_loadcnt 0x0
	v_and_b32_e32 v6, 0xffff, v2
	s_delay_alu instid0(VALU_DEP_1) | instskip(SKIP_1) | instid1(VALU_DEP_1)
	v_lshlrev_b64_e32 v[2:3], s10, v[6:7]
	s_add_nc_u64 s[10:11], s[10:11], 8
	v_or_b32_e32 v16, v2, v16
	s_delay_alu instid0(VALU_DEP_2)
	v_or_b32_e32 v17, v3, v17
	s_cbranch_scc1 .LBB8_1441
.LBB8_1442:                             ;   in Loop: Header=BB8_1424 Depth=1
	s_mov_b32 s15, 0
	s_cbranch_execz .LBB8_1444
	s_branch .LBB8_1445
.LBB8_1443:                             ;   in Loop: Header=BB8_1424 Depth=1
                                        ; implicit-def: $sgpr15
.LBB8_1444:                             ;   in Loop: Header=BB8_1424 Depth=1
	global_load_b64 v[16:17], v7, s[0:1]
	s_add_co_i32 s15, s18, -8
	s_add_nc_u64 s[0:1], s[0:1], 8
.LBB8_1445:                             ;   in Loop: Header=BB8_1424 Depth=1
	s_wait_alu 0xfffe
	s_cmp_gt_u32 s15, 7
	s_cbranch_scc1 .LBB8_1450
; %bb.1446:                             ;   in Loop: Header=BB8_1424 Depth=1
	v_mov_b32_e32 v18, 0
	v_mov_b32_e32 v19, 0
	s_cmp_eq_u32 s15, 0
	s_cbranch_scc1 .LBB8_1449
; %bb.1447:                             ;   in Loop: Header=BB8_1424 Depth=1
	s_mov_b64 s[10:11], 0
	s_mov_b64 s[16:17], 0
.LBB8_1448:                             ;   Parent Loop BB8_1424 Depth=1
                                        ; =>  This Inner Loop Header: Depth=2
	s_wait_alu 0xfffe
	s_add_nc_u64 s[18:19], s[0:1], s[16:17]
	s_add_nc_u64 s[16:17], s[16:17], 1
	global_load_u8 v2, v7, s[18:19]
	s_wait_alu 0xfffe
	s_cmp_lg_u32 s15, s16
	s_wait_loadcnt 0x0
	v_and_b32_e32 v6, 0xffff, v2
	s_delay_alu instid0(VALU_DEP_1) | instskip(SKIP_1) | instid1(VALU_DEP_1)
	v_lshlrev_b64_e32 v[2:3], s10, v[6:7]
	s_add_nc_u64 s[10:11], s[10:11], 8
	v_or_b32_e32 v18, v2, v18
	s_delay_alu instid0(VALU_DEP_2)
	v_or_b32_e32 v19, v3, v19
	s_cbranch_scc1 .LBB8_1448
.LBB8_1449:                             ;   in Loop: Header=BB8_1424 Depth=1
	s_mov_b32 s18, 0
	s_cbranch_execz .LBB8_1451
	s_branch .LBB8_1452
.LBB8_1450:                             ;   in Loop: Header=BB8_1424 Depth=1
                                        ; implicit-def: $vgpr18_vgpr19
                                        ; implicit-def: $sgpr18
.LBB8_1451:                             ;   in Loop: Header=BB8_1424 Depth=1
	global_load_b64 v[18:19], v7, s[0:1]
	s_add_co_i32 s18, s15, -8
	s_add_nc_u64 s[0:1], s[0:1], 8
.LBB8_1452:                             ;   in Loop: Header=BB8_1424 Depth=1
	s_wait_alu 0xfffe
	s_cmp_gt_u32 s18, 7
	s_cbranch_scc1 .LBB8_1457
; %bb.1453:                             ;   in Loop: Header=BB8_1424 Depth=1
	v_mov_b32_e32 v20, 0
	v_mov_b32_e32 v21, 0
	s_cmp_eq_u32 s18, 0
	s_cbranch_scc1 .LBB8_1456
; %bb.1454:                             ;   in Loop: Header=BB8_1424 Depth=1
	s_mov_b64 s[10:11], 0
	s_mov_b64 s[16:17], 0
.LBB8_1455:                             ;   Parent Loop BB8_1424 Depth=1
                                        ; =>  This Inner Loop Header: Depth=2
	s_wait_alu 0xfffe
	s_add_nc_u64 s[20:21], s[0:1], s[16:17]
	s_add_nc_u64 s[16:17], s[16:17], 1
	global_load_u8 v2, v7, s[20:21]
	s_wait_alu 0xfffe
	s_cmp_lg_u32 s18, s16
	s_wait_loadcnt 0x0
	v_and_b32_e32 v6, 0xffff, v2
	s_delay_alu instid0(VALU_DEP_1) | instskip(SKIP_1) | instid1(VALU_DEP_1)
	v_lshlrev_b64_e32 v[2:3], s10, v[6:7]
	s_add_nc_u64 s[10:11], s[10:11], 8
	v_or_b32_e32 v20, v2, v20
	s_delay_alu instid0(VALU_DEP_2)
	v_or_b32_e32 v21, v3, v21
	s_cbranch_scc1 .LBB8_1455
.LBB8_1456:                             ;   in Loop: Header=BB8_1424 Depth=1
	s_mov_b32 s15, 0
	s_cbranch_execz .LBB8_1458
	s_branch .LBB8_1459
.LBB8_1457:                             ;   in Loop: Header=BB8_1424 Depth=1
                                        ; implicit-def: $sgpr15
.LBB8_1458:                             ;   in Loop: Header=BB8_1424 Depth=1
	global_load_b64 v[20:21], v7, s[0:1]
	s_add_co_i32 s15, s18, -8
	s_add_nc_u64 s[0:1], s[0:1], 8
.LBB8_1459:                             ;   in Loop: Header=BB8_1424 Depth=1
	s_wait_alu 0xfffe
	s_cmp_gt_u32 s15, 7
	s_cbranch_scc1 .LBB8_1464
; %bb.1460:                             ;   in Loop: Header=BB8_1424 Depth=1
	v_mov_b32_e32 v22, 0
	v_mov_b32_e32 v23, 0
	s_cmp_eq_u32 s15, 0
	s_cbranch_scc1 .LBB8_1463
; %bb.1461:                             ;   in Loop: Header=BB8_1424 Depth=1
	s_mov_b64 s[10:11], 0
	s_mov_b64 s[16:17], 0
.LBB8_1462:                             ;   Parent Loop BB8_1424 Depth=1
                                        ; =>  This Inner Loop Header: Depth=2
	s_wait_alu 0xfffe
	s_add_nc_u64 s[18:19], s[0:1], s[16:17]
	s_add_nc_u64 s[16:17], s[16:17], 1
	global_load_u8 v2, v7, s[18:19]
	s_wait_alu 0xfffe
	s_cmp_lg_u32 s15, s16
	s_wait_loadcnt 0x0
	v_and_b32_e32 v6, 0xffff, v2
	s_delay_alu instid0(VALU_DEP_1) | instskip(SKIP_1) | instid1(VALU_DEP_1)
	v_lshlrev_b64_e32 v[2:3], s10, v[6:7]
	s_add_nc_u64 s[10:11], s[10:11], 8
	v_or_b32_e32 v22, v2, v22
	s_delay_alu instid0(VALU_DEP_2)
	v_or_b32_e32 v23, v3, v23
	s_cbranch_scc1 .LBB8_1462
.LBB8_1463:                             ;   in Loop: Header=BB8_1424 Depth=1
	s_mov_b32 s18, 0
	s_cbranch_execz .LBB8_1465
	s_branch .LBB8_1466
.LBB8_1464:                             ;   in Loop: Header=BB8_1424 Depth=1
                                        ; implicit-def: $vgpr22_vgpr23
                                        ; implicit-def: $sgpr18
.LBB8_1465:                             ;   in Loop: Header=BB8_1424 Depth=1
	global_load_b64 v[22:23], v7, s[0:1]
	s_add_co_i32 s18, s15, -8
	s_add_nc_u64 s[0:1], s[0:1], 8
.LBB8_1466:                             ;   in Loop: Header=BB8_1424 Depth=1
	s_wait_alu 0xfffe
	s_cmp_gt_u32 s18, 7
	s_cbranch_scc1 .LBB8_1471
; %bb.1467:                             ;   in Loop: Header=BB8_1424 Depth=1
	v_mov_b32_e32 v24, 0
	v_mov_b32_e32 v25, 0
	s_cmp_eq_u32 s18, 0
	s_cbranch_scc1 .LBB8_1470
; %bb.1468:                             ;   in Loop: Header=BB8_1424 Depth=1
	s_mov_b64 s[10:11], 0
	s_mov_b64 s[16:17], s[0:1]
.LBB8_1469:                             ;   Parent Loop BB8_1424 Depth=1
                                        ; =>  This Inner Loop Header: Depth=2
	global_load_u8 v2, v7, s[16:17]
	s_add_co_i32 s18, s18, -1
	s_wait_alu 0xfffe
	s_add_nc_u64 s[16:17], s[16:17], 1
	s_cmp_lg_u32 s18, 0
	s_wait_loadcnt 0x0
	v_and_b32_e32 v6, 0xffff, v2
	s_delay_alu instid0(VALU_DEP_1) | instskip(SKIP_1) | instid1(VALU_DEP_1)
	v_lshlrev_b64_e32 v[2:3], s10, v[6:7]
	s_add_nc_u64 s[10:11], s[10:11], 8
	v_or_b32_e32 v24, v2, v24
	s_delay_alu instid0(VALU_DEP_2)
	v_or_b32_e32 v25, v3, v25
	s_cbranch_scc1 .LBB8_1469
.LBB8_1470:                             ;   in Loop: Header=BB8_1424 Depth=1
	s_cbranch_execz .LBB8_1472
	s_branch .LBB8_1473
.LBB8_1471:                             ;   in Loop: Header=BB8_1424 Depth=1
.LBB8_1472:                             ;   in Loop: Header=BB8_1424 Depth=1
	global_load_b64 v[24:25], v7, s[0:1]
.LBB8_1473:                             ;   in Loop: Header=BB8_1424 Depth=1
	v_readfirstlane_b32 s0, v52
	v_mov_b32_e32 v2, 0
	v_mov_b32_e32 v3, 0
	s_wait_alu 0xf1ff
	s_delay_alu instid0(VALU_DEP_3) | instskip(NEXT) | instid1(VALU_DEP_1)
	v_cmp_eq_u32_e64 s0, s0, v52
	s_and_saveexec_b32 s1, s0
	s_cbranch_execz .LBB8_1479
; %bb.1474:                             ;   in Loop: Header=BB8_1424 Depth=1
	global_load_b64 v[28:29], v7, s[34:35] offset:24 scope:SCOPE_SYS
	s_wait_loadcnt 0x0
	global_inv scope:SCOPE_SYS
	s_clause 0x1
	global_load_b64 v[2:3], v7, s[34:35] offset:40
	global_load_b64 v[26:27], v7, s[34:35]
	s_mov_b32 s10, exec_lo
	s_wait_loadcnt 0x1
	v_and_b32_e32 v3, v3, v29
	v_and_b32_e32 v2, v2, v28
	s_delay_alu instid0(VALU_DEP_2) | instskip(NEXT) | instid1(VALU_DEP_2)
	v_mul_lo_u32 v3, 24, v3
	v_mul_lo_u32 v6, 0, v2
	v_mul_hi_u32 v30, 24, v2
	v_mul_lo_u32 v2, 24, v2
	s_delay_alu instid0(VALU_DEP_3) | instskip(SKIP_1) | instid1(VALU_DEP_2)
	v_add_nc_u32_e32 v3, v3, v6
	s_wait_loadcnt 0x0
	v_add_co_u32 v2, vcc_lo, v26, v2
	s_delay_alu instid0(VALU_DEP_2) | instskip(SKIP_1) | instid1(VALU_DEP_1)
	v_add_nc_u32_e32 v3, v3, v30
	s_wait_alu 0xfffd
	v_add_co_ci_u32_e32 v3, vcc_lo, v27, v3, vcc_lo
	global_load_b64 v[26:27], v[2:3], off scope:SCOPE_SYS
	s_wait_loadcnt 0x0
	global_atomic_cmpswap_b64 v[2:3], v7, v[26:29], s[34:35] offset:24 th:TH_ATOMIC_RETURN scope:SCOPE_SYS
	s_wait_loadcnt 0x0
	global_inv scope:SCOPE_SYS
	v_cmpx_ne_u64_e64 v[2:3], v[28:29]
	s_cbranch_execz .LBB8_1478
; %bb.1475:                             ;   in Loop: Header=BB8_1424 Depth=1
	s_mov_b32 s11, 0
.LBB8_1476:                             ;   Parent Loop BB8_1424 Depth=1
                                        ; =>  This Inner Loop Header: Depth=2
	s_sleep 1
	s_clause 0x1
	global_load_b64 v[26:27], v7, s[34:35] offset:40
	global_load_b64 v[30:31], v7, s[34:35]
	v_dual_mov_b32 v29, v3 :: v_dual_mov_b32 v28, v2
	s_wait_loadcnt 0x1
	s_delay_alu instid0(VALU_DEP_1) | instskip(NEXT) | instid1(VALU_DEP_2)
	v_and_b32_e32 v2, v26, v28
	v_and_b32_e32 v6, v27, v29
	s_wait_loadcnt 0x0
	s_delay_alu instid0(VALU_DEP_2) | instskip(NEXT) | instid1(VALU_DEP_1)
	v_mad_co_u64_u32 v[2:3], null, v2, 24, v[30:31]
	v_mad_co_u64_u32 v[26:27], null, v6, 24, v[3:4]
	s_delay_alu instid0(VALU_DEP_1)
	v_mov_b32_e32 v3, v26
	global_load_b64 v[26:27], v[2:3], off scope:SCOPE_SYS
	s_wait_loadcnt 0x0
	global_atomic_cmpswap_b64 v[2:3], v7, v[26:29], s[34:35] offset:24 th:TH_ATOMIC_RETURN scope:SCOPE_SYS
	s_wait_loadcnt 0x0
	global_inv scope:SCOPE_SYS
	v_cmp_eq_u64_e32 vcc_lo, v[2:3], v[28:29]
	s_wait_alu 0xfffe
	s_or_b32 s11, vcc_lo, s11
	s_wait_alu 0xfffe
	s_and_not1_b32 exec_lo, exec_lo, s11
	s_cbranch_execnz .LBB8_1476
; %bb.1477:                             ;   in Loop: Header=BB8_1424 Depth=1
	s_or_b32 exec_lo, exec_lo, s11
.LBB8_1478:                             ;   in Loop: Header=BB8_1424 Depth=1
	s_wait_alu 0xfffe
	s_or_b32 exec_lo, exec_lo, s10
.LBB8_1479:                             ;   in Loop: Header=BB8_1424 Depth=1
	s_wait_alu 0xfffe
	s_or_b32 exec_lo, exec_lo, s1
	s_clause 0x1
	global_load_b64 v[30:31], v7, s[34:35] offset:40
	global_load_b128 v[26:29], v7, s[34:35]
	v_readfirstlane_b32 s1, v3
	v_readfirstlane_b32 s10, v2
	s_mov_b32 s11, exec_lo
	s_wait_loadcnt 0x1
	s_wait_alu 0xf1ff
	v_and_b32_e32 v31, s1, v31
	v_and_b32_e32 v30, s10, v30
	s_delay_alu instid0(VALU_DEP_2) | instskip(NEXT) | instid1(VALU_DEP_2)
	v_mul_lo_u32 v2, 24, v31
	v_mul_lo_u32 v3, 0, v30
	v_mul_hi_u32 v6, 24, v30
	v_mul_lo_u32 v32, 24, v30
	s_delay_alu instid0(VALU_DEP_3) | instskip(NEXT) | instid1(VALU_DEP_1)
	v_add_nc_u32_e32 v2, v2, v3
	v_add_nc_u32_e32 v3, v2, v6
	s_wait_loadcnt 0x0
	s_delay_alu instid0(VALU_DEP_3) | instskip(SKIP_1) | instid1(VALU_DEP_2)
	v_add_co_u32 v2, vcc_lo, v26, v32
	s_wait_alu 0xfffd
	v_add_co_ci_u32_e32 v3, vcc_lo, v27, v3, vcc_lo
	s_and_saveexec_b32 s15, s0
	s_cbranch_execz .LBB8_1481
; %bb.1480:                             ;   in Loop: Header=BB8_1424 Depth=1
	s_wait_alu 0xfffe
	v_mov_b32_e32 v6, s11
	global_store_b128 v[2:3], v[6:9], off offset:8
.LBB8_1481:                             ;   in Loop: Header=BB8_1424 Depth=1
	s_wait_alu 0xfffe
	s_or_b32 exec_lo, exec_lo, s15
	v_lshlrev_b64_e32 v[30:31], 12, v[30:31]
	v_cmp_gt_u64_e64 vcc_lo, s[4:5], 56
	v_or_b32_e32 v6, 2, v10
	s_lshl_b32 s11, s6, 2
	s_wait_alu 0xfffe
	s_add_co_i32 s11, s11, 28
	s_wait_alu 0xfffd
	v_cndmask_b32_e32 v6, v6, v10, vcc_lo
	v_add_co_u32 v28, vcc_lo, v28, v30
	s_wait_alu 0xfffd
	v_add_co_ci_u32_e32 v29, vcc_lo, v29, v31, vcc_lo
	s_wait_alu 0xfffe
	s_and_b32 s11, s11, 0x1e0
	v_readfirstlane_b32 s16, v28
	s_wait_alu 0xfffe
	v_and_or_b32 v10, 0xffffff1f, v6, s11
	v_readfirstlane_b32 s17, v29
	s_clause 0x3
	global_store_b128 v51, v[10:13], s[16:17]
	global_store_b128 v51, v[14:17], s[16:17] offset:16
	global_store_b128 v51, v[18:21], s[16:17] offset:32
	;; [unrolled: 1-line block ×3, first 2 shown]
	s_and_saveexec_b32 s11, s0
	s_cbranch_execz .LBB8_1489
; %bb.1482:                             ;   in Loop: Header=BB8_1424 Depth=1
	s_clause 0x1
	global_load_b64 v[18:19], v7, s[34:35] offset:32 scope:SCOPE_SYS
	global_load_b64 v[10:11], v7, s[34:35] offset:40
	v_mov_b32_e32 v16, s10
	s_mov_b32 s15, exec_lo
	s_wait_loadcnt 0x0
	v_dual_mov_b32 v17, s1 :: v_dual_and_b32 v6, s1, v11
	v_and_b32_e32 v10, s10, v10
	s_delay_alu instid0(VALU_DEP_2) | instskip(NEXT) | instid1(VALU_DEP_2)
	v_mul_lo_u32 v6, 24, v6
	v_mul_lo_u32 v11, 0, v10
	v_mul_hi_u32 v12, 24, v10
	v_mul_lo_u32 v10, 24, v10
	s_delay_alu instid0(VALU_DEP_3) | instskip(NEXT) | instid1(VALU_DEP_2)
	v_add_nc_u32_e32 v6, v6, v11
	v_add_co_u32 v14, vcc_lo, v26, v10
	s_delay_alu instid0(VALU_DEP_2) | instskip(SKIP_1) | instid1(VALU_DEP_1)
	v_add_nc_u32_e32 v6, v6, v12
	s_wait_alu 0xfffd
	v_add_co_ci_u32_e32 v15, vcc_lo, v27, v6, vcc_lo
	global_store_b64 v[14:15], v[18:19], off
	global_wb scope:SCOPE_SYS
	s_wait_storecnt 0x0
	global_atomic_cmpswap_b64 v[12:13], v7, v[16:19], s[34:35] offset:32 th:TH_ATOMIC_RETURN scope:SCOPE_SYS
	s_wait_loadcnt 0x0
	v_cmpx_ne_u64_e64 v[12:13], v[18:19]
	s_cbranch_execz .LBB8_1485
; %bb.1483:                             ;   in Loop: Header=BB8_1424 Depth=1
	s_mov_b32 s16, 0
.LBB8_1484:                             ;   Parent Loop BB8_1424 Depth=1
                                        ; =>  This Inner Loop Header: Depth=2
	v_dual_mov_b32 v10, s10 :: v_dual_mov_b32 v11, s1
	s_sleep 1
	global_store_b64 v[14:15], v[12:13], off
	global_wb scope:SCOPE_SYS
	s_wait_storecnt 0x0
	global_atomic_cmpswap_b64 v[10:11], v7, v[10:13], s[34:35] offset:32 th:TH_ATOMIC_RETURN scope:SCOPE_SYS
	s_wait_loadcnt 0x0
	v_cmp_eq_u64_e32 vcc_lo, v[10:11], v[12:13]
	v_dual_mov_b32 v13, v11 :: v_dual_mov_b32 v12, v10
	s_wait_alu 0xfffe
	s_or_b32 s16, vcc_lo, s16
	s_wait_alu 0xfffe
	s_and_not1_b32 exec_lo, exec_lo, s16
	s_cbranch_execnz .LBB8_1484
.LBB8_1485:                             ;   in Loop: Header=BB8_1424 Depth=1
	s_wait_alu 0xfffe
	s_or_b32 exec_lo, exec_lo, s15
	global_load_b64 v[10:11], v7, s[34:35] offset:16
	s_mov_b32 s16, exec_lo
	s_mov_b32 s15, exec_lo
	s_wait_alu 0xfffe
	v_mbcnt_lo_u32_b32 v6, s16, 0
	s_delay_alu instid0(VALU_DEP_1)
	v_cmpx_eq_u32_e32 0, v6
	s_cbranch_execz .LBB8_1487
; %bb.1486:                             ;   in Loop: Header=BB8_1424 Depth=1
	s_bcnt1_i32_b32 s16, s16
	s_wait_alu 0xfffe
	v_mov_b32_e32 v6, s16
	global_wb scope:SCOPE_SYS
	s_wait_loadcnt 0x0
	global_atomic_add_u64 v[10:11], v[6:7], off offset:8 scope:SCOPE_SYS
.LBB8_1487:                             ;   in Loop: Header=BB8_1424 Depth=1
	s_or_b32 exec_lo, exec_lo, s15
	s_wait_loadcnt 0x0
	global_load_b64 v[12:13], v[10:11], off offset:16
	s_wait_loadcnt 0x0
	v_cmp_eq_u64_e32 vcc_lo, 0, v[12:13]
	s_cbranch_vccnz .LBB8_1489
; %bb.1488:                             ;   in Loop: Header=BB8_1424 Depth=1
	global_load_b32 v6, v[10:11], off offset:24
	s_wait_loadcnt 0x0
	v_and_b32_e32 v10, 0xffffff, v6
	global_wb scope:SCOPE_SYS
	s_wait_storecnt 0x0
	global_store_b64 v[12:13], v[6:7], off scope:SCOPE_SYS
	v_readfirstlane_b32 m0, v10
	s_sendmsg sendmsg(MSG_INTERRUPT)
.LBB8_1489:                             ;   in Loop: Header=BB8_1424 Depth=1
	s_wait_alu 0xfffe
	s_or_b32 exec_lo, exec_lo, s11
	v_add_co_u32 v10, vcc_lo, v28, v51
	s_wait_alu 0xfffd
	v_add_co_ci_u32_e32 v11, vcc_lo, 0, v29, vcc_lo
	s_branch .LBB8_1493
.LBB8_1490:                             ;   in Loop: Header=BB8_1493 Depth=2
	s_wait_alu 0xfffe
	s_or_b32 exec_lo, exec_lo, s11
	s_delay_alu instid0(VALU_DEP_1) | instskip(NEXT) | instid1(VALU_DEP_1)
	v_readfirstlane_b32 s11, v6
	s_cmp_eq_u32 s11, 0
	s_cbranch_scc1 .LBB8_1492
; %bb.1491:                             ;   in Loop: Header=BB8_1493 Depth=2
	s_sleep 1
	s_cbranch_execnz .LBB8_1493
	s_branch .LBB8_1495
.LBB8_1492:                             ;   in Loop: Header=BB8_1424 Depth=1
	s_branch .LBB8_1495
.LBB8_1493:                             ;   Parent Loop BB8_1424 Depth=1
                                        ; =>  This Inner Loop Header: Depth=2
	v_mov_b32_e32 v6, 1
	s_and_saveexec_b32 s11, s0
	s_cbranch_execz .LBB8_1490
; %bb.1494:                             ;   in Loop: Header=BB8_1493 Depth=2
	global_load_b32 v6, v[2:3], off offset:20 scope:SCOPE_SYS
	s_wait_loadcnt 0x0
	global_inv scope:SCOPE_SYS
	v_and_b32_e32 v6, 1, v6
	s_branch .LBB8_1490
.LBB8_1495:                             ;   in Loop: Header=BB8_1424 Depth=1
	global_load_b128 v[10:13], v[10:11], off
	s_and_saveexec_b32 s11, s0
	s_cbranch_execz .LBB8_1423
; %bb.1496:                             ;   in Loop: Header=BB8_1424 Depth=1
	s_clause 0x2
	global_load_b64 v[2:3], v7, s[34:35] offset:40
	global_load_b64 v[16:17], v7, s[34:35] offset:24 scope:SCOPE_SYS
	global_load_b64 v[14:15], v7, s[34:35]
	s_wait_loadcnt 0x2
	v_add_co_u32 v6, vcc_lo, v2, 1
	s_wait_alu 0xfffd
	v_add_co_ci_u32_e32 v18, vcc_lo, 0, v3, vcc_lo
	s_delay_alu instid0(VALU_DEP_2) | instskip(SKIP_1) | instid1(VALU_DEP_2)
	v_add_co_u32 v12, vcc_lo, v6, s10
	s_wait_alu 0xfffd
	v_add_co_ci_u32_e32 v13, vcc_lo, s1, v18, vcc_lo
	s_delay_alu instid0(VALU_DEP_1) | instskip(SKIP_3) | instid1(VALU_DEP_1)
	v_cmp_eq_u64_e32 vcc_lo, 0, v[12:13]
	s_wait_alu 0xfffd
	v_cndmask_b32_e32 v13, v13, v18, vcc_lo
	v_cndmask_b32_e32 v12, v12, v6, vcc_lo
	v_and_b32_e32 v2, v12, v2
	s_delay_alu instid0(VALU_DEP_1) | instskip(SKIP_3) | instid1(VALU_DEP_1)
	v_mul_lo_u32 v6, 0, v2
	v_mul_hi_u32 v18, 24, v2
	v_mul_lo_u32 v2, 24, v2
	s_wait_loadcnt 0x0
	v_add_co_u32 v2, vcc_lo, v14, v2
	v_dual_mov_b32 v14, v16 :: v_dual_and_b32 v3, v13, v3
	s_delay_alu instid0(VALU_DEP_1) | instskip(NEXT) | instid1(VALU_DEP_1)
	v_mul_lo_u32 v3, 24, v3
	v_add_nc_u32_e32 v3, v3, v6
	s_delay_alu instid0(VALU_DEP_1) | instskip(SKIP_1) | instid1(VALU_DEP_1)
	v_add_nc_u32_e32 v3, v3, v18
	s_wait_alu 0xfffd
	v_add_co_ci_u32_e32 v3, vcc_lo, v15, v3, vcc_lo
	v_mov_b32_e32 v15, v17
	global_store_b64 v[2:3], v[16:17], off
	global_wb scope:SCOPE_SYS
	s_wait_storecnt 0x0
	global_atomic_cmpswap_b64 v[14:15], v7, v[12:15], s[34:35] offset:24 th:TH_ATOMIC_RETURN scope:SCOPE_SYS
	s_wait_loadcnt 0x0
	v_cmp_ne_u64_e32 vcc_lo, v[14:15], v[16:17]
	s_and_b32 exec_lo, exec_lo, vcc_lo
	s_cbranch_execz .LBB8_1423
; %bb.1497:                             ;   in Loop: Header=BB8_1424 Depth=1
	s_mov_b32 s0, 0
.LBB8_1498:                             ;   Parent Loop BB8_1424 Depth=1
                                        ; =>  This Inner Loop Header: Depth=2
	s_sleep 1
	global_store_b64 v[2:3], v[14:15], off
	global_wb scope:SCOPE_SYS
	s_wait_storecnt 0x0
	global_atomic_cmpswap_b64 v[16:17], v7, v[12:15], s[34:35] offset:24 th:TH_ATOMIC_RETURN scope:SCOPE_SYS
	s_wait_loadcnt 0x0
	v_cmp_eq_u64_e32 vcc_lo, v[16:17], v[14:15]
	v_dual_mov_b32 v14, v16 :: v_dual_mov_b32 v15, v17
	s_wait_alu 0xfffe
	s_or_b32 s0, vcc_lo, s0
	s_wait_alu 0xfffe
	s_and_not1_b32 exec_lo, exec_lo, s0
	s_cbranch_execnz .LBB8_1498
	s_branch .LBB8_1423
.LBB8_1499:
	s_mov_b32 s0, 0
	s_branch .LBB8_1501
.LBB8_1500:
	s_mov_b32 s0, -1
.LBB8_1501:
	s_mov_b32 s39, s12
	s_mov_b32 s40, s13
	;; [unrolled: 1-line block ×3, first 2 shown]
	s_wait_alu 0xfffe
	s_and_b32 vcc_lo, exec_lo, s0
	s_wait_alu 0xfffe
	s_cbranch_vccz .LBB8_1529
; %bb.1502:
	v_readfirstlane_b32 s0, v52
	s_wait_loadcnt 0x0
	v_mov_b32_e32 v10, 0
	v_mov_b32_e32 v11, 0
	s_wait_alu 0xf1ff
	v_cmp_eq_u32_e64 s0, s0, v52
	s_delay_alu instid0(VALU_DEP_1)
	s_and_saveexec_b32 s1, s0
	s_cbranch_execz .LBB8_1508
; %bb.1503:
	v_mov_b32_e32 v2, 0
	s_mov_b32 s2, exec_lo
	global_load_b64 v[8:9], v2, s[34:35] offset:24 scope:SCOPE_SYS
	s_wait_loadcnt 0x0
	global_inv scope:SCOPE_SYS
	s_clause 0x1
	global_load_b64 v[6:7], v2, s[34:35] offset:40
	global_load_b64 v[10:11], v2, s[34:35]
	s_wait_loadcnt 0x1
	v_and_b32_e32 v3, v7, v9
	v_and_b32_e32 v6, v6, v8
	s_delay_alu instid0(VALU_DEP_2) | instskip(NEXT) | instid1(VALU_DEP_2)
	v_mul_lo_u32 v3, 24, v3
	v_mul_lo_u32 v7, 0, v6
	v_mul_hi_u32 v12, 24, v6
	v_mul_lo_u32 v6, 24, v6
	s_delay_alu instid0(VALU_DEP_3) | instskip(SKIP_1) | instid1(VALU_DEP_2)
	v_add_nc_u32_e32 v3, v3, v7
	s_wait_loadcnt 0x0
	v_add_co_u32 v6, vcc_lo, v10, v6
	s_delay_alu instid0(VALU_DEP_2) | instskip(SKIP_1) | instid1(VALU_DEP_1)
	v_add_nc_u32_e32 v3, v3, v12
	s_wait_alu 0xfffd
	v_add_co_ci_u32_e32 v7, vcc_lo, v11, v3, vcc_lo
	global_load_b64 v[6:7], v[6:7], off scope:SCOPE_SYS
	s_wait_loadcnt 0x0
	global_atomic_cmpswap_b64 v[10:11], v2, v[6:9], s[34:35] offset:24 th:TH_ATOMIC_RETURN scope:SCOPE_SYS
	s_wait_loadcnt 0x0
	global_inv scope:SCOPE_SYS
	v_cmpx_ne_u64_e64 v[10:11], v[8:9]
	s_cbranch_execz .LBB8_1507
; %bb.1504:
	s_mov_b32 s3, 0
.LBB8_1505:                             ; =>This Inner Loop Header: Depth=1
	s_sleep 1
	s_clause 0x1
	global_load_b64 v[6:7], v2, s[34:35] offset:40
	global_load_b64 v[12:13], v2, s[34:35]
	v_dual_mov_b32 v8, v10 :: v_dual_mov_b32 v9, v11
	s_wait_loadcnt 0x1
	s_delay_alu instid0(VALU_DEP_1) | instskip(NEXT) | instid1(VALU_DEP_2)
	v_and_b32_e32 v3, v6, v8
	v_and_b32_e32 v6, v7, v9
	s_wait_loadcnt 0x0
	s_delay_alu instid0(VALU_DEP_2) | instskip(NEXT) | instid1(VALU_DEP_1)
	v_mad_co_u64_u32 v[10:11], null, v3, 24, v[12:13]
	v_mov_b32_e32 v3, v11
	s_delay_alu instid0(VALU_DEP_1) | instskip(NEXT) | instid1(VALU_DEP_1)
	v_mad_co_u64_u32 v[6:7], null, v6, 24, v[3:4]
	v_mov_b32_e32 v11, v6
	global_load_b64 v[6:7], v[10:11], off scope:SCOPE_SYS
	s_wait_loadcnt 0x0
	global_atomic_cmpswap_b64 v[10:11], v2, v[6:9], s[34:35] offset:24 th:TH_ATOMIC_RETURN scope:SCOPE_SYS
	s_wait_loadcnt 0x0
	global_inv scope:SCOPE_SYS
	v_cmp_eq_u64_e32 vcc_lo, v[10:11], v[8:9]
	s_wait_alu 0xfffe
	s_or_b32 s3, vcc_lo, s3
	s_wait_alu 0xfffe
	s_and_not1_b32 exec_lo, exec_lo, s3
	s_cbranch_execnz .LBB8_1505
; %bb.1506:
	s_or_b32 exec_lo, exec_lo, s3
.LBB8_1507:
	s_wait_alu 0xfffe
	s_or_b32 exec_lo, exec_lo, s2
.LBB8_1508:
	s_wait_alu 0xfffe
	s_or_b32 exec_lo, exec_lo, s1
	v_readfirstlane_b32 s1, v11
	v_mov_b32_e32 v2, 0
	v_readfirstlane_b32 s2, v10
	s_mov_b32 s3, exec_lo
	s_clause 0x1
	global_load_b64 v[12:13], v2, s[34:35] offset:40
	global_load_b128 v[6:9], v2, s[34:35]
	s_wait_loadcnt 0x1
	s_wait_alu 0xf1ff
	v_and_b32_e32 v13, s1, v13
	v_and_b32_e32 v12, s2, v12
	s_delay_alu instid0(VALU_DEP_2) | instskip(NEXT) | instid1(VALU_DEP_2)
	v_mul_lo_u32 v3, 24, v13
	v_mul_lo_u32 v10, 0, v12
	v_mul_hi_u32 v11, 24, v12
	v_mul_lo_u32 v14, 24, v12
	s_delay_alu instid0(VALU_DEP_3) | instskip(SKIP_1) | instid1(VALU_DEP_2)
	v_add_nc_u32_e32 v3, v3, v10
	s_wait_loadcnt 0x0
	v_add_co_u32 v10, vcc_lo, v6, v14
	s_delay_alu instid0(VALU_DEP_2) | instskip(SKIP_1) | instid1(VALU_DEP_1)
	v_add_nc_u32_e32 v3, v3, v11
	s_wait_alu 0xfffd
	v_add_co_ci_u32_e32 v11, vcc_lo, v7, v3, vcc_lo
	s_and_saveexec_b32 s4, s0
	s_cbranch_execz .LBB8_1510
; %bb.1509:
	s_wait_alu 0xfffe
	v_dual_mov_b32 v14, s3 :: v_dual_mov_b32 v15, v2
	v_dual_mov_b32 v16, 2 :: v_dual_mov_b32 v17, 1
	global_store_b128 v[10:11], v[14:17], off offset:8
.LBB8_1510:
	s_wait_alu 0xfffe
	s_or_b32 exec_lo, exec_lo, s4
	v_lshlrev_b64_e32 v[12:13], 12, v[12:13]
	s_mov_b32 s4, 0
	v_and_or_b32 v0, 0xffffff1d, v0, 34
	s_wait_alu 0xfffe
	s_mov_b32 s7, s4
	s_mov_b32 s5, s4
	;; [unrolled: 1-line block ×3, first 2 shown]
	v_add_co_u32 v8, vcc_lo, v8, v12
	s_wait_alu 0xfffd
	v_add_co_ci_u32_e32 v9, vcc_lo, v9, v13, vcc_lo
	v_mov_b32_e32 v3, v2
	s_delay_alu instid0(VALU_DEP_3)
	v_readfirstlane_b32 s10, v8
	s_wait_alu 0xfffe
	v_dual_mov_b32 v15, s7 :: v_dual_mov_b32 v12, s4
	v_readfirstlane_b32 s11, v9
	v_dual_mov_b32 v14, s6 :: v_dual_mov_b32 v13, s5
	s_clause 0x3
	global_store_b128 v51, v[0:3], s[10:11]
	global_store_b128 v51, v[12:15], s[10:11] offset:16
	global_store_b128 v51, v[12:15], s[10:11] offset:32
	;; [unrolled: 1-line block ×3, first 2 shown]
	s_and_saveexec_b32 s3, s0
	s_cbranch_execz .LBB8_1518
; %bb.1511:
	v_mov_b32_e32 v8, 0
	s_mov_b32 s4, exec_lo
	s_clause 0x1
	global_load_b64 v[14:15], v8, s[34:35] offset:32 scope:SCOPE_SYS
	global_load_b64 v[0:1], v8, s[34:35] offset:40
	v_dual_mov_b32 v13, s1 :: v_dual_mov_b32 v12, s2
	s_wait_loadcnt 0x0
	v_and_b32_e32 v1, s1, v1
	v_and_b32_e32 v0, s2, v0
	s_delay_alu instid0(VALU_DEP_2) | instskip(NEXT) | instid1(VALU_DEP_2)
	v_mul_lo_u32 v1, 24, v1
	v_mul_lo_u32 v2, 0, v0
	v_mul_hi_u32 v3, 24, v0
	v_mul_lo_u32 v0, 24, v0
	s_delay_alu instid0(VALU_DEP_3) | instskip(NEXT) | instid1(VALU_DEP_2)
	v_add_nc_u32_e32 v1, v1, v2
	v_add_co_u32 v6, vcc_lo, v6, v0
	s_delay_alu instid0(VALU_DEP_2) | instskip(SKIP_1) | instid1(VALU_DEP_1)
	v_add_nc_u32_e32 v1, v1, v3
	s_wait_alu 0xfffd
	v_add_co_ci_u32_e32 v7, vcc_lo, v7, v1, vcc_lo
	global_store_b64 v[6:7], v[14:15], off
	global_wb scope:SCOPE_SYS
	s_wait_storecnt 0x0
	global_atomic_cmpswap_b64 v[2:3], v8, v[12:15], s[34:35] offset:32 th:TH_ATOMIC_RETURN scope:SCOPE_SYS
	s_wait_loadcnt 0x0
	v_cmpx_ne_u64_e64 v[2:3], v[14:15]
	s_cbranch_execz .LBB8_1514
; %bb.1512:
	s_mov_b32 s5, 0
.LBB8_1513:                             ; =>This Inner Loop Header: Depth=1
	v_dual_mov_b32 v0, s2 :: v_dual_mov_b32 v1, s1
	s_sleep 1
	global_store_b64 v[6:7], v[2:3], off
	global_wb scope:SCOPE_SYS
	s_wait_storecnt 0x0
	global_atomic_cmpswap_b64 v[0:1], v8, v[0:3], s[34:35] offset:32 th:TH_ATOMIC_RETURN scope:SCOPE_SYS
	s_wait_loadcnt 0x0
	v_cmp_eq_u64_e32 vcc_lo, v[0:1], v[2:3]
	v_dual_mov_b32 v3, v1 :: v_dual_mov_b32 v2, v0
	s_wait_alu 0xfffe
	s_or_b32 s5, vcc_lo, s5
	s_wait_alu 0xfffe
	s_and_not1_b32 exec_lo, exec_lo, s5
	s_cbranch_execnz .LBB8_1513
.LBB8_1514:
	s_wait_alu 0xfffe
	s_or_b32 exec_lo, exec_lo, s4
	v_mov_b32_e32 v3, 0
	s_mov_b32 s5, exec_lo
	s_mov_b32 s4, exec_lo
	s_wait_alu 0xfffe
	v_mbcnt_lo_u32_b32 v2, s5, 0
	global_load_b64 v[0:1], v3, s[34:35] offset:16
	v_cmpx_eq_u32_e32 0, v2
	s_cbranch_execz .LBB8_1516
; %bb.1515:
	s_bcnt1_i32_b32 s5, s5
	s_wait_alu 0xfffe
	v_mov_b32_e32 v2, s5
	global_wb scope:SCOPE_SYS
	s_wait_loadcnt 0x0
	global_atomic_add_u64 v[0:1], v[2:3], off offset:8 scope:SCOPE_SYS
.LBB8_1516:
	s_or_b32 exec_lo, exec_lo, s4
	s_wait_loadcnt 0x0
	global_load_b64 v[2:3], v[0:1], off offset:16
	s_wait_loadcnt 0x0
	v_cmp_eq_u64_e32 vcc_lo, 0, v[2:3]
	s_cbranch_vccnz .LBB8_1518
; %bb.1517:
	global_load_b32 v0, v[0:1], off offset:24
	s_wait_loadcnt 0x0
	v_dual_mov_b32 v1, 0 :: v_dual_and_b32 v6, 0xffffff, v0
	global_wb scope:SCOPE_SYS
	s_wait_storecnt 0x0
	global_store_b64 v[2:3], v[0:1], off scope:SCOPE_SYS
	v_readfirstlane_b32 m0, v6
	s_sendmsg sendmsg(MSG_INTERRUPT)
.LBB8_1518:
	s_wait_alu 0xfffe
	s_or_b32 exec_lo, exec_lo, s3
	s_branch .LBB8_1522
.LBB8_1519:                             ;   in Loop: Header=BB8_1522 Depth=1
	s_wait_alu 0xfffe
	s_or_b32 exec_lo, exec_lo, s3
	s_delay_alu instid0(VALU_DEP_1) | instskip(NEXT) | instid1(VALU_DEP_1)
	v_readfirstlane_b32 s3, v0
	s_cmp_eq_u32 s3, 0
	s_cbranch_scc1 .LBB8_1521
; %bb.1520:                             ;   in Loop: Header=BB8_1522 Depth=1
	s_sleep 1
	s_cbranch_execnz .LBB8_1522
	s_branch .LBB8_1524
.LBB8_1521:
	s_branch .LBB8_1524
.LBB8_1522:                             ; =>This Inner Loop Header: Depth=1
	v_mov_b32_e32 v0, 1
	s_and_saveexec_b32 s3, s0
	s_cbranch_execz .LBB8_1519
; %bb.1523:                             ;   in Loop: Header=BB8_1522 Depth=1
	global_load_b32 v0, v[10:11], off offset:20 scope:SCOPE_SYS
	s_wait_loadcnt 0x0
	global_inv scope:SCOPE_SYS
	v_and_b32_e32 v0, 1, v0
	s_branch .LBB8_1519
.LBB8_1524:
	s_and_saveexec_b32 s3, s0
	s_cbranch_execz .LBB8_1528
; %bb.1525:
	v_mov_b32_e32 v8, 0
	s_clause 0x2
	global_load_b64 v[2:3], v8, s[34:35] offset:40
	global_load_b64 v[9:10], v8, s[34:35] offset:24 scope:SCOPE_SYS
	global_load_b64 v[6:7], v8, s[34:35]
	s_wait_loadcnt 0x2
	v_add_co_u32 v11, vcc_lo, v2, 1
	s_wait_alu 0xfffd
	v_add_co_ci_u32_e32 v12, vcc_lo, 0, v3, vcc_lo
	s_delay_alu instid0(VALU_DEP_2) | instskip(SKIP_1) | instid1(VALU_DEP_2)
	v_add_co_u32 v0, vcc_lo, v11, s2
	s_wait_alu 0xfffd
	v_add_co_ci_u32_e32 v1, vcc_lo, s1, v12, vcc_lo
	s_delay_alu instid0(VALU_DEP_1) | instskip(SKIP_2) | instid1(VALU_DEP_1)
	v_cmp_eq_u64_e32 vcc_lo, 0, v[0:1]
	s_wait_alu 0xfffd
	v_dual_cndmask_b32 v1, v1, v12 :: v_dual_cndmask_b32 v0, v0, v11
	v_and_b32_e32 v3, v1, v3
	s_delay_alu instid0(VALU_DEP_2) | instskip(NEXT) | instid1(VALU_DEP_2)
	v_and_b32_e32 v2, v0, v2
	v_mul_lo_u32 v3, 24, v3
	s_delay_alu instid0(VALU_DEP_2) | instskip(SKIP_2) | instid1(VALU_DEP_3)
	v_mul_lo_u32 v11, 0, v2
	v_mul_hi_u32 v12, 24, v2
	v_mul_lo_u32 v2, 24, v2
	v_add_nc_u32_e32 v3, v3, v11
	s_wait_loadcnt 0x0
	s_delay_alu instid0(VALU_DEP_2) | instskip(NEXT) | instid1(VALU_DEP_2)
	v_add_co_u32 v6, vcc_lo, v6, v2
	v_dual_mov_b32 v2, v9 :: v_dual_add_nc_u32 v3, v3, v12
	s_wait_alu 0xfffd
	s_delay_alu instid0(VALU_DEP_1)
	v_add_co_ci_u32_e32 v7, vcc_lo, v7, v3, vcc_lo
	v_mov_b32_e32 v3, v10
	global_store_b64 v[6:7], v[9:10], off
	global_wb scope:SCOPE_SYS
	s_wait_storecnt 0x0
	global_atomic_cmpswap_b64 v[2:3], v8, v[0:3], s[34:35] offset:24 th:TH_ATOMIC_RETURN scope:SCOPE_SYS
	s_wait_loadcnt 0x0
	v_cmp_ne_u64_e32 vcc_lo, v[2:3], v[9:10]
	s_and_b32 exec_lo, exec_lo, vcc_lo
	s_cbranch_execz .LBB8_1528
; %bb.1526:
	s_mov_b32 s0, 0
.LBB8_1527:                             ; =>This Inner Loop Header: Depth=1
	s_sleep 1
	global_store_b64 v[6:7], v[2:3], off
	global_wb scope:SCOPE_SYS
	s_wait_storecnt 0x0
	global_atomic_cmpswap_b64 v[9:10], v8, v[0:3], s[34:35] offset:24 th:TH_ATOMIC_RETURN scope:SCOPE_SYS
	s_wait_loadcnt 0x0
	v_cmp_eq_u64_e32 vcc_lo, v[9:10], v[2:3]
	v_dual_mov_b32 v2, v9 :: v_dual_mov_b32 v3, v10
	s_wait_alu 0xfffe
	s_or_b32 s0, vcc_lo, s0
	s_wait_alu 0xfffe
	s_and_not1_b32 exec_lo, exec_lo, s0
	s_cbranch_execnz .LBB8_1527
.LBB8_1528:
	s_wait_alu 0xfffe
	s_or_b32 exec_lo, exec_lo, s3
.LBB8_1529:
	s_wait_loadcnt 0x0
	v_dual_mov_b32 v0, v4 :: v_dual_mov_b32 v1, v5
	s_getpc_b64 s[42:43]
	s_wait_alu 0xfffe
	s_sext_i32_i16 s43, s43
	s_add_co_u32 s42, s42, _ZNK8migraphx13basic_printerIZNS_4coutEvEUlT_E_ElsEPKc@rel32@lo+12
	s_wait_alu 0xfffe
	s_add_co_ci_u32 s43, s43, _ZNK8migraphx13basic_printerIZNS_4coutEvEUlT_E_ElsEPKc@rel32@hi+24
	s_mov_b64 s[28:29], s[8:9]
	s_wait_alu 0xfffc
	s_swappc_b64 s[30:31], s[42:43]
	s_getpc_b64 s[0:1]
	s_wait_alu 0xfffe
	s_sext_i32_i16 s1, s1
	s_add_co_u32 s0, s0, .str.5@rel32@lo+12
	s_wait_alu 0xfffe
	s_add_co_ci_u32 s1, s1, .str.5@rel32@hi+24
	s_wait_alu 0xfffe
	v_dual_mov_b32 v0, s0 :: v_dual_mov_b32 v1, s1
	s_mov_b64 s[8:9], s[28:29]
	s_wait_alu 0xfffe
	s_swappc_b64 s[30:31], s[42:43]
	v_dual_mov_b32 v0, v37 :: v_dual_mov_b32 v1, v38
	s_mov_b64 s[8:9], s[28:29]
	s_getpc_b64 s[0:1]
	s_wait_alu 0xfffe
	s_sext_i32_i16 s1, s1
	s_add_co_u32 s0, s0, _ZN8migraphx4testlsIKNS_13basic_printerIZNS_4coutEvEUlT_E_EEEERS3_S7_RKNS0_10expressionINS0_14lhs_expressionIRiNS0_3nopEEEiNS0_5equalEEE@rel32@lo+12
	s_wait_alu 0xfffe
	s_add_co_ci_u32 s1, s1, _ZN8migraphx4testlsIKNS_13basic_printerIZNS_4coutEvEUlT_E_EEEERS3_S7_RKNS0_10expressionINS0_14lhs_expressionIRiNS0_3nopEEEiNS0_5equalEEE@rel32@hi+24
	s_wait_alu 0xfffe
	s_swappc_b64 s[30:31], s[0:1]
	s_getpc_b64 s[0:1]
	s_wait_alu 0xfffe
	s_sext_i32_i16 s1, s1
	s_add_co_u32 s0, s0, .str.6@rel32@lo+12
	s_wait_alu 0xfffe
	s_add_co_ci_u32 s1, s1, .str.6@rel32@hi+24
	s_wait_alu 0xfffe
	v_dual_mov_b32 v0, s0 :: v_dual_mov_b32 v1, s1
	s_mov_b64 s[8:9], s[28:29]
	s_mov_b64 s[18:19], s[28:29]
	s_wait_alu 0xfffe
	s_swappc_b64 s[30:31], s[42:43]
	v_readfirstlane_b32 s0, v52
	v_mov_b32_e32 v6, 0
	v_mov_b32_e32 v7, 0
	s_wait_alu 0xf1ff
	s_delay_alu instid0(VALU_DEP_3) | instskip(NEXT) | instid1(VALU_DEP_1)
	v_cmp_eq_u32_e64 s0, s0, v52
	s_and_saveexec_b32 s1, s0
	s_mov_b32 s14, s41
	s_mov_b32 s13, s40
	;; [unrolled: 1-line block ×3, first 2 shown]
	s_cbranch_execz .LBB8_1535
; %bb.1530:
	v_mov_b32_e32 v0, 0
	s_mov_b32 s2, exec_lo
	global_load_b64 v[3:4], v0, s[34:35] offset:24 scope:SCOPE_SYS
	s_wait_loadcnt 0x0
	global_inv scope:SCOPE_SYS
	s_clause 0x1
	global_load_b64 v[1:2], v0, s[34:35] offset:40
	global_load_b64 v[5:6], v0, s[34:35]
	s_wait_loadcnt 0x1
	v_and_b32_e32 v1, v1, v3
	v_and_b32_e32 v2, v2, v4
	s_delay_alu instid0(VALU_DEP_2) | instskip(NEXT) | instid1(VALU_DEP_2)
	v_mul_lo_u32 v7, 0, v1
	v_mul_lo_u32 v2, 24, v2
	v_mul_hi_u32 v8, 24, v1
	v_mul_lo_u32 v1, 24, v1
	s_delay_alu instid0(VALU_DEP_3) | instskip(SKIP_1) | instid1(VALU_DEP_2)
	v_add_nc_u32_e32 v2, v2, v7
	s_wait_loadcnt 0x0
	v_add_co_u32 v1, vcc_lo, v5, v1
	s_delay_alu instid0(VALU_DEP_2) | instskip(SKIP_1) | instid1(VALU_DEP_1)
	v_add_nc_u32_e32 v2, v2, v8
	s_wait_alu 0xfffd
	v_add_co_ci_u32_e32 v2, vcc_lo, v6, v2, vcc_lo
	global_load_b64 v[1:2], v[1:2], off scope:SCOPE_SYS
	s_wait_loadcnt 0x0
	global_atomic_cmpswap_b64 v[6:7], v0, v[1:4], s[34:35] offset:24 th:TH_ATOMIC_RETURN scope:SCOPE_SYS
	s_wait_loadcnt 0x0
	global_inv scope:SCOPE_SYS
	v_cmpx_ne_u64_e64 v[6:7], v[3:4]
	s_cbranch_execz .LBB8_1534
; %bb.1531:
	s_mov_b32 s3, 0
.LBB8_1532:                             ; =>This Inner Loop Header: Depth=1
	s_sleep 1
	s_clause 0x1
	global_load_b64 v[1:2], v0, s[34:35] offset:40
	global_load_b64 v[8:9], v0, s[34:35]
	v_dual_mov_b32 v3, v6 :: v_dual_mov_b32 v4, v7
	s_wait_loadcnt 0x1
	s_delay_alu instid0(VALU_DEP_1) | instskip(NEXT) | instid1(VALU_DEP_2)
	v_and_b32_e32 v1, v1, v3
	v_and_b32_e32 v2, v2, v4
	s_wait_loadcnt 0x0
	s_delay_alu instid0(VALU_DEP_2) | instskip(NEXT) | instid1(VALU_DEP_1)
	v_mad_co_u64_u32 v[5:6], null, v1, 24, v[8:9]
	v_mov_b32_e32 v1, v6
	s_delay_alu instid0(VALU_DEP_1) | instskip(NEXT) | instid1(VALU_DEP_1)
	v_mad_co_u64_u32 v[1:2], null, v2, 24, v[1:2]
	v_mov_b32_e32 v6, v1
	global_load_b64 v[1:2], v[5:6], off scope:SCOPE_SYS
	s_wait_loadcnt 0x0
	global_atomic_cmpswap_b64 v[6:7], v0, v[1:4], s[34:35] offset:24 th:TH_ATOMIC_RETURN scope:SCOPE_SYS
	s_wait_loadcnt 0x0
	global_inv scope:SCOPE_SYS
	v_cmp_eq_u64_e32 vcc_lo, v[6:7], v[3:4]
	s_wait_alu 0xfffe
	s_or_b32 s3, vcc_lo, s3
	s_wait_alu 0xfffe
	s_and_not1_b32 exec_lo, exec_lo, s3
	s_cbranch_execnz .LBB8_1532
; %bb.1533:
	s_or_b32 exec_lo, exec_lo, s3
.LBB8_1534:
	s_wait_alu 0xfffe
	s_or_b32 exec_lo, exec_lo, s2
.LBB8_1535:
	s_wait_alu 0xfffe
	s_or_b32 exec_lo, exec_lo, s1
	v_readfirstlane_b32 s2, v6
	v_mov_b32_e32 v5, 0
	v_readfirstlane_b32 s1, v7
	s_mov_b32 s3, exec_lo
	s_clause 0x1
	global_load_b64 v[8:9], v5, s[34:35] offset:40
	global_load_b128 v[0:3], v5, s[34:35]
	s_wait_loadcnt 0x1
	s_wait_alu 0xf1ff
	v_and_b32_e32 v10, s2, v8
	v_and_b32_e32 v11, s1, v9
	s_delay_alu instid0(VALU_DEP_2) | instskip(NEXT) | instid1(VALU_DEP_2)
	v_mul_lo_u32 v6, 0, v10
	v_mul_lo_u32 v4, 24, v11
	v_mul_hi_u32 v7, 24, v10
	v_mul_lo_u32 v8, 24, v10
	s_delay_alu instid0(VALU_DEP_3) | instskip(SKIP_1) | instid1(VALU_DEP_2)
	v_add_nc_u32_e32 v4, v4, v6
	s_wait_loadcnt 0x0
	v_add_co_u32 v8, vcc_lo, v0, v8
	s_delay_alu instid0(VALU_DEP_2) | instskip(SKIP_1) | instid1(VALU_DEP_1)
	v_add_nc_u32_e32 v4, v4, v7
	s_wait_alu 0xfffd
	v_add_co_ci_u32_e32 v9, vcc_lo, v1, v4, vcc_lo
	s_and_saveexec_b32 s4, s0
	s_cbranch_execz .LBB8_1537
; %bb.1536:
	s_wait_alu 0xfffe
	v_dual_mov_b32 v4, s3 :: v_dual_mov_b32 v7, 1
	v_mov_b32_e32 v6, 2
	global_store_b128 v[8:9], v[4:7], off offset:8
.LBB8_1537:
	s_wait_alu 0xfffe
	s_or_b32 exec_lo, exec_lo, s4
	v_lshlrev_b64_e32 v[10:11], 12, v[10:11]
	s_mov_b32 s4, 0
	v_dual_mov_b32 v4, 33 :: v_dual_mov_b32 v7, v5
	s_wait_alu 0xfffe
	s_mov_b32 s7, s4
	s_mov_b32 s5, s4
	v_add_co_u32 v2, vcc_lo, v2, v10
	s_wait_alu 0xfffd
	v_add_co_ci_u32_e32 v3, vcc_lo, v3, v11, vcc_lo
	s_mov_b32 s6, s4
	s_delay_alu instid0(VALU_DEP_2)
	v_add_co_u32 v10, vcc_lo, v2, v51
	s_wait_alu 0xfffe
	v_dual_mov_b32 v6, v5 :: v_dual_mov_b32 v15, s7
	v_readfirstlane_b32 s8, v2
	v_readfirstlane_b32 s9, v3
	s_wait_alu 0xfffd
	v_add_co_ci_u32_e32 v11, vcc_lo, 0, v3, vcc_lo
	v_dual_mov_b32 v14, s6 :: v_dual_mov_b32 v13, s5
	v_mov_b32_e32 v12, s4
	s_clause 0x3
	global_store_b128 v51, v[4:7], s[8:9]
	global_store_b128 v51, v[12:15], s[8:9] offset:16
	global_store_b128 v51, v[12:15], s[8:9] offset:32
	;; [unrolled: 1-line block ×3, first 2 shown]
	s_and_saveexec_b32 s3, s0
	s_mov_b64 s[8:9], s[18:19]
	s_cbranch_execz .LBB8_1545
; %bb.1538:
	v_mov_b32_e32 v6, 0
	s_mov_b32 s4, exec_lo
	s_clause 0x1
	global_load_b64 v[14:15], v6, s[34:35] offset:32 scope:SCOPE_SYS
	global_load_b64 v[2:3], v6, s[34:35] offset:40
	v_dual_mov_b32 v13, s1 :: v_dual_mov_b32 v12, s2
	s_wait_loadcnt 0x0
	v_and_b32_e32 v3, s1, v3
	v_and_b32_e32 v2, s2, v2
	s_delay_alu instid0(VALU_DEP_2) | instskip(NEXT) | instid1(VALU_DEP_2)
	v_mul_lo_u32 v3, 24, v3
	v_mul_lo_u32 v4, 0, v2
	v_mul_hi_u32 v5, 24, v2
	v_mul_lo_u32 v2, 24, v2
	s_delay_alu instid0(VALU_DEP_3) | instskip(NEXT) | instid1(VALU_DEP_2)
	v_add_nc_u32_e32 v3, v3, v4
	v_add_co_u32 v4, vcc_lo, v0, v2
	s_delay_alu instid0(VALU_DEP_2) | instskip(SKIP_1) | instid1(VALU_DEP_1)
	v_add_nc_u32_e32 v3, v3, v5
	s_wait_alu 0xfffd
	v_add_co_ci_u32_e32 v5, vcc_lo, v1, v3, vcc_lo
	global_store_b64 v[4:5], v[14:15], off
	global_wb scope:SCOPE_SYS
	s_wait_storecnt 0x0
	global_atomic_cmpswap_b64 v[2:3], v6, v[12:15], s[34:35] offset:32 th:TH_ATOMIC_RETURN scope:SCOPE_SYS
	s_wait_loadcnt 0x0
	v_cmpx_ne_u64_e64 v[2:3], v[14:15]
	s_cbranch_execz .LBB8_1541
; %bb.1539:
	s_mov_b32 s5, 0
.LBB8_1540:                             ; =>This Inner Loop Header: Depth=1
	v_dual_mov_b32 v0, s2 :: v_dual_mov_b32 v1, s1
	s_sleep 1
	global_store_b64 v[4:5], v[2:3], off
	global_wb scope:SCOPE_SYS
	s_wait_storecnt 0x0
	global_atomic_cmpswap_b64 v[0:1], v6, v[0:3], s[34:35] offset:32 th:TH_ATOMIC_RETURN scope:SCOPE_SYS
	s_wait_loadcnt 0x0
	v_cmp_eq_u64_e32 vcc_lo, v[0:1], v[2:3]
	v_dual_mov_b32 v3, v1 :: v_dual_mov_b32 v2, v0
	s_wait_alu 0xfffe
	s_or_b32 s5, vcc_lo, s5
	s_wait_alu 0xfffe
	s_and_not1_b32 exec_lo, exec_lo, s5
	s_cbranch_execnz .LBB8_1540
.LBB8_1541:
	s_wait_alu 0xfffe
	s_or_b32 exec_lo, exec_lo, s4
	v_mov_b32_e32 v3, 0
	s_mov_b32 s5, exec_lo
	s_mov_b32 s4, exec_lo
	s_wait_alu 0xfffe
	v_mbcnt_lo_u32_b32 v2, s5, 0
	global_load_b64 v[0:1], v3, s[34:35] offset:16
	v_cmpx_eq_u32_e32 0, v2
	s_cbranch_execz .LBB8_1543
; %bb.1542:
	s_bcnt1_i32_b32 s5, s5
	s_wait_alu 0xfffe
	v_mov_b32_e32 v2, s5
	global_wb scope:SCOPE_SYS
	s_wait_loadcnt 0x0
	global_atomic_add_u64 v[0:1], v[2:3], off offset:8 scope:SCOPE_SYS
.LBB8_1543:
	s_or_b32 exec_lo, exec_lo, s4
	s_wait_loadcnt 0x0
	global_load_b64 v[2:3], v[0:1], off offset:16
	s_wait_loadcnt 0x0
	v_cmp_eq_u64_e32 vcc_lo, 0, v[2:3]
	s_cbranch_vccnz .LBB8_1545
; %bb.1544:
	global_load_b32 v0, v[0:1], off offset:24
	s_wait_loadcnt 0x0
	v_dual_mov_b32 v1, 0 :: v_dual_and_b32 v4, 0xffffff, v0
	global_wb scope:SCOPE_SYS
	s_wait_storecnt 0x0
	global_store_b64 v[2:3], v[0:1], off scope:SCOPE_SYS
	v_readfirstlane_b32 m0, v4
	s_sendmsg sendmsg(MSG_INTERRUPT)
.LBB8_1545:
	s_wait_alu 0xfffe
	s_or_b32 exec_lo, exec_lo, s3
	s_branch .LBB8_1549
.LBB8_1546:                             ;   in Loop: Header=BB8_1549 Depth=1
	s_wait_alu 0xfffe
	s_or_b32 exec_lo, exec_lo, s3
	s_delay_alu instid0(VALU_DEP_1) | instskip(NEXT) | instid1(VALU_DEP_1)
	v_readfirstlane_b32 s3, v0
	s_cmp_eq_u32 s3, 0
	s_cbranch_scc1 .LBB8_1548
; %bb.1547:                             ;   in Loop: Header=BB8_1549 Depth=1
	s_sleep 1
	s_cbranch_execnz .LBB8_1549
	s_branch .LBB8_1551
.LBB8_1548:
	s_branch .LBB8_1551
.LBB8_1549:                             ; =>This Inner Loop Header: Depth=1
	v_mov_b32_e32 v0, 1
	s_and_saveexec_b32 s3, s0
	s_cbranch_execz .LBB8_1546
; %bb.1550:                             ;   in Loop: Header=BB8_1549 Depth=1
	global_load_b32 v0, v[8:9], off offset:20 scope:SCOPE_SYS
	s_wait_loadcnt 0x0
	global_inv scope:SCOPE_SYS
	v_and_b32_e32 v0, 1, v0
	s_branch .LBB8_1546
.LBB8_1551:
	global_load_b64 v[0:1], v[10:11], off
	s_and_saveexec_b32 s3, s0
	s_cbranch_execz .LBB8_1555
; %bb.1552:
	v_mov_b32_e32 v8, 0
	s_clause 0x2
	global_load_b64 v[4:5], v8, s[34:35] offset:40
	global_load_b64 v[9:10], v8, s[34:35] offset:24 scope:SCOPE_SYS
	global_load_b64 v[6:7], v8, s[34:35]
	s_wait_loadcnt 0x2
	v_add_co_u32 v11, vcc_lo, v4, 1
	s_wait_alu 0xfffd
	v_add_co_ci_u32_e32 v12, vcc_lo, 0, v5, vcc_lo
	s_delay_alu instid0(VALU_DEP_2) | instskip(SKIP_1) | instid1(VALU_DEP_2)
	v_add_co_u32 v2, vcc_lo, v11, s2
	s_wait_alu 0xfffd
	v_add_co_ci_u32_e32 v3, vcc_lo, s1, v12, vcc_lo
	s_delay_alu instid0(VALU_DEP_1) | instskip(SKIP_2) | instid1(VALU_DEP_1)
	v_cmp_eq_u64_e32 vcc_lo, 0, v[2:3]
	s_wait_alu 0xfffd
	v_dual_cndmask_b32 v3, v3, v12 :: v_dual_cndmask_b32 v2, v2, v11
	v_and_b32_e32 v5, v3, v5
	s_delay_alu instid0(VALU_DEP_2) | instskip(NEXT) | instid1(VALU_DEP_2)
	v_and_b32_e32 v4, v2, v4
	v_mul_lo_u32 v5, 24, v5
	s_delay_alu instid0(VALU_DEP_2) | instskip(SKIP_2) | instid1(VALU_DEP_3)
	v_mul_lo_u32 v11, 0, v4
	v_mul_hi_u32 v12, 24, v4
	v_mul_lo_u32 v4, 24, v4
	v_add_nc_u32_e32 v5, v5, v11
	s_wait_loadcnt 0x0
	s_delay_alu instid0(VALU_DEP_2) | instskip(SKIP_1) | instid1(VALU_DEP_3)
	v_add_co_u32 v6, vcc_lo, v6, v4
	v_mov_b32_e32 v4, v9
	v_add_nc_u32_e32 v5, v5, v12
	s_wait_alu 0xfffd
	s_delay_alu instid0(VALU_DEP_1)
	v_add_co_ci_u32_e32 v7, vcc_lo, v7, v5, vcc_lo
	v_mov_b32_e32 v5, v10
	global_store_b64 v[6:7], v[9:10], off
	global_wb scope:SCOPE_SYS
	s_wait_storecnt 0x0
	global_atomic_cmpswap_b64 v[4:5], v8, v[2:5], s[34:35] offset:24 th:TH_ATOMIC_RETURN scope:SCOPE_SYS
	s_wait_loadcnt 0x0
	v_cmp_ne_u64_e32 vcc_lo, v[4:5], v[9:10]
	s_and_b32 exec_lo, exec_lo, vcc_lo
	s_cbranch_execz .LBB8_1555
; %bb.1553:
	s_mov_b32 s0, 0
.LBB8_1554:                             ; =>This Inner Loop Header: Depth=1
	s_sleep 1
	global_store_b64 v[6:7], v[4:5], off
	global_wb scope:SCOPE_SYS
	s_wait_storecnt 0x0
	global_atomic_cmpswap_b64 v[9:10], v8, v[2:5], s[34:35] offset:24 th:TH_ATOMIC_RETURN scope:SCOPE_SYS
	s_wait_loadcnt 0x0
	v_cmp_eq_u64_e32 vcc_lo, v[9:10], v[4:5]
	v_dual_mov_b32 v4, v9 :: v_dual_mov_b32 v5, v10
	s_wait_alu 0xfffe
	s_or_b32 s0, vcc_lo, s0
	s_wait_alu 0xfffe
	s_and_not1_b32 exec_lo, exec_lo, s0
	s_cbranch_execnz .LBB8_1554
.LBB8_1555:
	s_wait_alu 0xfffe
	s_or_b32 exec_lo, exec_lo, s3
	s_delay_alu instid0(SALU_CYCLE_1)
	s_and_b32 vcc_lo, exec_lo, s38
	s_wait_alu 0xfffe
	s_cbranch_vccz .LBB8_1634
; %bb.1556:
	s_wait_loadcnt 0x0
	v_dual_mov_b32 v6, 0 :: v_dual_and_b32 v31, 2, v0
	v_dual_mov_b32 v3, v1 :: v_dual_and_b32 v2, -3, v0
	v_dual_mov_b32 v7, 2 :: v_dual_mov_b32 v8, 1
	s_mov_b64 s[4:5], 3
	s_getpc_b64 s[2:3]
	s_wait_alu 0xfffe
	s_sext_i32_i16 s3, s3
	s_add_co_u32 s2, s2, .str.8@rel32@lo+12
	s_wait_alu 0xfffe
	s_add_co_ci_u32 s3, s3, .str.8@rel32@hi+24
	s_branch .LBB8_1558
.LBB8_1557:                             ;   in Loop: Header=BB8_1558 Depth=1
	s_wait_alu 0xfffe
	s_or_b32 exec_lo, exec_lo, s11
	s_sub_nc_u64 s[4:5], s[4:5], s[6:7]
	s_add_nc_u64 s[2:3], s[2:3], s[6:7]
	s_wait_alu 0xfffe
	s_cmp_lg_u64 s[4:5], 0
	s_cbranch_scc0 .LBB8_1633
.LBB8_1558:                             ; =>This Loop Header: Depth=1
                                        ;     Child Loop BB8_1567 Depth 2
                                        ;     Child Loop BB8_1563 Depth 2
	;; [unrolled: 1-line block ×11, first 2 shown]
	v_cmp_lt_u64_e64 s0, s[4:5], 56
	v_cmp_gt_u64_e64 s1, s[4:5], 7
                                        ; implicit-def: $vgpr11_vgpr12
                                        ; implicit-def: $sgpr15
	s_delay_alu instid0(VALU_DEP_2) | instskip(SKIP_2) | instid1(VALU_DEP_1)
	s_and_b32 s0, s0, exec_lo
	s_cselect_b32 s7, s5, 0
	s_cselect_b32 s6, s4, 56
	s_and_b32 vcc_lo, exec_lo, s1
	s_mov_b32 s0, -1
	s_wait_alu 0xfffe
	s_cbranch_vccz .LBB8_1565
; %bb.1559:                             ;   in Loop: Header=BB8_1558 Depth=1
	s_and_not1_b32 vcc_lo, exec_lo, s0
	s_mov_b64 s[0:1], s[2:3]
	s_wait_alu 0xfffe
	s_cbranch_vccz .LBB8_1569
.LBB8_1560:                             ;   in Loop: Header=BB8_1558 Depth=1
	s_wait_alu 0xfffe
	s_cmp_gt_u32 s15, 7
	s_cbranch_scc1 .LBB8_1570
.LBB8_1561:                             ;   in Loop: Header=BB8_1558 Depth=1
	v_mov_b32_e32 v13, 0
	v_mov_b32_e32 v14, 0
	s_cmp_eq_u32 s15, 0
	s_cbranch_scc1 .LBB8_1564
; %bb.1562:                             ;   in Loop: Header=BB8_1558 Depth=1
	s_mov_b64 s[10:11], 0
	s_mov_b64 s[16:17], 0
.LBB8_1563:                             ;   Parent Loop BB8_1558 Depth=1
                                        ; =>  This Inner Loop Header: Depth=2
	s_wait_alu 0xfffe
	s_add_nc_u64 s[18:19], s[0:1], s[16:17]
	s_add_nc_u64 s[16:17], s[16:17], 1
	global_load_u8 v4, v6, s[18:19]
	s_wait_alu 0xfffe
	s_cmp_lg_u32 s15, s16
	s_wait_loadcnt 0x0
	v_and_b32_e32 v5, 0xffff, v4
	s_delay_alu instid0(VALU_DEP_1) | instskip(SKIP_1) | instid1(VALU_DEP_1)
	v_lshlrev_b64_e32 v[4:5], s10, v[5:6]
	s_add_nc_u64 s[10:11], s[10:11], 8
	v_or_b32_e32 v13, v4, v13
	s_delay_alu instid0(VALU_DEP_2)
	v_or_b32_e32 v14, v5, v14
	s_cbranch_scc1 .LBB8_1563
.LBB8_1564:                             ;   in Loop: Header=BB8_1558 Depth=1
	s_mov_b32 s18, 0
	s_cbranch_execz .LBB8_1571
	s_branch .LBB8_1572
.LBB8_1565:                             ;   in Loop: Header=BB8_1558 Depth=1
	v_mov_b32_e32 v11, 0
	v_mov_b32_e32 v12, 0
	s_cmp_eq_u64 s[4:5], 0
	s_mov_b64 s[0:1], 0
	s_cbranch_scc1 .LBB8_1568
; %bb.1566:                             ;   in Loop: Header=BB8_1558 Depth=1
	v_mov_b32_e32 v11, 0
	v_mov_b32_e32 v12, 0
	s_mov_b64 s[10:11], 0
.LBB8_1567:                             ;   Parent Loop BB8_1558 Depth=1
                                        ; =>  This Inner Loop Header: Depth=2
	s_wait_alu 0xfffe
	s_add_nc_u64 s[16:17], s[2:3], s[10:11]
	s_add_nc_u64 s[10:11], s[10:11], 1
	global_load_u8 v4, v6, s[16:17]
	s_wait_alu 0xfffe
	s_cmp_lg_u32 s6, s10
	s_wait_loadcnt 0x0
	v_and_b32_e32 v5, 0xffff, v4
	s_delay_alu instid0(VALU_DEP_1) | instskip(SKIP_1) | instid1(VALU_DEP_1)
	v_lshlrev_b64_e32 v[4:5], s0, v[5:6]
	s_add_nc_u64 s[0:1], s[0:1], 8
	v_or_b32_e32 v11, v4, v11
	s_delay_alu instid0(VALU_DEP_2)
	v_or_b32_e32 v12, v5, v12
	s_cbranch_scc1 .LBB8_1567
.LBB8_1568:                             ;   in Loop: Header=BB8_1558 Depth=1
	s_mov_b32 s15, 0
	s_mov_b64 s[0:1], s[2:3]
	s_cbranch_execnz .LBB8_1560
.LBB8_1569:                             ;   in Loop: Header=BB8_1558 Depth=1
	global_load_b64 v[11:12], v6, s[2:3]
	s_add_co_i32 s15, s6, -8
	s_add_nc_u64 s[0:1], s[2:3], 8
	s_wait_alu 0xfffe
	s_cmp_gt_u32 s15, 7
	s_cbranch_scc0 .LBB8_1561
.LBB8_1570:                             ;   in Loop: Header=BB8_1558 Depth=1
                                        ; implicit-def: $vgpr13_vgpr14
                                        ; implicit-def: $sgpr18
.LBB8_1571:                             ;   in Loop: Header=BB8_1558 Depth=1
	global_load_b64 v[13:14], v6, s[0:1]
	s_add_co_i32 s18, s15, -8
	s_add_nc_u64 s[0:1], s[0:1], 8
.LBB8_1572:                             ;   in Loop: Header=BB8_1558 Depth=1
	s_wait_alu 0xfffe
	s_cmp_gt_u32 s18, 7
	s_cbranch_scc1 .LBB8_1577
; %bb.1573:                             ;   in Loop: Header=BB8_1558 Depth=1
	v_mov_b32_e32 v15, 0
	v_mov_b32_e32 v16, 0
	s_cmp_eq_u32 s18, 0
	s_cbranch_scc1 .LBB8_1576
; %bb.1574:                             ;   in Loop: Header=BB8_1558 Depth=1
	s_mov_b64 s[10:11], 0
	s_mov_b64 s[16:17], 0
.LBB8_1575:                             ;   Parent Loop BB8_1558 Depth=1
                                        ; =>  This Inner Loop Header: Depth=2
	s_wait_alu 0xfffe
	s_add_nc_u64 s[20:21], s[0:1], s[16:17]
	s_add_nc_u64 s[16:17], s[16:17], 1
	global_load_u8 v4, v6, s[20:21]
	s_wait_alu 0xfffe
	s_cmp_lg_u32 s18, s16
	s_wait_loadcnt 0x0
	v_and_b32_e32 v5, 0xffff, v4
	s_delay_alu instid0(VALU_DEP_1) | instskip(SKIP_1) | instid1(VALU_DEP_1)
	v_lshlrev_b64_e32 v[4:5], s10, v[5:6]
	s_add_nc_u64 s[10:11], s[10:11], 8
	v_or_b32_e32 v15, v4, v15
	s_delay_alu instid0(VALU_DEP_2)
	v_or_b32_e32 v16, v5, v16
	s_cbranch_scc1 .LBB8_1575
.LBB8_1576:                             ;   in Loop: Header=BB8_1558 Depth=1
	s_mov_b32 s15, 0
	s_cbranch_execz .LBB8_1578
	s_branch .LBB8_1579
.LBB8_1577:                             ;   in Loop: Header=BB8_1558 Depth=1
                                        ; implicit-def: $sgpr15
.LBB8_1578:                             ;   in Loop: Header=BB8_1558 Depth=1
	global_load_b64 v[15:16], v6, s[0:1]
	s_add_co_i32 s15, s18, -8
	s_add_nc_u64 s[0:1], s[0:1], 8
.LBB8_1579:                             ;   in Loop: Header=BB8_1558 Depth=1
	s_wait_alu 0xfffe
	s_cmp_gt_u32 s15, 7
	s_cbranch_scc1 .LBB8_1584
; %bb.1580:                             ;   in Loop: Header=BB8_1558 Depth=1
	v_mov_b32_e32 v17, 0
	v_mov_b32_e32 v18, 0
	s_cmp_eq_u32 s15, 0
	s_cbranch_scc1 .LBB8_1583
; %bb.1581:                             ;   in Loop: Header=BB8_1558 Depth=1
	s_mov_b64 s[10:11], 0
	s_mov_b64 s[16:17], 0
.LBB8_1582:                             ;   Parent Loop BB8_1558 Depth=1
                                        ; =>  This Inner Loop Header: Depth=2
	s_wait_alu 0xfffe
	s_add_nc_u64 s[18:19], s[0:1], s[16:17]
	s_add_nc_u64 s[16:17], s[16:17], 1
	global_load_u8 v4, v6, s[18:19]
	s_wait_alu 0xfffe
	s_cmp_lg_u32 s15, s16
	s_wait_loadcnt 0x0
	v_and_b32_e32 v5, 0xffff, v4
	s_delay_alu instid0(VALU_DEP_1) | instskip(SKIP_1) | instid1(VALU_DEP_1)
	v_lshlrev_b64_e32 v[4:5], s10, v[5:6]
	s_add_nc_u64 s[10:11], s[10:11], 8
	v_or_b32_e32 v17, v4, v17
	s_delay_alu instid0(VALU_DEP_2)
	v_or_b32_e32 v18, v5, v18
	s_cbranch_scc1 .LBB8_1582
.LBB8_1583:                             ;   in Loop: Header=BB8_1558 Depth=1
	s_mov_b32 s18, 0
	s_cbranch_execz .LBB8_1585
	s_branch .LBB8_1586
.LBB8_1584:                             ;   in Loop: Header=BB8_1558 Depth=1
                                        ; implicit-def: $vgpr17_vgpr18
                                        ; implicit-def: $sgpr18
.LBB8_1585:                             ;   in Loop: Header=BB8_1558 Depth=1
	global_load_b64 v[17:18], v6, s[0:1]
	s_add_co_i32 s18, s15, -8
	s_add_nc_u64 s[0:1], s[0:1], 8
.LBB8_1586:                             ;   in Loop: Header=BB8_1558 Depth=1
	s_wait_alu 0xfffe
	s_cmp_gt_u32 s18, 7
	s_cbranch_scc1 .LBB8_1591
; %bb.1587:                             ;   in Loop: Header=BB8_1558 Depth=1
	v_mov_b32_e32 v19, 0
	v_mov_b32_e32 v20, 0
	s_cmp_eq_u32 s18, 0
	s_cbranch_scc1 .LBB8_1590
; %bb.1588:                             ;   in Loop: Header=BB8_1558 Depth=1
	s_mov_b64 s[10:11], 0
	s_mov_b64 s[16:17], 0
.LBB8_1589:                             ;   Parent Loop BB8_1558 Depth=1
                                        ; =>  This Inner Loop Header: Depth=2
	s_wait_alu 0xfffe
	s_add_nc_u64 s[20:21], s[0:1], s[16:17]
	s_add_nc_u64 s[16:17], s[16:17], 1
	global_load_u8 v4, v6, s[20:21]
	s_wait_alu 0xfffe
	s_cmp_lg_u32 s18, s16
	s_wait_loadcnt 0x0
	v_and_b32_e32 v5, 0xffff, v4
	s_delay_alu instid0(VALU_DEP_1) | instskip(SKIP_1) | instid1(VALU_DEP_1)
	v_lshlrev_b64_e32 v[4:5], s10, v[5:6]
	s_add_nc_u64 s[10:11], s[10:11], 8
	v_or_b32_e32 v19, v4, v19
	s_delay_alu instid0(VALU_DEP_2)
	v_or_b32_e32 v20, v5, v20
	s_cbranch_scc1 .LBB8_1589
.LBB8_1590:                             ;   in Loop: Header=BB8_1558 Depth=1
	s_mov_b32 s15, 0
	s_cbranch_execz .LBB8_1592
	s_branch .LBB8_1593
.LBB8_1591:                             ;   in Loop: Header=BB8_1558 Depth=1
                                        ; implicit-def: $sgpr15
.LBB8_1592:                             ;   in Loop: Header=BB8_1558 Depth=1
	global_load_b64 v[19:20], v6, s[0:1]
	s_add_co_i32 s15, s18, -8
	s_add_nc_u64 s[0:1], s[0:1], 8
.LBB8_1593:                             ;   in Loop: Header=BB8_1558 Depth=1
	s_wait_alu 0xfffe
	s_cmp_gt_u32 s15, 7
	s_cbranch_scc1 .LBB8_1598
; %bb.1594:                             ;   in Loop: Header=BB8_1558 Depth=1
	v_mov_b32_e32 v21, 0
	v_mov_b32_e32 v22, 0
	s_cmp_eq_u32 s15, 0
	s_cbranch_scc1 .LBB8_1597
; %bb.1595:                             ;   in Loop: Header=BB8_1558 Depth=1
	s_mov_b64 s[10:11], 0
	s_mov_b64 s[16:17], 0
.LBB8_1596:                             ;   Parent Loop BB8_1558 Depth=1
                                        ; =>  This Inner Loop Header: Depth=2
	s_wait_alu 0xfffe
	s_add_nc_u64 s[18:19], s[0:1], s[16:17]
	s_add_nc_u64 s[16:17], s[16:17], 1
	global_load_u8 v4, v6, s[18:19]
	s_wait_alu 0xfffe
	s_cmp_lg_u32 s15, s16
	s_wait_loadcnt 0x0
	v_and_b32_e32 v5, 0xffff, v4
	s_delay_alu instid0(VALU_DEP_1) | instskip(SKIP_1) | instid1(VALU_DEP_1)
	v_lshlrev_b64_e32 v[4:5], s10, v[5:6]
	s_add_nc_u64 s[10:11], s[10:11], 8
	v_or_b32_e32 v21, v4, v21
	s_delay_alu instid0(VALU_DEP_2)
	v_or_b32_e32 v22, v5, v22
	s_cbranch_scc1 .LBB8_1596
.LBB8_1597:                             ;   in Loop: Header=BB8_1558 Depth=1
	s_mov_b32 s18, 0
	s_cbranch_execz .LBB8_1599
	s_branch .LBB8_1600
.LBB8_1598:                             ;   in Loop: Header=BB8_1558 Depth=1
                                        ; implicit-def: $vgpr21_vgpr22
                                        ; implicit-def: $sgpr18
.LBB8_1599:                             ;   in Loop: Header=BB8_1558 Depth=1
	global_load_b64 v[21:22], v6, s[0:1]
	s_add_co_i32 s18, s15, -8
	s_add_nc_u64 s[0:1], s[0:1], 8
.LBB8_1600:                             ;   in Loop: Header=BB8_1558 Depth=1
	s_wait_alu 0xfffe
	s_cmp_gt_u32 s18, 7
	s_cbranch_scc1 .LBB8_1605
; %bb.1601:                             ;   in Loop: Header=BB8_1558 Depth=1
	v_mov_b32_e32 v23, 0
	v_mov_b32_e32 v24, 0
	s_cmp_eq_u32 s18, 0
	s_cbranch_scc1 .LBB8_1604
; %bb.1602:                             ;   in Loop: Header=BB8_1558 Depth=1
	s_mov_b64 s[10:11], 0
	s_mov_b64 s[16:17], s[0:1]
.LBB8_1603:                             ;   Parent Loop BB8_1558 Depth=1
                                        ; =>  This Inner Loop Header: Depth=2
	global_load_u8 v4, v6, s[16:17]
	s_add_co_i32 s18, s18, -1
	s_wait_alu 0xfffe
	s_add_nc_u64 s[16:17], s[16:17], 1
	s_cmp_lg_u32 s18, 0
	s_wait_loadcnt 0x0
	v_and_b32_e32 v5, 0xffff, v4
	s_delay_alu instid0(VALU_DEP_1) | instskip(SKIP_1) | instid1(VALU_DEP_1)
	v_lshlrev_b64_e32 v[4:5], s10, v[5:6]
	s_add_nc_u64 s[10:11], s[10:11], 8
	v_or_b32_e32 v23, v4, v23
	s_delay_alu instid0(VALU_DEP_2)
	v_or_b32_e32 v24, v5, v24
	s_cbranch_scc1 .LBB8_1603
.LBB8_1604:                             ;   in Loop: Header=BB8_1558 Depth=1
	s_cbranch_execz .LBB8_1606
	s_branch .LBB8_1607
.LBB8_1605:                             ;   in Loop: Header=BB8_1558 Depth=1
.LBB8_1606:                             ;   in Loop: Header=BB8_1558 Depth=1
	global_load_b64 v[23:24], v6, s[0:1]
.LBB8_1607:                             ;   in Loop: Header=BB8_1558 Depth=1
	v_readfirstlane_b32 s0, v52
	s_wait_loadcnt 0x0
	v_mov_b32_e32 v4, 0
	v_mov_b32_e32 v5, 0
	s_wait_alu 0xf1ff
	v_cmp_eq_u32_e64 s0, s0, v52
	s_delay_alu instid0(VALU_DEP_1)
	s_and_saveexec_b32 s1, s0
	s_cbranch_execz .LBB8_1613
; %bb.1608:                             ;   in Loop: Header=BB8_1558 Depth=1
	global_load_b64 v[27:28], v6, s[34:35] offset:24 scope:SCOPE_SYS
	s_wait_loadcnt 0x0
	global_inv scope:SCOPE_SYS
	s_clause 0x1
	global_load_b64 v[4:5], v6, s[34:35] offset:40
	global_load_b64 v[9:10], v6, s[34:35]
	s_mov_b32 s10, exec_lo
	s_wait_loadcnt 0x1
	v_and_b32_e32 v5, v5, v28
	v_and_b32_e32 v4, v4, v27
	s_delay_alu instid0(VALU_DEP_2) | instskip(NEXT) | instid1(VALU_DEP_2)
	v_mul_lo_u32 v5, 24, v5
	v_mul_lo_u32 v25, 0, v4
	v_mul_hi_u32 v26, 24, v4
	v_mul_lo_u32 v4, 24, v4
	s_delay_alu instid0(VALU_DEP_3) | instskip(SKIP_1) | instid1(VALU_DEP_2)
	v_add_nc_u32_e32 v5, v5, v25
	s_wait_loadcnt 0x0
	v_add_co_u32 v4, vcc_lo, v9, v4
	s_delay_alu instid0(VALU_DEP_2) | instskip(SKIP_1) | instid1(VALU_DEP_1)
	v_add_nc_u32_e32 v5, v5, v26
	s_wait_alu 0xfffd
	v_add_co_ci_u32_e32 v5, vcc_lo, v10, v5, vcc_lo
	global_load_b64 v[25:26], v[4:5], off scope:SCOPE_SYS
	s_wait_loadcnt 0x0
	global_atomic_cmpswap_b64 v[4:5], v6, v[25:28], s[34:35] offset:24 th:TH_ATOMIC_RETURN scope:SCOPE_SYS
	s_wait_loadcnt 0x0
	global_inv scope:SCOPE_SYS
	v_cmpx_ne_u64_e64 v[4:5], v[27:28]
	s_cbranch_execz .LBB8_1612
; %bb.1609:                             ;   in Loop: Header=BB8_1558 Depth=1
	s_mov_b32 s11, 0
.LBB8_1610:                             ;   Parent Loop BB8_1558 Depth=1
                                        ; =>  This Inner Loop Header: Depth=2
	s_sleep 1
	s_clause 0x1
	global_load_b64 v[9:10], v6, s[34:35] offset:40
	global_load_b64 v[25:26], v6, s[34:35]
	v_dual_mov_b32 v28, v5 :: v_dual_mov_b32 v27, v4
	s_wait_loadcnt 0x1
	s_delay_alu instid0(VALU_DEP_1) | instskip(NEXT) | instid1(VALU_DEP_2)
	v_and_b32_e32 v4, v9, v27
	v_and_b32_e32 v9, v10, v28
	s_wait_loadcnt 0x0
	s_delay_alu instid0(VALU_DEP_2) | instskip(NEXT) | instid1(VALU_DEP_1)
	v_mad_co_u64_u32 v[4:5], null, v4, 24, v[25:26]
	v_mad_co_u64_u32 v[9:10], null, v9, 24, v[5:6]
	s_delay_alu instid0(VALU_DEP_1)
	v_mov_b32_e32 v5, v9
	global_load_b64 v[25:26], v[4:5], off scope:SCOPE_SYS
	s_wait_loadcnt 0x0
	global_atomic_cmpswap_b64 v[4:5], v6, v[25:28], s[34:35] offset:24 th:TH_ATOMIC_RETURN scope:SCOPE_SYS
	s_wait_loadcnt 0x0
	global_inv scope:SCOPE_SYS
	v_cmp_eq_u64_e32 vcc_lo, v[4:5], v[27:28]
	s_wait_alu 0xfffe
	s_or_b32 s11, vcc_lo, s11
	s_wait_alu 0xfffe
	s_and_not1_b32 exec_lo, exec_lo, s11
	s_cbranch_execnz .LBB8_1610
; %bb.1611:                             ;   in Loop: Header=BB8_1558 Depth=1
	s_or_b32 exec_lo, exec_lo, s11
.LBB8_1612:                             ;   in Loop: Header=BB8_1558 Depth=1
	s_wait_alu 0xfffe
	s_or_b32 exec_lo, exec_lo, s10
.LBB8_1613:                             ;   in Loop: Header=BB8_1558 Depth=1
	s_wait_alu 0xfffe
	s_or_b32 exec_lo, exec_lo, s1
	s_clause 0x1
	global_load_b64 v[9:10], v6, s[34:35] offset:40
	global_load_b128 v[25:28], v6, s[34:35]
	v_readfirstlane_b32 s1, v5
	v_readfirstlane_b32 s10, v4
	s_mov_b32 s11, exec_lo
	s_wait_loadcnt 0x1
	s_wait_alu 0xf1ff
	v_and_b32_e32 v10, s1, v10
	v_and_b32_e32 v9, s10, v9
	s_delay_alu instid0(VALU_DEP_2) | instskip(NEXT) | instid1(VALU_DEP_2)
	v_mul_lo_u32 v4, 24, v10
	v_mul_lo_u32 v5, 0, v9
	v_mul_hi_u32 v29, 24, v9
	v_mul_lo_u32 v30, 24, v9
	s_delay_alu instid0(VALU_DEP_3) | instskip(NEXT) | instid1(VALU_DEP_1)
	v_add_nc_u32_e32 v4, v4, v5
	v_add_nc_u32_e32 v4, v4, v29
	s_wait_loadcnt 0x0
	s_delay_alu instid0(VALU_DEP_3) | instskip(SKIP_1) | instid1(VALU_DEP_2)
	v_add_co_u32 v29, vcc_lo, v25, v30
	s_wait_alu 0xfffd
	v_add_co_ci_u32_e32 v30, vcc_lo, v26, v4, vcc_lo
	s_and_saveexec_b32 s15, s0
	s_cbranch_execz .LBB8_1615
; %bb.1614:                             ;   in Loop: Header=BB8_1558 Depth=1
	s_wait_alu 0xfffe
	v_mov_b32_e32 v5, s11
	global_store_b128 v[29:30], v[5:8], off offset:8
.LBB8_1615:                             ;   in Loop: Header=BB8_1558 Depth=1
	s_wait_alu 0xfffe
	s_or_b32 exec_lo, exec_lo, s15
	v_cmp_gt_u64_e64 vcc_lo, s[4:5], 56
	v_lshlrev_b64_e32 v[4:5], 12, v[9:10]
	v_or_b32_e32 v32, 0, v3
	v_or_b32_e32 v33, v2, v31
	s_lshl_b32 s11, s6, 2
	s_wait_alu 0xfffe
	s_add_co_i32 s11, s11, 28
	s_wait_alu 0xfffd
	v_cndmask_b32_e32 v10, v32, v3, vcc_lo
	v_cndmask_b32_e32 v2, v33, v2, vcc_lo
	v_add_co_u32 v27, vcc_lo, v27, v4
	s_wait_alu 0xfffd
	v_add_co_ci_u32_e32 v28, vcc_lo, v28, v5, vcc_lo
	s_wait_alu 0xfffe
	s_and_b32 s11, s11, 0x1e0
	v_readfirstlane_b32 s16, v27
	s_wait_alu 0xfffe
	v_and_or_b32 v9, 0xffffff1f, v2, s11
	v_readfirstlane_b32 s17, v28
	s_clause 0x3
	global_store_b128 v51, v[9:12], s[16:17]
	global_store_b128 v51, v[13:16], s[16:17] offset:16
	global_store_b128 v51, v[17:20], s[16:17] offset:32
	;; [unrolled: 1-line block ×3, first 2 shown]
	s_and_saveexec_b32 s11, s0
	s_cbranch_execz .LBB8_1623
; %bb.1616:                             ;   in Loop: Header=BB8_1558 Depth=1
	s_clause 0x1
	global_load_b64 v[13:14], v6, s[34:35] offset:32 scope:SCOPE_SYS
	global_load_b64 v[2:3], v6, s[34:35] offset:40
	s_mov_b32 s15, exec_lo
	v_dual_mov_b32 v11, s10 :: v_dual_mov_b32 v12, s1
	s_wait_loadcnt 0x0
	v_and_b32_e32 v3, s1, v3
	v_and_b32_e32 v2, s10, v2
	s_delay_alu instid0(VALU_DEP_2) | instskip(NEXT) | instid1(VALU_DEP_2)
	v_mul_lo_u32 v3, 24, v3
	v_mul_lo_u32 v4, 0, v2
	v_mul_hi_u32 v5, 24, v2
	v_mul_lo_u32 v2, 24, v2
	s_delay_alu instid0(VALU_DEP_3) | instskip(NEXT) | instid1(VALU_DEP_2)
	v_add_nc_u32_e32 v3, v3, v4
	v_add_co_u32 v9, vcc_lo, v25, v2
	s_delay_alu instid0(VALU_DEP_2) | instskip(SKIP_1) | instid1(VALU_DEP_1)
	v_add_nc_u32_e32 v3, v3, v5
	s_wait_alu 0xfffd
	v_add_co_ci_u32_e32 v10, vcc_lo, v26, v3, vcc_lo
	global_store_b64 v[9:10], v[13:14], off
	global_wb scope:SCOPE_SYS
	s_wait_storecnt 0x0
	global_atomic_cmpswap_b64 v[4:5], v6, v[11:14], s[34:35] offset:32 th:TH_ATOMIC_RETURN scope:SCOPE_SYS
	s_wait_loadcnt 0x0
	v_cmpx_ne_u64_e64 v[4:5], v[13:14]
	s_cbranch_execz .LBB8_1619
; %bb.1617:                             ;   in Loop: Header=BB8_1558 Depth=1
	s_mov_b32 s16, 0
.LBB8_1618:                             ;   Parent Loop BB8_1558 Depth=1
                                        ; =>  This Inner Loop Header: Depth=2
	v_dual_mov_b32 v2, s10 :: v_dual_mov_b32 v3, s1
	s_sleep 1
	global_store_b64 v[9:10], v[4:5], off
	global_wb scope:SCOPE_SYS
	s_wait_storecnt 0x0
	global_atomic_cmpswap_b64 v[2:3], v6, v[2:5], s[34:35] offset:32 th:TH_ATOMIC_RETURN scope:SCOPE_SYS
	s_wait_loadcnt 0x0
	v_cmp_eq_u64_e32 vcc_lo, v[2:3], v[4:5]
	v_dual_mov_b32 v5, v3 :: v_dual_mov_b32 v4, v2
	s_wait_alu 0xfffe
	s_or_b32 s16, vcc_lo, s16
	s_wait_alu 0xfffe
	s_and_not1_b32 exec_lo, exec_lo, s16
	s_cbranch_execnz .LBB8_1618
.LBB8_1619:                             ;   in Loop: Header=BB8_1558 Depth=1
	s_wait_alu 0xfffe
	s_or_b32 exec_lo, exec_lo, s15
	global_load_b64 v[2:3], v6, s[34:35] offset:16
	s_mov_b32 s16, exec_lo
	s_mov_b32 s15, exec_lo
	s_wait_alu 0xfffe
	v_mbcnt_lo_u32_b32 v4, s16, 0
	s_delay_alu instid0(VALU_DEP_1)
	v_cmpx_eq_u32_e32 0, v4
	s_cbranch_execz .LBB8_1621
; %bb.1620:                             ;   in Loop: Header=BB8_1558 Depth=1
	s_bcnt1_i32_b32 s16, s16
	s_wait_alu 0xfffe
	v_mov_b32_e32 v5, s16
	global_wb scope:SCOPE_SYS
	s_wait_loadcnt 0x0
	global_atomic_add_u64 v[2:3], v[5:6], off offset:8 scope:SCOPE_SYS
.LBB8_1621:                             ;   in Loop: Header=BB8_1558 Depth=1
	s_or_b32 exec_lo, exec_lo, s15
	s_wait_loadcnt 0x0
	global_load_b64 v[9:10], v[2:3], off offset:16
	s_wait_loadcnt 0x0
	v_cmp_eq_u64_e32 vcc_lo, 0, v[9:10]
	s_cbranch_vccnz .LBB8_1623
; %bb.1622:                             ;   in Loop: Header=BB8_1558 Depth=1
	global_load_b32 v5, v[2:3], off offset:24
	s_wait_loadcnt 0x0
	v_and_b32_e32 v2, 0xffffff, v5
	global_wb scope:SCOPE_SYS
	s_wait_storecnt 0x0
	global_store_b64 v[9:10], v[5:6], off scope:SCOPE_SYS
	v_readfirstlane_b32 m0, v2
	s_sendmsg sendmsg(MSG_INTERRUPT)
.LBB8_1623:                             ;   in Loop: Header=BB8_1558 Depth=1
	s_wait_alu 0xfffe
	s_or_b32 exec_lo, exec_lo, s11
	v_add_co_u32 v2, vcc_lo, v27, v51
	s_wait_alu 0xfffd
	v_add_co_ci_u32_e32 v3, vcc_lo, 0, v28, vcc_lo
	s_branch .LBB8_1627
.LBB8_1624:                             ;   in Loop: Header=BB8_1627 Depth=2
	s_wait_alu 0xfffe
	s_or_b32 exec_lo, exec_lo, s11
	s_delay_alu instid0(VALU_DEP_1) | instskip(NEXT) | instid1(VALU_DEP_1)
	v_readfirstlane_b32 s11, v4
	s_cmp_eq_u32 s11, 0
	s_cbranch_scc1 .LBB8_1626
; %bb.1625:                             ;   in Loop: Header=BB8_1627 Depth=2
	s_sleep 1
	s_cbranch_execnz .LBB8_1627
	s_branch .LBB8_1629
.LBB8_1626:                             ;   in Loop: Header=BB8_1558 Depth=1
	s_branch .LBB8_1629
.LBB8_1627:                             ;   Parent Loop BB8_1558 Depth=1
                                        ; =>  This Inner Loop Header: Depth=2
	v_mov_b32_e32 v4, 1
	s_and_saveexec_b32 s11, s0
	s_cbranch_execz .LBB8_1624
; %bb.1628:                             ;   in Loop: Header=BB8_1627 Depth=2
	global_load_b32 v4, v[29:30], off offset:20 scope:SCOPE_SYS
	s_wait_loadcnt 0x0
	global_inv scope:SCOPE_SYS
	v_and_b32_e32 v4, 1, v4
	s_branch .LBB8_1624
.LBB8_1629:                             ;   in Loop: Header=BB8_1558 Depth=1
	global_load_b128 v[2:5], v[2:3], off
	s_and_saveexec_b32 s11, s0
	s_cbranch_execz .LBB8_1557
; %bb.1630:                             ;   in Loop: Header=BB8_1558 Depth=1
	s_clause 0x2
	global_load_b64 v[4:5], v6, s[34:35] offset:40
	global_load_b64 v[13:14], v6, s[34:35] offset:24 scope:SCOPE_SYS
	global_load_b64 v[11:12], v6, s[34:35]
	s_wait_loadcnt 0x2
	v_add_co_u32 v15, vcc_lo, v4, 1
	s_wait_alu 0xfffd
	v_add_co_ci_u32_e32 v16, vcc_lo, 0, v5, vcc_lo
	s_delay_alu instid0(VALU_DEP_2) | instskip(SKIP_1) | instid1(VALU_DEP_2)
	v_add_co_u32 v9, vcc_lo, v15, s10
	s_wait_alu 0xfffd
	v_add_co_ci_u32_e32 v10, vcc_lo, s1, v16, vcc_lo
	s_delay_alu instid0(VALU_DEP_1) | instskip(SKIP_2) | instid1(VALU_DEP_1)
	v_cmp_eq_u64_e32 vcc_lo, 0, v[9:10]
	s_wait_alu 0xfffd
	v_dual_cndmask_b32 v10, v10, v16 :: v_dual_cndmask_b32 v9, v9, v15
	v_and_b32_e32 v5, v10, v5
	s_delay_alu instid0(VALU_DEP_2) | instskip(NEXT) | instid1(VALU_DEP_2)
	v_and_b32_e32 v4, v9, v4
	v_mul_lo_u32 v5, 24, v5
	s_delay_alu instid0(VALU_DEP_2) | instskip(SKIP_2) | instid1(VALU_DEP_3)
	v_mul_lo_u32 v15, 0, v4
	v_mul_hi_u32 v16, 24, v4
	v_mul_lo_u32 v4, 24, v4
	v_add_nc_u32_e32 v5, v5, v15
	s_wait_loadcnt 0x0
	s_delay_alu instid0(VALU_DEP_2) | instskip(SKIP_1) | instid1(VALU_DEP_3)
	v_add_co_u32 v4, vcc_lo, v11, v4
	v_mov_b32_e32 v11, v13
	v_add_nc_u32_e32 v5, v5, v16
	s_wait_alu 0xfffd
	s_delay_alu instid0(VALU_DEP_1)
	v_add_co_ci_u32_e32 v5, vcc_lo, v12, v5, vcc_lo
	v_mov_b32_e32 v12, v14
	global_store_b64 v[4:5], v[13:14], off
	global_wb scope:SCOPE_SYS
	s_wait_storecnt 0x0
	global_atomic_cmpswap_b64 v[11:12], v6, v[9:12], s[34:35] offset:24 th:TH_ATOMIC_RETURN scope:SCOPE_SYS
	s_wait_loadcnt 0x0
	v_cmp_ne_u64_e32 vcc_lo, v[11:12], v[13:14]
	s_and_b32 exec_lo, exec_lo, vcc_lo
	s_cbranch_execz .LBB8_1557
; %bb.1631:                             ;   in Loop: Header=BB8_1558 Depth=1
	s_mov_b32 s0, 0
.LBB8_1632:                             ;   Parent Loop BB8_1558 Depth=1
                                        ; =>  This Inner Loop Header: Depth=2
	s_sleep 1
	global_store_b64 v[4:5], v[11:12], off
	global_wb scope:SCOPE_SYS
	s_wait_storecnt 0x0
	global_atomic_cmpswap_b64 v[13:14], v6, v[9:12], s[34:35] offset:24 th:TH_ATOMIC_RETURN scope:SCOPE_SYS
	s_wait_loadcnt 0x0
	v_cmp_eq_u64_e32 vcc_lo, v[13:14], v[11:12]
	v_dual_mov_b32 v11, v13 :: v_dual_mov_b32 v12, v14
	s_wait_alu 0xfffe
	s_or_b32 s0, vcc_lo, s0
	s_wait_alu 0xfffe
	s_and_not1_b32 exec_lo, exec_lo, s0
	s_cbranch_execnz .LBB8_1632
	s_branch .LBB8_1557
.LBB8_1633:
	s_branch .LBB8_1662
.LBB8_1634:
                                        ; implicit-def: $vgpr2_vgpr3
	s_cbranch_execz .LBB8_1662
; %bb.1635:
	v_readfirstlane_b32 s0, v52
	v_mov_b32_e32 v8, 0
	v_mov_b32_e32 v9, 0
	s_wait_alu 0xf1ff
	s_delay_alu instid0(VALU_DEP_3) | instskip(NEXT) | instid1(VALU_DEP_1)
	v_cmp_eq_u32_e64 s0, s0, v52
	s_and_saveexec_b32 s1, s0
	s_cbranch_execz .LBB8_1641
; %bb.1636:
	s_wait_loadcnt 0x0
	v_mov_b32_e32 v2, 0
	s_mov_b32 s2, exec_lo
	global_load_b64 v[5:6], v2, s[34:35] offset:24 scope:SCOPE_SYS
	s_wait_loadcnt 0x0
	global_inv scope:SCOPE_SYS
	s_clause 0x1
	global_load_b64 v[3:4], v2, s[34:35] offset:40
	global_load_b64 v[7:8], v2, s[34:35]
	s_wait_loadcnt 0x1
	v_and_b32_e32 v3, v3, v5
	v_and_b32_e32 v4, v4, v6
	s_delay_alu instid0(VALU_DEP_2) | instskip(NEXT) | instid1(VALU_DEP_2)
	v_mul_lo_u32 v9, 0, v3
	v_mul_lo_u32 v4, 24, v4
	v_mul_hi_u32 v10, 24, v3
	v_mul_lo_u32 v3, 24, v3
	s_delay_alu instid0(VALU_DEP_3) | instskip(SKIP_1) | instid1(VALU_DEP_2)
	v_add_nc_u32_e32 v4, v4, v9
	s_wait_loadcnt 0x0
	v_add_co_u32 v3, vcc_lo, v7, v3
	s_delay_alu instid0(VALU_DEP_2) | instskip(SKIP_1) | instid1(VALU_DEP_1)
	v_add_nc_u32_e32 v4, v4, v10
	s_wait_alu 0xfffd
	v_add_co_ci_u32_e32 v4, vcc_lo, v8, v4, vcc_lo
	global_load_b64 v[3:4], v[3:4], off scope:SCOPE_SYS
	s_wait_loadcnt 0x0
	global_atomic_cmpswap_b64 v[8:9], v2, v[3:6], s[34:35] offset:24 th:TH_ATOMIC_RETURN scope:SCOPE_SYS
	s_wait_loadcnt 0x0
	global_inv scope:SCOPE_SYS
	v_cmpx_ne_u64_e64 v[8:9], v[5:6]
	s_cbranch_execz .LBB8_1640
; %bb.1637:
	s_mov_b32 s3, 0
.LBB8_1638:                             ; =>This Inner Loop Header: Depth=1
	s_sleep 1
	s_clause 0x1
	global_load_b64 v[3:4], v2, s[34:35] offset:40
	global_load_b64 v[10:11], v2, s[34:35]
	v_dual_mov_b32 v5, v8 :: v_dual_mov_b32 v6, v9
	s_wait_loadcnt 0x1
	s_delay_alu instid0(VALU_DEP_1) | instskip(NEXT) | instid1(VALU_DEP_2)
	v_and_b32_e32 v3, v3, v5
	v_and_b32_e32 v4, v4, v6
	s_wait_loadcnt 0x0
	s_delay_alu instid0(VALU_DEP_2) | instskip(NEXT) | instid1(VALU_DEP_1)
	v_mad_co_u64_u32 v[7:8], null, v3, 24, v[10:11]
	v_mov_b32_e32 v3, v8
	s_delay_alu instid0(VALU_DEP_1) | instskip(NEXT) | instid1(VALU_DEP_1)
	v_mad_co_u64_u32 v[3:4], null, v4, 24, v[3:4]
	v_mov_b32_e32 v8, v3
	global_load_b64 v[3:4], v[7:8], off scope:SCOPE_SYS
	s_wait_loadcnt 0x0
	global_atomic_cmpswap_b64 v[8:9], v2, v[3:6], s[34:35] offset:24 th:TH_ATOMIC_RETURN scope:SCOPE_SYS
	s_wait_loadcnt 0x0
	global_inv scope:SCOPE_SYS
	v_cmp_eq_u64_e32 vcc_lo, v[8:9], v[5:6]
	s_wait_alu 0xfffe
	s_or_b32 s3, vcc_lo, s3
	s_wait_alu 0xfffe
	s_and_not1_b32 exec_lo, exec_lo, s3
	s_cbranch_execnz .LBB8_1638
; %bb.1639:
	s_or_b32 exec_lo, exec_lo, s3
.LBB8_1640:
	s_wait_alu 0xfffe
	s_or_b32 exec_lo, exec_lo, s2
.LBB8_1641:
	s_wait_alu 0xfffe
	s_or_b32 exec_lo, exec_lo, s1
	v_readfirstlane_b32 s1, v9
	s_wait_loadcnt 0x0
	v_mov_b32_e32 v2, 0
	v_readfirstlane_b32 s2, v8
	s_mov_b32 s3, exec_lo
	s_clause 0x1
	global_load_b64 v[10:11], v2, s[34:35] offset:40
	global_load_b128 v[4:7], v2, s[34:35]
	s_wait_loadcnt 0x1
	s_wait_alu 0xf1ff
	v_and_b32_e32 v11, s1, v11
	v_and_b32_e32 v10, s2, v10
	s_delay_alu instid0(VALU_DEP_2) | instskip(NEXT) | instid1(VALU_DEP_2)
	v_mul_lo_u32 v3, 24, v11
	v_mul_lo_u32 v8, 0, v10
	v_mul_hi_u32 v9, 24, v10
	v_mul_lo_u32 v12, 24, v10
	s_delay_alu instid0(VALU_DEP_3) | instskip(SKIP_1) | instid1(VALU_DEP_2)
	v_add_nc_u32_e32 v3, v3, v8
	s_wait_loadcnt 0x0
	v_add_co_u32 v8, vcc_lo, v4, v12
	s_delay_alu instid0(VALU_DEP_2) | instskip(SKIP_1) | instid1(VALU_DEP_1)
	v_add_nc_u32_e32 v3, v3, v9
	s_wait_alu 0xfffd
	v_add_co_ci_u32_e32 v9, vcc_lo, v5, v3, vcc_lo
	s_and_saveexec_b32 s4, s0
	s_cbranch_execz .LBB8_1643
; %bb.1642:
	s_wait_alu 0xfffe
	v_dual_mov_b32 v12, s3 :: v_dual_mov_b32 v13, v2
	v_dual_mov_b32 v14, 2 :: v_dual_mov_b32 v15, 1
	global_store_b128 v[8:9], v[12:15], off offset:8
.LBB8_1643:
	s_wait_alu 0xfffe
	s_or_b32 exec_lo, exec_lo, s4
	v_lshlrev_b64_e32 v[10:11], 12, v[10:11]
	s_mov_b32 s4, 0
	v_and_or_b32 v0, 0xffffff1f, v0, 32
	s_wait_alu 0xfffe
	s_mov_b32 s7, s4
	s_mov_b32 s5, s4
	;; [unrolled: 1-line block ×3, first 2 shown]
	v_add_co_u32 v6, vcc_lo, v6, v10
	s_wait_alu 0xfffd
	v_add_co_ci_u32_e32 v7, vcc_lo, v7, v11, vcc_lo
	v_mov_b32_e32 v3, v2
	s_delay_alu instid0(VALU_DEP_3) | instskip(SKIP_1) | instid1(VALU_DEP_4)
	v_readfirstlane_b32 s10, v6
	v_add_co_u32 v6, vcc_lo, v6, v51
	v_readfirstlane_b32 s11, v7
	s_wait_alu 0xfffe
	v_dual_mov_b32 v13, s7 :: v_dual_mov_b32 v10, s4
	s_wait_alu 0xfffd
	v_add_co_ci_u32_e32 v7, vcc_lo, 0, v7, vcc_lo
	v_dual_mov_b32 v12, s6 :: v_dual_mov_b32 v11, s5
	s_clause 0x3
	global_store_b128 v51, v[0:3], s[10:11]
	global_store_b128 v51, v[10:13], s[10:11] offset:16
	global_store_b128 v51, v[10:13], s[10:11] offset:32
	;; [unrolled: 1-line block ×3, first 2 shown]
	s_and_saveexec_b32 s3, s0
	s_cbranch_execz .LBB8_1651
; %bb.1644:
	v_mov_b32_e32 v10, 0
	s_mov_b32 s4, exec_lo
	s_clause 0x1
	global_load_b64 v[13:14], v10, s[34:35] offset:32 scope:SCOPE_SYS
	global_load_b64 v[0:1], v10, s[34:35] offset:40
	v_dual_mov_b32 v11, s2 :: v_dual_mov_b32 v12, s1
	s_wait_loadcnt 0x0
	v_and_b32_e32 v1, s1, v1
	v_and_b32_e32 v0, s2, v0
	s_delay_alu instid0(VALU_DEP_2) | instskip(NEXT) | instid1(VALU_DEP_2)
	v_mul_lo_u32 v1, 24, v1
	v_mul_lo_u32 v2, 0, v0
	v_mul_hi_u32 v3, 24, v0
	v_mul_lo_u32 v0, 24, v0
	s_delay_alu instid0(VALU_DEP_3) | instskip(NEXT) | instid1(VALU_DEP_2)
	v_add_nc_u32_e32 v1, v1, v2
	v_add_co_u32 v4, vcc_lo, v4, v0
	s_delay_alu instid0(VALU_DEP_2) | instskip(SKIP_1) | instid1(VALU_DEP_1)
	v_add_nc_u32_e32 v1, v1, v3
	s_wait_alu 0xfffd
	v_add_co_ci_u32_e32 v5, vcc_lo, v5, v1, vcc_lo
	global_store_b64 v[4:5], v[13:14], off
	global_wb scope:SCOPE_SYS
	s_wait_storecnt 0x0
	global_atomic_cmpswap_b64 v[2:3], v10, v[11:14], s[34:35] offset:32 th:TH_ATOMIC_RETURN scope:SCOPE_SYS
	s_wait_loadcnt 0x0
	v_cmpx_ne_u64_e64 v[2:3], v[13:14]
	s_cbranch_execz .LBB8_1647
; %bb.1645:
	s_mov_b32 s5, 0
.LBB8_1646:                             ; =>This Inner Loop Header: Depth=1
	v_dual_mov_b32 v0, s2 :: v_dual_mov_b32 v1, s1
	s_sleep 1
	global_store_b64 v[4:5], v[2:3], off
	global_wb scope:SCOPE_SYS
	s_wait_storecnt 0x0
	global_atomic_cmpswap_b64 v[0:1], v10, v[0:3], s[34:35] offset:32 th:TH_ATOMIC_RETURN scope:SCOPE_SYS
	s_wait_loadcnt 0x0
	v_cmp_eq_u64_e32 vcc_lo, v[0:1], v[2:3]
	v_dual_mov_b32 v3, v1 :: v_dual_mov_b32 v2, v0
	s_wait_alu 0xfffe
	s_or_b32 s5, vcc_lo, s5
	s_wait_alu 0xfffe
	s_and_not1_b32 exec_lo, exec_lo, s5
	s_cbranch_execnz .LBB8_1646
.LBB8_1647:
	s_wait_alu 0xfffe
	s_or_b32 exec_lo, exec_lo, s4
	v_mov_b32_e32 v3, 0
	s_mov_b32 s5, exec_lo
	s_mov_b32 s4, exec_lo
	s_wait_alu 0xfffe
	v_mbcnt_lo_u32_b32 v2, s5, 0
	global_load_b64 v[0:1], v3, s[34:35] offset:16
	v_cmpx_eq_u32_e32 0, v2
	s_cbranch_execz .LBB8_1649
; %bb.1648:
	s_bcnt1_i32_b32 s5, s5
	s_wait_alu 0xfffe
	v_mov_b32_e32 v2, s5
	global_wb scope:SCOPE_SYS
	s_wait_loadcnt 0x0
	global_atomic_add_u64 v[0:1], v[2:3], off offset:8 scope:SCOPE_SYS
.LBB8_1649:
	s_or_b32 exec_lo, exec_lo, s4
	s_wait_loadcnt 0x0
	global_load_b64 v[2:3], v[0:1], off offset:16
	s_wait_loadcnt 0x0
	v_cmp_eq_u64_e32 vcc_lo, 0, v[2:3]
	s_cbranch_vccnz .LBB8_1651
; %bb.1650:
	global_load_b32 v0, v[0:1], off offset:24
	s_wait_loadcnt 0x0
	v_dual_mov_b32 v1, 0 :: v_dual_and_b32 v4, 0xffffff, v0
	global_wb scope:SCOPE_SYS
	s_wait_storecnt 0x0
	global_store_b64 v[2:3], v[0:1], off scope:SCOPE_SYS
	v_readfirstlane_b32 m0, v4
	s_sendmsg sendmsg(MSG_INTERRUPT)
.LBB8_1651:
	s_wait_alu 0xfffe
	s_or_b32 exec_lo, exec_lo, s3
	s_branch .LBB8_1655
.LBB8_1652:                             ;   in Loop: Header=BB8_1655 Depth=1
	s_wait_alu 0xfffe
	s_or_b32 exec_lo, exec_lo, s3
	s_delay_alu instid0(VALU_DEP_1) | instskip(NEXT) | instid1(VALU_DEP_1)
	v_readfirstlane_b32 s3, v0
	s_cmp_eq_u32 s3, 0
	s_cbranch_scc1 .LBB8_1654
; %bb.1653:                             ;   in Loop: Header=BB8_1655 Depth=1
	s_sleep 1
	s_cbranch_execnz .LBB8_1655
	s_branch .LBB8_1657
.LBB8_1654:
	s_branch .LBB8_1657
.LBB8_1655:                             ; =>This Inner Loop Header: Depth=1
	v_mov_b32_e32 v0, 1
	s_and_saveexec_b32 s3, s0
	s_cbranch_execz .LBB8_1652
; %bb.1656:                             ;   in Loop: Header=BB8_1655 Depth=1
	global_load_b32 v0, v[8:9], off offset:20 scope:SCOPE_SYS
	s_wait_loadcnt 0x0
	global_inv scope:SCOPE_SYS
	v_and_b32_e32 v0, 1, v0
	s_branch .LBB8_1652
.LBB8_1657:
	global_load_b64 v[2:3], v[6:7], off
	s_and_saveexec_b32 s3, s0
	s_cbranch_execz .LBB8_1661
; %bb.1658:
	v_mov_b32_e32 v8, 0
	s_clause 0x2
	global_load_b64 v[0:1], v8, s[34:35] offset:40
	global_load_b64 v[9:10], v8, s[34:35] offset:24 scope:SCOPE_SYS
	global_load_b64 v[6:7], v8, s[34:35]
	s_wait_loadcnt 0x2
	v_add_co_u32 v11, vcc_lo, v0, 1
	s_wait_alu 0xfffd
	v_add_co_ci_u32_e32 v12, vcc_lo, 0, v1, vcc_lo
	s_delay_alu instid0(VALU_DEP_2) | instskip(SKIP_1) | instid1(VALU_DEP_2)
	v_add_co_u32 v4, vcc_lo, v11, s2
	s_wait_alu 0xfffd
	v_add_co_ci_u32_e32 v5, vcc_lo, s1, v12, vcc_lo
	s_delay_alu instid0(VALU_DEP_1) | instskip(SKIP_2) | instid1(VALU_DEP_1)
	v_cmp_eq_u64_e32 vcc_lo, 0, v[4:5]
	s_wait_alu 0xfffd
	v_dual_cndmask_b32 v5, v5, v12 :: v_dual_cndmask_b32 v4, v4, v11
	v_and_b32_e32 v1, v5, v1
	s_delay_alu instid0(VALU_DEP_2) | instskip(NEXT) | instid1(VALU_DEP_2)
	v_and_b32_e32 v0, v4, v0
	v_mul_lo_u32 v1, 24, v1
	s_delay_alu instid0(VALU_DEP_2) | instskip(SKIP_2) | instid1(VALU_DEP_3)
	v_mul_lo_u32 v11, 0, v0
	v_mul_hi_u32 v12, 24, v0
	v_mul_lo_u32 v0, 24, v0
	v_add_nc_u32_e32 v1, v1, v11
	s_wait_loadcnt 0x0
	s_delay_alu instid0(VALU_DEP_2) | instskip(SKIP_1) | instid1(VALU_DEP_3)
	v_add_co_u32 v0, vcc_lo, v6, v0
	v_mov_b32_e32 v6, v9
	v_add_nc_u32_e32 v1, v1, v12
	s_wait_alu 0xfffd
	s_delay_alu instid0(VALU_DEP_1)
	v_add_co_ci_u32_e32 v1, vcc_lo, v7, v1, vcc_lo
	v_mov_b32_e32 v7, v10
	global_store_b64 v[0:1], v[9:10], off
	global_wb scope:SCOPE_SYS
	s_wait_storecnt 0x0
	global_atomic_cmpswap_b64 v[6:7], v8, v[4:7], s[34:35] offset:24 th:TH_ATOMIC_RETURN scope:SCOPE_SYS
	s_wait_loadcnt 0x0
	v_cmp_ne_u64_e32 vcc_lo, v[6:7], v[9:10]
	s_and_b32 exec_lo, exec_lo, vcc_lo
	s_cbranch_execz .LBB8_1661
; %bb.1659:
	s_mov_b32 s0, 0
.LBB8_1660:                             ; =>This Inner Loop Header: Depth=1
	s_sleep 1
	global_store_b64 v[0:1], v[6:7], off
	global_wb scope:SCOPE_SYS
	s_wait_storecnt 0x0
	global_atomic_cmpswap_b64 v[9:10], v8, v[4:7], s[34:35] offset:24 th:TH_ATOMIC_RETURN scope:SCOPE_SYS
	s_wait_loadcnt 0x0
	v_cmp_eq_u64_e32 vcc_lo, v[9:10], v[6:7]
	v_dual_mov_b32 v6, v9 :: v_dual_mov_b32 v7, v10
	s_wait_alu 0xfffe
	s_or_b32 s0, vcc_lo, s0
	s_wait_alu 0xfffe
	s_and_not1_b32 exec_lo, exec_lo, s0
	s_cbranch_execnz .LBB8_1660
.LBB8_1661:
	s_wait_alu 0xfffe
	s_or_b32 exec_lo, exec_lo, s3
.LBB8_1662:
	v_readfirstlane_b32 s0, v52
	s_wait_loadcnt 0x0
	v_mov_b32_e32 v0, 0
	v_mov_b32_e32 v1, 0
	s_wait_alu 0xf1ff
	v_cmp_eq_u32_e64 s0, s0, v52
	s_delay_alu instid0(VALU_DEP_1)
	s_and_saveexec_b32 s1, s0
	s_cbranch_execz .LBB8_1668
; %bb.1663:
	v_mov_b32_e32 v4, 0
	s_mov_b32 s2, exec_lo
	global_load_b64 v[7:8], v4, s[34:35] offset:24 scope:SCOPE_SYS
	s_wait_loadcnt 0x0
	global_inv scope:SCOPE_SYS
	s_clause 0x1
	global_load_b64 v[0:1], v4, s[34:35] offset:40
	global_load_b64 v[5:6], v4, s[34:35]
	s_wait_loadcnt 0x1
	v_and_b32_e32 v1, v1, v8
	v_and_b32_e32 v0, v0, v7
	s_delay_alu instid0(VALU_DEP_2) | instskip(NEXT) | instid1(VALU_DEP_2)
	v_mul_lo_u32 v1, 24, v1
	v_mul_lo_u32 v9, 0, v0
	v_mul_hi_u32 v10, 24, v0
	v_mul_lo_u32 v0, 24, v0
	s_delay_alu instid0(VALU_DEP_3) | instskip(SKIP_1) | instid1(VALU_DEP_2)
	v_add_nc_u32_e32 v1, v1, v9
	s_wait_loadcnt 0x0
	v_add_co_u32 v0, vcc_lo, v5, v0
	s_delay_alu instid0(VALU_DEP_2) | instskip(SKIP_1) | instid1(VALU_DEP_1)
	v_add_nc_u32_e32 v1, v1, v10
	s_wait_alu 0xfffd
	v_add_co_ci_u32_e32 v1, vcc_lo, v6, v1, vcc_lo
	global_load_b64 v[5:6], v[0:1], off scope:SCOPE_SYS
	s_wait_loadcnt 0x0
	global_atomic_cmpswap_b64 v[0:1], v4, v[5:8], s[34:35] offset:24 th:TH_ATOMIC_RETURN scope:SCOPE_SYS
	s_wait_loadcnt 0x0
	global_inv scope:SCOPE_SYS
	v_cmpx_ne_u64_e64 v[0:1], v[7:8]
	s_cbranch_execz .LBB8_1667
; %bb.1664:
	s_mov_b32 s3, 0
.LBB8_1665:                             ; =>This Inner Loop Header: Depth=1
	s_sleep 1
	s_clause 0x1
	global_load_b64 v[5:6], v4, s[34:35] offset:40
	global_load_b64 v[9:10], v4, s[34:35]
	v_dual_mov_b32 v8, v1 :: v_dual_mov_b32 v7, v0
	s_wait_loadcnt 0x1
	s_delay_alu instid0(VALU_DEP_1) | instskip(NEXT) | instid1(VALU_DEP_2)
	v_and_b32_e32 v0, v5, v7
	v_and_b32_e32 v5, v6, v8
	s_wait_loadcnt 0x0
	s_delay_alu instid0(VALU_DEP_2) | instskip(NEXT) | instid1(VALU_DEP_1)
	v_mad_co_u64_u32 v[0:1], null, v0, 24, v[9:10]
	v_mad_co_u64_u32 v[5:6], null, v5, 24, v[1:2]
	s_delay_alu instid0(VALU_DEP_1)
	v_mov_b32_e32 v1, v5
	global_load_b64 v[5:6], v[0:1], off scope:SCOPE_SYS
	s_wait_loadcnt 0x0
	global_atomic_cmpswap_b64 v[0:1], v4, v[5:8], s[34:35] offset:24 th:TH_ATOMIC_RETURN scope:SCOPE_SYS
	s_wait_loadcnt 0x0
	global_inv scope:SCOPE_SYS
	v_cmp_eq_u64_e32 vcc_lo, v[0:1], v[7:8]
	s_wait_alu 0xfffe
	s_or_b32 s3, vcc_lo, s3
	s_wait_alu 0xfffe
	s_and_not1_b32 exec_lo, exec_lo, s3
	s_cbranch_execnz .LBB8_1665
; %bb.1666:
	s_or_b32 exec_lo, exec_lo, s3
.LBB8_1667:
	s_wait_alu 0xfffe
	s_or_b32 exec_lo, exec_lo, s2
.LBB8_1668:
	s_wait_alu 0xfffe
	s_or_b32 exec_lo, exec_lo, s1
	v_readfirstlane_b32 s2, v0
	v_mov_b32_e32 v5, 0
	v_readfirstlane_b32 s1, v1
	s_mov_b32 s3, exec_lo
	s_clause 0x1
	global_load_b64 v[10:11], v5, s[34:35] offset:40
	global_load_b128 v[6:9], v5, s[34:35]
	s_wait_loadcnt 0x1
	s_wait_alu 0xf1ff
	v_and_b32_e32 v0, s2, v10
	v_and_b32_e32 v1, s1, v11
	s_delay_alu instid0(VALU_DEP_2) | instskip(NEXT) | instid1(VALU_DEP_2)
	v_mul_lo_u32 v10, 0, v0
	v_mul_lo_u32 v4, 24, v1
	v_mul_hi_u32 v11, 24, v0
	v_mul_lo_u32 v12, 24, v0
	s_delay_alu instid0(VALU_DEP_3) | instskip(SKIP_1) | instid1(VALU_DEP_2)
	v_add_nc_u32_e32 v4, v4, v10
	s_wait_loadcnt 0x0
	v_add_co_u32 v10, vcc_lo, v6, v12
	s_delay_alu instid0(VALU_DEP_2) | instskip(SKIP_1) | instid1(VALU_DEP_1)
	v_add_nc_u32_e32 v4, v4, v11
	s_wait_alu 0xfffd
	v_add_co_ci_u32_e32 v11, vcc_lo, v7, v4, vcc_lo
	s_and_saveexec_b32 s4, s0
	s_cbranch_execz .LBB8_1670
; %bb.1669:
	s_wait_alu 0xfffe
	v_dual_mov_b32 v4, s3 :: v_dual_mov_b32 v15, 1
	v_dual_mov_b32 v14, 2 :: v_dual_mov_b32 v13, v5
	s_delay_alu instid0(VALU_DEP_2)
	v_mov_b32_e32 v12, v4
	global_store_b128 v[10:11], v[12:15], off offset:8
.LBB8_1670:
	s_wait_alu 0xfffe
	s_or_b32 exec_lo, exec_lo, s4
	v_lshlrev_b64_e32 v[0:1], 12, v[0:1]
	s_mov_b32 s4, 0
	v_and_or_b32 v2, 0xffffff1d, v2, 34
	s_wait_alu 0xfffe
	s_mov_b32 s7, s4
	s_mov_b32 s5, s4
	;; [unrolled: 1-line block ×3, first 2 shown]
	v_add_co_u32 v0, vcc_lo, v8, v0
	s_wait_alu 0xfffd
	v_add_co_ci_u32_e32 v1, vcc_lo, v9, v1, vcc_lo
	s_wait_alu 0xfffe
	v_dual_mov_b32 v4, 10 :: v_dual_mov_b32 v15, s7
	v_readfirstlane_b32 s10, v0
	s_delay_alu instid0(VALU_DEP_3)
	v_readfirstlane_b32 s11, v1
	v_dual_mov_b32 v14, s6 :: v_dual_mov_b32 v13, s5
	v_mov_b32_e32 v12, s4
	s_clause 0x3
	global_store_b128 v51, v[2:5], s[10:11]
	global_store_b128 v51, v[12:15], s[10:11] offset:16
	global_store_b128 v51, v[12:15], s[10:11] offset:32
	;; [unrolled: 1-line block ×3, first 2 shown]
	s_and_saveexec_b32 s3, s0
	s_cbranch_execz .LBB8_1678
; %bb.1671:
	v_mov_b32_e32 v8, 0
	s_mov_b32 s4, exec_lo
	s_clause 0x1
	global_load_b64 v[14:15], v8, s[34:35] offset:32 scope:SCOPE_SYS
	global_load_b64 v[0:1], v8, s[34:35] offset:40
	v_dual_mov_b32 v13, s1 :: v_dual_mov_b32 v12, s2
	s_wait_loadcnt 0x0
	v_and_b32_e32 v1, s1, v1
	v_and_b32_e32 v0, s2, v0
	s_delay_alu instid0(VALU_DEP_2) | instskip(NEXT) | instid1(VALU_DEP_2)
	v_mul_lo_u32 v1, 24, v1
	v_mul_lo_u32 v2, 0, v0
	v_mul_hi_u32 v3, 24, v0
	v_mul_lo_u32 v0, 24, v0
	s_delay_alu instid0(VALU_DEP_3) | instskip(NEXT) | instid1(VALU_DEP_2)
	v_add_nc_u32_e32 v1, v1, v2
	v_add_co_u32 v4, vcc_lo, v6, v0
	s_delay_alu instid0(VALU_DEP_2) | instskip(SKIP_1) | instid1(VALU_DEP_1)
	v_add_nc_u32_e32 v1, v1, v3
	s_wait_alu 0xfffd
	v_add_co_ci_u32_e32 v5, vcc_lo, v7, v1, vcc_lo
	global_store_b64 v[4:5], v[14:15], off
	global_wb scope:SCOPE_SYS
	s_wait_storecnt 0x0
	global_atomic_cmpswap_b64 v[2:3], v8, v[12:15], s[34:35] offset:32 th:TH_ATOMIC_RETURN scope:SCOPE_SYS
	s_wait_loadcnt 0x0
	v_cmpx_ne_u64_e64 v[2:3], v[14:15]
	s_cbranch_execz .LBB8_1674
; %bb.1672:
	s_mov_b32 s5, 0
.LBB8_1673:                             ; =>This Inner Loop Header: Depth=1
	v_dual_mov_b32 v0, s2 :: v_dual_mov_b32 v1, s1
	s_sleep 1
	global_store_b64 v[4:5], v[2:3], off
	global_wb scope:SCOPE_SYS
	s_wait_storecnt 0x0
	global_atomic_cmpswap_b64 v[0:1], v8, v[0:3], s[34:35] offset:32 th:TH_ATOMIC_RETURN scope:SCOPE_SYS
	s_wait_loadcnt 0x0
	v_cmp_eq_u64_e32 vcc_lo, v[0:1], v[2:3]
	v_dual_mov_b32 v3, v1 :: v_dual_mov_b32 v2, v0
	s_wait_alu 0xfffe
	s_or_b32 s5, vcc_lo, s5
	s_wait_alu 0xfffe
	s_and_not1_b32 exec_lo, exec_lo, s5
	s_cbranch_execnz .LBB8_1673
.LBB8_1674:
	s_wait_alu 0xfffe
	s_or_b32 exec_lo, exec_lo, s4
	v_mov_b32_e32 v3, 0
	s_mov_b32 s5, exec_lo
	s_mov_b32 s4, exec_lo
	s_wait_alu 0xfffe
	v_mbcnt_lo_u32_b32 v2, s5, 0
	global_load_b64 v[0:1], v3, s[34:35] offset:16
	v_cmpx_eq_u32_e32 0, v2
	s_cbranch_execz .LBB8_1676
; %bb.1675:
	s_bcnt1_i32_b32 s5, s5
	s_wait_alu 0xfffe
	v_mov_b32_e32 v2, s5
	global_wb scope:SCOPE_SYS
	s_wait_loadcnt 0x0
	global_atomic_add_u64 v[0:1], v[2:3], off offset:8 scope:SCOPE_SYS
.LBB8_1676:
	s_or_b32 exec_lo, exec_lo, s4
	s_wait_loadcnt 0x0
	global_load_b64 v[2:3], v[0:1], off offset:16
	s_wait_loadcnt 0x0
	v_cmp_eq_u64_e32 vcc_lo, 0, v[2:3]
	s_cbranch_vccnz .LBB8_1678
; %bb.1677:
	global_load_b32 v0, v[0:1], off offset:24
	s_wait_loadcnt 0x0
	v_dual_mov_b32 v1, 0 :: v_dual_and_b32 v4, 0xffffff, v0
	global_wb scope:SCOPE_SYS
	s_wait_storecnt 0x0
	global_store_b64 v[2:3], v[0:1], off scope:SCOPE_SYS
	v_readfirstlane_b32 m0, v4
	s_sendmsg sendmsg(MSG_INTERRUPT)
.LBB8_1678:
	s_wait_alu 0xfffe
	s_or_b32 exec_lo, exec_lo, s3
	s_branch .LBB8_1682
.LBB8_1679:                             ;   in Loop: Header=BB8_1682 Depth=1
	s_wait_alu 0xfffe
	s_or_b32 exec_lo, exec_lo, s3
	s_delay_alu instid0(VALU_DEP_1) | instskip(NEXT) | instid1(VALU_DEP_1)
	v_readfirstlane_b32 s3, v0
	s_cmp_eq_u32 s3, 0
	s_cbranch_scc1 .LBB8_1681
; %bb.1680:                             ;   in Loop: Header=BB8_1682 Depth=1
	s_sleep 1
	s_cbranch_execnz .LBB8_1682
	s_branch .LBB8_1684
.LBB8_1681:
	s_branch .LBB8_1684
.LBB8_1682:                             ; =>This Inner Loop Header: Depth=1
	v_mov_b32_e32 v0, 1
	s_and_saveexec_b32 s3, s0
	s_cbranch_execz .LBB8_1679
; %bb.1683:                             ;   in Loop: Header=BB8_1682 Depth=1
	global_load_b32 v0, v[10:11], off offset:20 scope:SCOPE_SYS
	s_wait_loadcnt 0x0
	global_inv scope:SCOPE_SYS
	v_and_b32_e32 v0, 1, v0
	s_branch .LBB8_1679
.LBB8_1684:
	s_and_saveexec_b32 s3, s0
	s_cbranch_execz .LBB8_1688
; %bb.1685:
	v_mov_b32_e32 v6, 0
	s_clause 0x2
	global_load_b64 v[2:3], v6, s[34:35] offset:40
	global_load_b64 v[7:8], v6, s[34:35] offset:24 scope:SCOPE_SYS
	global_load_b64 v[4:5], v6, s[34:35]
	s_wait_loadcnt 0x2
	v_add_co_u32 v9, vcc_lo, v2, 1
	s_wait_alu 0xfffd
	v_add_co_ci_u32_e32 v10, vcc_lo, 0, v3, vcc_lo
	s_delay_alu instid0(VALU_DEP_2) | instskip(SKIP_1) | instid1(VALU_DEP_2)
	v_add_co_u32 v0, vcc_lo, v9, s2
	s_wait_alu 0xfffd
	v_add_co_ci_u32_e32 v1, vcc_lo, s1, v10, vcc_lo
	s_delay_alu instid0(VALU_DEP_1) | instskip(SKIP_2) | instid1(VALU_DEP_1)
	v_cmp_eq_u64_e32 vcc_lo, 0, v[0:1]
	s_wait_alu 0xfffd
	v_dual_cndmask_b32 v1, v1, v10 :: v_dual_cndmask_b32 v0, v0, v9
	v_and_b32_e32 v3, v1, v3
	s_delay_alu instid0(VALU_DEP_2) | instskip(NEXT) | instid1(VALU_DEP_2)
	v_and_b32_e32 v2, v0, v2
	v_mul_lo_u32 v3, 24, v3
	s_delay_alu instid0(VALU_DEP_2) | instskip(SKIP_2) | instid1(VALU_DEP_3)
	v_mul_lo_u32 v9, 0, v2
	v_mul_hi_u32 v10, 24, v2
	v_mul_lo_u32 v2, 24, v2
	v_add_nc_u32_e32 v3, v3, v9
	s_wait_loadcnt 0x0
	s_delay_alu instid0(VALU_DEP_2) | instskip(SKIP_1) | instid1(VALU_DEP_3)
	v_add_co_u32 v4, vcc_lo, v4, v2
	v_mov_b32_e32 v2, v7
	v_add_nc_u32_e32 v3, v3, v10
	s_wait_alu 0xfffd
	s_delay_alu instid0(VALU_DEP_1)
	v_add_co_ci_u32_e32 v5, vcc_lo, v5, v3, vcc_lo
	v_mov_b32_e32 v3, v8
	global_store_b64 v[4:5], v[7:8], off
	global_wb scope:SCOPE_SYS
	s_wait_storecnt 0x0
	global_atomic_cmpswap_b64 v[2:3], v6, v[0:3], s[34:35] offset:24 th:TH_ATOMIC_RETURN scope:SCOPE_SYS
	s_wait_loadcnt 0x0
	v_cmp_ne_u64_e32 vcc_lo, v[2:3], v[7:8]
	s_and_b32 exec_lo, exec_lo, vcc_lo
	s_cbranch_execz .LBB8_1688
; %bb.1686:
	s_mov_b32 s0, 0
.LBB8_1687:                             ; =>This Inner Loop Header: Depth=1
	s_sleep 1
	global_store_b64 v[4:5], v[2:3], off
	global_wb scope:SCOPE_SYS
	s_wait_storecnt 0x0
	global_atomic_cmpswap_b64 v[7:8], v6, v[0:3], s[34:35] offset:24 th:TH_ATOMIC_RETURN scope:SCOPE_SYS
	s_wait_loadcnt 0x0
	v_cmp_eq_u64_e32 vcc_lo, v[7:8], v[2:3]
	v_dual_mov_b32 v2, v7 :: v_dual_mov_b32 v3, v8
	s_wait_alu 0xfffe
	s_or_b32 s0, vcc_lo, s0
	s_wait_alu 0xfffe
	s_and_not1_b32 exec_lo, exec_lo, s0
	s_cbranch_execnz .LBB8_1687
.LBB8_1688:
	s_wait_alu 0xfffe
	s_or_b32 exec_lo, exec_lo, s3
	flat_load_b64 v[0:1], v[49:50]
	s_wait_loadcnt_dscnt 0x0
	flat_load_b32 v2, v[0:1]
	s_wait_loadcnt_dscnt 0x0
	v_add_nc_u32_e32 v2, 1, v2
	flat_store_b32 v[0:1], v2
.LBB8_1689:
	s_wait_alu 0xfffe
	s_or_b32 exec_lo, exec_lo, s37
	s_getpc_b64 s[0:1]
	s_wait_alu 0xfffe
	s_sext_i32_i16 s1, s1
	s_add_co_u32 s0, s0, _ZN8migraphx4test4failEv@rel32@lo+12
	s_wait_alu 0xfffe
	s_add_co_ci_u32 s1, s1, _ZN8migraphx4test4failEv@rel32@hi+24
	s_wait_alu 0xfffc
	s_swappc_b64 s[30:31], s[0:1]
	; divergent unreachable
.LBB8_1690:
	s_wait_alu 0xfffe
	s_or_b32 exec_lo, exec_lo, s36
	v_readlane_b32 s30, v41, 0
	v_readlane_b32 s31, v41, 1
	;; [unrolled: 1-line block ×3, first 2 shown]
	s_or_saveexec_b32 s1, -1
	scratch_load_b32 v41, off, s33          ; 4-byte Folded Reload
	s_wait_alu 0xfffe
	s_mov_b32 exec_lo, s1
	s_add_co_i32 s32, s32, -16
	s_mov_b32 s33, s0
	s_wait_loadcnt 0x0
	s_wait_alu 0xfffe
	s_setpc_b64 s[30:31]
.Lfunc_end8:
	.size	_ZN8migraphx4test12test_manager6failedINS0_10expressionINS0_14lhs_expressionIRiNS0_3nopEEEiNS0_5equalEEEPFvvEEEvRKT_PKcSG_SG_iT0_, .Lfunc_end8-_ZN8migraphx4test12test_manager6failedINS0_10expressionINS0_14lhs_expressionIRiNS0_3nopEEEiNS0_5equalEEEPFvvEEEvRKT_PKcSG_SG_iT0_
                                        ; -- End function
	.section	.AMDGPU.csdata,"",@progbits
; Function info:
; codeLenInByte = 81184
; NumSgprs: 46
; NumVgprs: 53
; ScratchSize: 32
; MemoryBound: 0
	.text
	.protected	gpu_test_kernel         ; -- Begin function gpu_test_kernel
	.globl	gpu_test_kernel
	.p2align	8
	.type	gpu_test_kernel,@function
gpu_test_kernel:                        ; @gpu_test_kernel
; %bb.0:
	s_mov_b64 s[46:47], s[0:1]
	s_clause 0x1
	s_load_b64 s[0:1], s[2:3], 0x8
	s_load_b32 s52, s[2:3], 0x0
	v_mov_b32_e32 v42, v0
	s_mov_b64 s[44:45], s[2:3]
	s_mov_b64 s[50:51], src_private_base
	s_mov_b32 s32, 64
	s_wait_kmcnt 0x0
	v_dual_mov_b32 v0, s0 :: v_dual_mov_b32 v1, s1
	s_cmp_lt_i32 s52, 3
	s_mov_b32 s0, -1
	scratch_store_b64 off, v[0:1], off offset:40
	s_cbranch_scc1 .LBB9_12
; %bb.1:
	s_cmp_lt_i32 s52, 4
	s_cbranch_scc1 .LBB9_9
; %bb.2:
	s_cmp_lt_i32 s52, 5
	s_cbranch_scc1 .LBB9_6
; %bb.3:
	s_cmp_eq_u32 s52, 5
	s_cbranch_scc0 .LBB9_5
; %bb.4:
	s_mov_b64 s[0:1], src_private_base
	s_mov_b32 s0, 16
	s_add_nc_u64 s[8:9], s[44:45], 16
	s_wait_alu 0xfffe
	s_add_nc_u64 s[2:3], s[0:1], 4
	v_mov_b32_e32 v0, 1
	v_dual_mov_b32 v2, s2 :: v_dual_mov_b32 v31, v42
	v_mov_b32_e32 v3, s3
	s_getpc_b64 s[2:3]
	s_wait_alu 0xfffe
	s_sext_i32_i16 s3, s3
	s_add_co_u32 s2, s2, .str.28@rel32@lo+12
	s_wait_alu 0xfffe
	s_add_co_ci_u32 s3, s3, .str.28@rel32@hi+24
	v_mov_b32_e32 v1, v0
	s_getpc_b64 s[4:5]
	s_sext_i32_i16 s5, s5
	s_add_co_u32 s4, s4, __PRETTY_FUNCTION__._ZL18array_multi_simpleRN8migraphx4test12test_managerE@rel32@lo+8
	s_add_co_ci_u32 s5, s5, __PRETTY_FUNCTION__._ZL18array_multi_simpleRN8migraphx4test12test_managerE@rel32@hi+16
	s_wait_alu 0xfffe
	v_dual_mov_b32 v5, s3 :: v_dual_mov_b32 v6, s4
	s_clause 0x2
	scratch_store_b64 off, v[0:1], off offset:16
	scratch_store_b64 off, v[2:3], off
	scratch_store_b32 off, v0, off offset:8
	v_dual_mov_b32 v0, 40 :: v_dual_mov_b32 v1, s51
	v_dual_mov_b32 v2, 0 :: v_dual_mov_b32 v3, s1
	v_dual_mov_b32 v4, s2 :: v_dual_mov_b32 v7, s5
	v_mov_b32_e32 v8, 0x384
	s_getpc_b64 s[6:7]
	s_sext_i32_i16 s7, s7
	s_add_co_u32 s6, s6, _ZN8migraphx4test12test_manager6failedINS0_10expressionINS0_14lhs_expressionIRiNS0_3nopEEEiNS0_5equalEEEPFvvEEEvRKT_PKcSG_SG_iT0_@rel32@lo+8
	s_add_co_ci_u32 s7, s7, _ZN8migraphx4test12test_manager6failedINS0_10expressionINS0_14lhs_expressionIRiNS0_3nopEEEiNS0_5equalEEEPFvvEEEvRKT_PKcSG_SG_iT0_@rel32@hi+16
	s_delay_alu instid0(SALU_CYCLE_1)
	s_swappc_b64 s[30:31], s[6:7]
.LBB9_5:
	s_mov_b32 s0, 0
.LBB9_6:
	s_wait_alu 0xfffe
	s_and_not1_b32 vcc_lo, exec_lo, s0
	s_wait_alu 0xfffe
	s_cbranch_vccnz .LBB9_8
; %bb.7:
	s_mov_b64 s[54:55], src_private_base
	s_mov_b32 s54, 16
	v_dual_mov_b32 v43, 0 :: v_dual_mov_b32 v44, 2
	s_wait_alu 0xfffe
	s_add_nc_u64 s[0:1], s[54:55], 4
	s_wait_alu 0xfffe
	v_dual_mov_b32 v45, 3 :: v_dual_mov_b32 v0, s0
	v_mov_b32_e32 v1, s1
	s_getpc_b64 s[0:1]
	s_wait_alu 0xfffe
	s_sext_i32_i16 s1, s1
	s_add_co_u32 s0, s0, .str.25@rel32@lo+12
	s_wait_alu 0xfffe
	s_add_co_ci_u32 s1, s1, .str.25@rel32@hi+24
	s_getpc_b64 s[56:57]
	s_wait_alu 0xfffe
	s_sext_i32_i16 s57, s57
	s_add_co_u32 s56, s56, __PRETTY_FUNCTION__._ZL18array_multi_methodRN8migraphx4test12test_managerE@rel32@lo+12
	s_wait_alu 0xfffe
	s_add_co_ci_u32 s57, s57, __PRETTY_FUNCTION__._ZL18array_multi_methodRN8migraphx4test12test_managerE@rel32@hi+24
	s_clause 0x2
	scratch_store_b96 off, v[43:45], off offset:16
	scratch_store_b64 off, v[0:1], off
	scratch_store_b32 off, v44, off offset:8
	v_dual_mov_b32 v0, 40 :: v_dual_mov_b32 v31, v42
	v_dual_mov_b32 v2, 0 :: v_dual_mov_b32 v1, s51
	v_dual_mov_b32 v4, s0 :: v_dual_mov_b32 v3, s55
	v_dual_mov_b32 v6, s56 :: v_dual_mov_b32 v5, s1
	s_wait_alu 0xfffe
	v_dual_mov_b32 v8, 0x375 :: v_dual_mov_b32 v7, s57
	s_add_nc_u64 s[48:49], s[44:45], 16
	s_getpc_b64 s[58:59]
	s_wait_alu 0xfffe
	s_sext_i32_i16 s59, s59
	s_add_co_u32 s58, s58, _ZN8migraphx4test12test_manager6failedINS0_10expressionINS0_14lhs_expressionIRiNS0_3nopEEEiNS0_5equalEEEPFvvEEEvRKT_PKcSG_SG_iT0_@rel32@lo+12
	s_wait_alu 0xfffe
	s_add_co_ci_u32 s59, s59, _ZN8migraphx4test12test_manager6failedINS0_10expressionINS0_14lhs_expressionIRiNS0_3nopEEEiNS0_5equalEEEPFvvEEEvRKT_PKcSG_SG_iT0_@rel32@hi+24
	s_mov_b64 s[8:9], s[48:49]
	s_wait_alu 0xfffe
	s_swappc_b64 s[30:31], s[58:59]
	s_add_nc_u64 s[0:1], s[54:55], 8
	s_wait_alu 0xfffe
	v_dual_mov_b32 v31, v42 :: v_dual_mov_b32 v0, s0
	v_mov_b32_e32 v1, s1
	s_getpc_b64 s[0:1]
	s_wait_alu 0xfffe
	s_sext_i32_i16 s1, s1
	s_add_co_u32 s0, s0, .str.26@rel32@lo+12
	s_wait_alu 0xfffe
	s_add_co_ci_u32 s1, s1, .str.26@rel32@hi+24
	v_dual_mov_b32 v3, s55 :: v_dual_mov_b32 v4, s0
	s_clause 0x1
	scratch_store_b64 off, v[0:1], off
	scratch_store_b32 off, v45, off offset:8
	v_dual_mov_b32 v0, 40 :: v_dual_mov_b32 v1, s51
	s_wait_alu 0xfffe
	v_dual_mov_b32 v2, 0 :: v_dual_mov_b32 v5, s1
	v_dual_mov_b32 v6, s56 :: v_dual_mov_b32 v7, s57
	v_mov_b32_e32 v8, 0x376
	s_mov_b64 s[8:9], s[48:49]
	s_wait_alu 0xfffe
	s_swappc_b64 s[30:31], s[58:59]
.LBB9_8:
	s_mov_b32 s0, 0
.LBB9_9:
	s_wait_alu 0xfffe
	s_and_not1_b32 vcc_lo, exec_lo, s0
	s_wait_alu 0xfffe
	s_cbranch_vccnz .LBB9_11
; %bb.10:
	s_mov_b64 s[54:55], src_private_base
	s_mov_b32 s54, 16
	v_dual_mov_b32 v43, 1 :: v_dual_mov_b32 v44, 2
	s_wait_alu 0xfffe
	s_add_nc_u64 s[0:1], s[54:55], 4
	s_wait_alu 0xfffe
	v_dual_mov_b32 v45, 3 :: v_dual_mov_b32 v0, s0
	v_mov_b32_e32 v1, s1
	s_getpc_b64 s[0:1]
	s_wait_alu 0xfffe
	s_sext_i32_i16 s1, s1
	s_add_co_u32 s0, s0, .str.25@rel32@lo+12
	s_wait_alu 0xfffe
	s_add_co_ci_u32 s1, s1, .str.25@rel32@hi+24
	s_getpc_b64 s[56:57]
	s_wait_alu 0xfffe
	s_sext_i32_i16 s57, s57
	s_add_co_u32 s56, s56, __PRETTY_FUNCTION__._ZL23array_carry_no_overflowRN8migraphx4test12test_managerE@rel32@lo+12
	s_wait_alu 0xfffe
	s_add_co_ci_u32 s57, s57, __PRETTY_FUNCTION__._ZL23array_carry_no_overflowRN8migraphx4test12test_managerE@rel32@hi+24
	s_clause 0x2
	scratch_store_b96 off, v[43:45], off offset:16
	scratch_store_b64 off, v[0:1], off
	scratch_store_b32 off, v44, off offset:8
	v_dual_mov_b32 v0, 40 :: v_dual_mov_b32 v31, v42
	v_dual_mov_b32 v2, 0 :: v_dual_mov_b32 v1, s51
	;; [unrolled: 1-line block ×4, first 2 shown]
	s_wait_alu 0xfffe
	v_dual_mov_b32 v8, 0x361 :: v_dual_mov_b32 v7, s57
	s_add_nc_u64 s[48:49], s[44:45], 16
	s_getpc_b64 s[58:59]
	s_wait_alu 0xfffe
	s_sext_i32_i16 s59, s59
	s_add_co_u32 s58, s58, _ZN8migraphx4test12test_manager6failedINS0_10expressionINS0_14lhs_expressionIRiNS0_3nopEEEiNS0_5equalEEEPFvvEEEvRKT_PKcSG_SG_iT0_@rel32@lo+12
	s_wait_alu 0xfffe
	s_add_co_ci_u32 s59, s59, _ZN8migraphx4test12test_manager6failedINS0_10expressionINS0_14lhs_expressionIRiNS0_3nopEEEiNS0_5equalEEEPFvvEEEvRKT_PKcSG_SG_iT0_@rel32@hi+24
	s_mov_b64 s[8:9], s[48:49]
	s_wait_alu 0xfffe
	s_swappc_b64 s[30:31], s[58:59]
	s_add_nc_u64 s[0:1], s[54:55], 8
	s_wait_alu 0xfffe
	v_dual_mov_b32 v31, v42 :: v_dual_mov_b32 v0, s0
	v_mov_b32_e32 v1, s1
	s_getpc_b64 s[0:1]
	s_wait_alu 0xfffe
	s_sext_i32_i16 s1, s1
	s_add_co_u32 s0, s0, .str.26@rel32@lo+12
	s_wait_alu 0xfffe
	s_add_co_ci_u32 s1, s1, .str.26@rel32@hi+24
	v_dual_mov_b32 v3, s55 :: v_dual_mov_b32 v4, s0
	s_clause 0x1
	scratch_store_b64 off, v[0:1], off
	scratch_store_b32 off, v45, off offset:8
	v_dual_mov_b32 v0, 40 :: v_dual_mov_b32 v1, s51
	s_wait_alu 0xfffe
	v_dual_mov_b32 v2, 0 :: v_dual_mov_b32 v5, s1
	v_dual_mov_b32 v6, s56 :: v_dual_mov_b32 v7, s57
	v_mov_b32_e32 v8, 0x362
	s_mov_b64 s[8:9], s[48:49]
	s_wait_alu 0xfffe
	s_swappc_b64 s[30:31], s[58:59]
.LBB9_11:
	s_mov_b32 s0, 0
.LBB9_12:
	s_wait_alu 0xfffe
	s_and_not1_b32 vcc_lo, exec_lo, s0
	s_wait_alu 0xfffe
	s_cbranch_vccnz .LBB9_31
; %bb.13:
	s_load_b64 s[0:1], s[46:47], 0x4
	v_and_b32_e32 v0, 0x3ff, v42
	v_bfe_u32 v1, v42, 10, 10
	v_bfe_u32 v2, v42, 20, 10
	s_wait_kmcnt 0x0
	s_lshr_b32 s0, s0, 16
	s_delay_alu instid0(VALU_DEP_2)
	v_mul_u32_u24_e32 v1, s1, v1
	s_wait_alu 0xfffe
	s_mul_i32 s0, s0, s1
	s_cmp_lt_i32 s52, 1
	s_wait_alu 0xfffe
	v_mul_lo_u32 v0, s0, v0
	s_mov_b32 s0, -1
	s_delay_alu instid0(VALU_DEP_1)
	v_add3_u32 v43, v0, v1, v2
	s_cbranch_scc1 .LBB9_29
; %bb.14:
	s_cmp_gt_i32 s52, 1
	s_cbranch_scc0 .LBB9_16
; %bb.15:
	s_mov_b64 s[48:49], src_private_base
	s_mov_b32 s48, 16
	v_dual_mov_b32 v44, 6 :: v_dual_mov_b32 v45, 7
	s_wait_alu 0xfffe
	s_add_nc_u64 s[0:1], s[48:49], 4
	v_mov_b32_e32 v46, 5
	s_wait_alu 0xfffe
	v_dual_mov_b32 v0, s0 :: v_dual_mov_b32 v31, v42
	v_mov_b32_e32 v1, s1
	s_getpc_b64 s[0:1]
	s_wait_alu 0xfffe
	s_sext_i32_i16 s1, s1
	s_add_co_u32 s0, s0, .str.21@rel32@lo+12
	s_wait_alu 0xfffe
	s_add_co_ci_u32 s1, s1, .str.21@rel32@hi+24
	s_getpc_b64 s[54:55]
	s_wait_alu 0xfffe
	s_sext_i32_i16 s55, s55
	s_add_co_u32 s54, s54, __PRETTY_FUNCTION__._ZL18array_carry_methodRN8migraphx4test12test_managerE@rel32@lo+12
	s_wait_alu 0xfffe
	s_add_co_ci_u32 s55, s55, __PRETTY_FUNCTION__._ZL18array_carry_methodRN8migraphx4test12test_managerE@rel32@hi+24
	s_clause 0x2
	scratch_store_b96 off, v[44:46], off offset:16
	scratch_store_b64 off, v[0:1], off
	scratch_store_b32 off, v45, off offset:8
	v_dual_mov_b32 v0, 40 :: v_dual_mov_b32 v1, s51
	v_dual_mov_b32 v2, 0 :: v_dual_mov_b32 v3, s49
	;; [unrolled: 1-line block ×3, first 2 shown]
	s_wait_alu 0xfffe
	v_dual_mov_b32 v6, s54 :: v_dual_mov_b32 v7, s55
	v_mov_b32_e32 v8, 0x355
	s_add_nc_u64 s[46:47], s[44:45], 16
	s_getpc_b64 s[56:57]
	s_wait_alu 0xfffe
	s_sext_i32_i16 s57, s57
	s_add_co_u32 s56, s56, _ZN8migraphx4test12test_manager6failedINS0_10expressionINS0_14lhs_expressionIRiNS0_3nopEEEiNS0_5equalEEEPFvvEEEvRKT_PKcSG_SG_iT0_@rel32@lo+12
	s_wait_alu 0xfffe
	s_add_co_ci_u32 s57, s57, _ZN8migraphx4test12test_manager6failedINS0_10expressionINS0_14lhs_expressionIRiNS0_3nopEEEiNS0_5equalEEEPFvvEEEvRKT_PKcSG_SG_iT0_@rel32@hi+24
	s_mov_b64 s[8:9], s[46:47]
	s_wait_alu 0xfffe
	s_swappc_b64 s[30:31], s[56:57]
	s_add_nc_u64 s[0:1], s[48:49], 8
	s_wait_alu 0xfffe
	v_dual_mov_b32 v31, v42 :: v_dual_mov_b32 v0, s0
	v_mov_b32_e32 v1, s1
	s_getpc_b64 s[0:1]
	s_wait_alu 0xfffe
	s_sext_i32_i16 s1, s1
	s_add_co_u32 s0, s0, .str.22@rel32@lo+12
	s_wait_alu 0xfffe
	s_add_co_ci_u32 s1, s1, .str.22@rel32@hi+24
	v_dual_mov_b32 v3, s49 :: v_dual_mov_b32 v4, s0
	s_clause 0x1
	scratch_store_b64 off, v[0:1], off
	scratch_store_b32 off, v46, off offset:8
	v_dual_mov_b32 v0, 40 :: v_dual_mov_b32 v1, s51
	s_wait_alu 0xfffe
	v_dual_mov_b32 v2, 0 :: v_dual_mov_b32 v5, s1
	v_dual_mov_b32 v6, s54 :: v_dual_mov_b32 v7, s55
	v_mov_b32_e32 v8, 0x356
	s_mov_b64 s[8:9], s[46:47]
	s_wait_alu 0xfffe
	s_swappc_b64 s[30:31], s[56:57]
	s_mov_b32 s0, 0
.LBB9_16:
	s_wait_alu 0xfffe
	s_and_not1_b32 vcc_lo, exec_lo, s0
	s_wait_alu 0xfffe
	s_cbranch_vccnz .LBB9_28
; %bb.17:
	v_dual_mov_b32 v5, 2 :: v_dual_mov_b32 v6, 3
	s_mov_b64 s[0:1], src_private_base
	v_dual_mov_b32 v4, 1 :: v_dual_mov_b32 v9, 4
	s_wait_alu 0xfffe
	s_delay_alu instid0(VALU_DEP_2)
	v_dual_mov_b32 v1, s1 :: v_dual_mov_b32 v8, v6
	v_dual_mov_b32 v7, v5 :: v_dual_mov_b32 v0, 28
	;; [unrolled: 1-line block ×3, first 2 shown]
	s_getpc_b64 s[2:3]
	s_wait_alu 0xfffe
	s_sext_i32_i16 s3, s3
	s_add_co_u32 s2, s2, .str.17@rel32@lo+12
	s_wait_alu 0xfffe
	s_add_co_ci_u32 s3, s3, .str.17@rel32@hi+24
	s_clause 0x2
	scratch_store_b96 off, v[4:6], off offset:16
	scratch_store_b96 off, v[7:9], off offset:28
	scratch_store_b128 off, v[0:3], off
	v_dual_mov_b32 v31, v42 :: v_dual_mov_b32 v0, 40
	v_dual_mov_b32 v1, s51 :: v_dual_mov_b32 v2, 0
	s_wait_alu 0xfffe
	v_dual_mov_b32 v4, s2 :: v_dual_mov_b32 v5, s3
	v_mov_b32_e32 v6, 0x344
	s_add_nc_u64 s[46:47], s[44:45], 16
	s_getpc_b64 s[4:5]
	s_wait_alu 0xfffe
	s_sext_i32_i16 s5, s5
	s_add_co_u32 s4, s4, _ZN8migraphx4test12test_manager6failedINS0_10expressionINS0_14lhs_expressionIRNS_5arrayIiLj3EEENS0_3nopEEES7_NS0_18greater_than_equalEEEPFvvEEEvRKT_PKcSI_SI_iT0_@rel32@lo+12
	s_wait_alu 0xfffe
	s_add_co_ci_u32 s5, s5, _ZN8migraphx4test12test_manager6failedINS0_10expressionINS0_14lhs_expressionIRNS_5arrayIiLj3EEENS0_3nopEEES7_NS0_18greater_than_equalEEEPFvvEEEvRKT_PKcSI_SI_iT0_@rel32@hi+24
	s_mov_b64 s[8:9], s[46:47]
	s_wait_alu 0xfffe
	s_swappc_b64 s[30:31], s[4:5]
	s_clause 0x1
	scratch_load_b32 v0, off, off offset:28
	scratch_load_b32 v1, off, off offset:16
	s_mov_b32 s2, exec_lo
                                        ; implicit-def: $sgpr0
	s_wait_loadcnt 0x0
	v_cmp_ge_i32_e64 s1, v0, v1
	v_cmpx_lt_i32_e64 v0, v1
	s_cbranch_execz .LBB9_21
; %bb.18:
	s_clause 0x1
	scratch_load_b32 v2, off, off offset:32
	scratch_load_b32 v3, off, off offset:20
	s_mov_b32 s4, exec_lo
                                        ; implicit-def: $sgpr0
	s_wait_loadcnt 0x0
	v_cmp_ge_i32_e64 s3, v2, v3
	v_cmpx_lt_i32_e64 v2, v3
	s_cbranch_execz .LBB9_20
; %bb.19:
	s_clause 0x1
	scratch_load_b32 v2, off, off offset:36
	scratch_load_b32 v3, off, off offset:24
	s_and_not1_b32 s3, s3, exec_lo
	s_mov_b32 s0, 0
	s_wait_loadcnt 0x0
	v_cmp_ge_i32_e32 vcc_lo, v2, v3
	s_and_b32 s5, vcc_lo, exec_lo
	s_wait_alu 0xfffe
	s_or_b32 s3, s3, s5
.LBB9_20:
	s_wait_alu 0xfffe
	s_or_b32 exec_lo, exec_lo, s4
	s_delay_alu instid0(SALU_CYCLE_1)
	s_and_not1_b32 s1, s1, exec_lo
	s_and_b32 s3, s3, exec_lo
	s_wait_alu 0xfffe
	s_or_b32 s1, s1, s3
.LBB9_21:
	s_wait_alu 0xfffe
	s_or_b32 exec_lo, exec_lo, s2
	s_and_saveexec_b32 s2, s1
	s_cbranch_execz .LBB9_27
; %bb.22:
	s_mov_b32 s3, -1
	s_mov_b32 s1, exec_lo
	v_cmpx_eq_u32_e64 v1, v0
	s_cbranch_execz .LBB9_26
; %bb.23:
	s_clause 0x1
	scratch_load_b32 v0, off, off offset:20
	scratch_load_b32 v1, off, off offset:32
	s_mov_b32 s4, -1
	s_mov_b32 s3, exec_lo
	s_wait_loadcnt 0x0
	v_cmpx_eq_u32_e64 v0, v1
	s_cbranch_execz .LBB9_25
; %bb.24:
	s_clause 0x1
	scratch_load_b32 v0, off, off offset:24
	scratch_load_b32 v1, off, off offset:36
	s_wait_loadcnt 0x0
	v_cmp_ne_u32_e32 vcc_lo, v0, v1
	s_or_not1_b32 s4, vcc_lo, exec_lo
.LBB9_25:
	s_wait_alu 0xfffe
	s_or_b32 exec_lo, exec_lo, s3
	s_delay_alu instid0(SALU_CYCLE_1)
	s_or_not1_b32 s3, s4, exec_lo
.LBB9_26:
	s_wait_alu 0xfffe
	s_or_b32 exec_lo, exec_lo, s1
	s_delay_alu instid0(SALU_CYCLE_1)
	s_and_not1_b32 s0, s0, exec_lo
	s_and_b32 s1, s3, exec_lo
	s_wait_alu 0xfffe
	s_or_b32 s0, s0, s1
.LBB9_27:
	s_wait_alu 0xfffe
	s_or_b32 exec_lo, exec_lo, s2
	v_cndmask_b32_e64 v0, 0, 1, s0
	s_getpc_b64 s[2:3]
	s_wait_alu 0xfffe
	s_sext_i32_i16 s3, s3
	s_add_co_u32 s2, s2, .str.18@rel32@lo+12
	s_wait_alu 0xfffe
	s_add_co_ci_u32 s3, s3, .str.18@rel32@hi+24
	s_mov_b64 s[0:1], src_shared_base
	s_getpc_b64 s[4:5]
	s_wait_alu 0xfffe
	s_sext_i32_i16 s5, s5
	s_add_co_u32 s4, s4, __PRETTY_FUNCTION__._ZL19array_greater_equalRN8migraphx4test12test_managerE@rel32@lo+12
	s_wait_alu 0xfffe
	s_add_co_ci_u32 s5, s5, __PRETTY_FUNCTION__._ZL19array_greater_equalRN8migraphx4test12test_managerE@rel32@hi+24
	v_mov_b32_e32 v31, v42
	ds_store_b8 v43, v0
	v_dual_mov_b32 v0, 40 :: v_dual_mov_b32 v1, s51
	v_dual_mov_b32 v2, v43 :: v_dual_mov_b32 v3, s1
	;; [unrolled: 1-line block ×3, first 2 shown]
	s_wait_alu 0xfffe
	v_dual_mov_b32 v6, s4 :: v_dual_mov_b32 v7, s5
	v_mov_b32_e32 v8, 0x345
	s_mov_b64 s[8:9], s[46:47]
	s_getpc_b64 s[6:7]
	s_wait_alu 0xfffe
	s_sext_i32_i16 s7, s7
	s_add_co_u32 s6, s6, _ZN8migraphx4test12test_manager6failedINS0_14lhs_expressionIbNS0_3nopEEEPFvvEEEvRKT_PKcSC_SC_iT0_@rel32@lo+12
	s_wait_alu 0xfffe
	s_add_co_ci_u32 s7, s7, _ZN8migraphx4test12test_manager6failedINS0_14lhs_expressionIbNS0_3nopEEEPFvvEEEvRKT_PKcSC_SC_iT0_@rel32@hi+24
	s_wait_alu 0xfffe
	s_swappc_b64 s[30:31], s[6:7]
.LBB9_28:
	s_mov_b32 s0, 0
.LBB9_29:
	s_wait_alu 0xfffe
	s_and_not1_b32 vcc_lo, exec_lo, s0
	s_wait_alu 0xfffe
	s_cbranch_vccnz .LBB9_31
; %bb.30:
	s_cmp_lg_u32 s52, 0
	s_cbranch_scc0 .LBB9_32
.LBB9_31:
	s_endpgm
.LBB9_32:
	v_dual_mov_b32 v0, 1 :: v_dual_mov_b32 v31, v42
	s_getpc_b64 s[2:3]
	s_wait_alu 0xfffe
	s_sext_i32_i16 s3, s3
	s_add_co_u32 s2, s2, .str.3@rel32@lo+12
	s_wait_alu 0xfffe
	s_add_co_ci_u32 s3, s3, .str.3@rel32@hi+24
	s_mov_b64 s[0:1], src_shared_base
	s_getpc_b64 s[4:5]
	s_wait_alu 0xfffe
	s_sext_i32_i16 s5, s5
	s_add_co_u32 s4, s4, __PRETTY_FUNCTION__._ZL16array_less_equalRN8migraphx4test12test_managerE@rel32@lo+12
	s_wait_alu 0xfffe
	s_add_co_ci_u32 s5, s5, __PRETTY_FUNCTION__._ZL16array_less_equalRN8migraphx4test12test_managerE@rel32@hi+24
	v_dual_mov_b32 v1, s51 :: v_dual_add_nc_u32 v2, 0x400, v43
	ds_store_b8 v43, v0 offset:1024
	v_dual_mov_b32 v0, 40 :: v_dual_mov_b32 v3, s1
	v_dual_mov_b32 v4, s2 :: v_dual_mov_b32 v5, s3
	s_wait_alu 0xfffe
	v_dual_mov_b32 v6, s4 :: v_dual_mov_b32 v7, s5
	v_mov_b32_e32 v8, 0x339
	s_add_nc_u64 s[8:9], s[44:45], 16
	s_getpc_b64 s[6:7]
	s_wait_alu 0xfffe
	s_sext_i32_i16 s7, s7
	s_add_co_u32 s6, s6, _ZN8migraphx4test12test_manager6failedINS0_14lhs_expressionIbNS0_3nopEEEPFvvEEEvRKT_PKcSC_SC_iT0_@rel32@lo+12
	s_wait_alu 0xfffe
	s_add_co_ci_u32 s7, s7, _ZN8migraphx4test12test_manager6failedINS0_14lhs_expressionIbNS0_3nopEEEPFvvEEEvRKT_PKcSC_SC_iT0_@rel32@hi+24
	s_wait_alu 0xfffe
	s_swappc_b64 s[30:31], s[6:7]
	s_endpgm
	.section	.rodata,"a",@progbits
	.p2align	6, 0x0
	.amdhsa_kernel gpu_test_kernel
		.amdhsa_group_segment_fixed_size 2048
		.amdhsa_private_segment_fixed_size 96
		.amdhsa_kernarg_size 272
		.amdhsa_user_sgpr_count 4
		.amdhsa_user_sgpr_dispatch_ptr 1
		.amdhsa_user_sgpr_queue_ptr 0
		.amdhsa_user_sgpr_kernarg_segment_ptr 1
		.amdhsa_user_sgpr_dispatch_id 0
		.amdhsa_user_sgpr_private_segment_size 0
		.amdhsa_wavefront_size32 1
		.amdhsa_uses_dynamic_stack 0
		.amdhsa_enable_private_segment 1
		.amdhsa_system_sgpr_workgroup_id_x 1
		.amdhsa_system_sgpr_workgroup_id_y 1
		.amdhsa_system_sgpr_workgroup_id_z 1
		.amdhsa_system_sgpr_workgroup_info 0
		.amdhsa_system_vgpr_workitem_id 2
		.amdhsa_next_free_vgpr 82
		.amdhsa_next_free_sgpr 60
		.amdhsa_reserve_vcc 1
		.amdhsa_float_round_mode_32 0
		.amdhsa_float_round_mode_16_64 0
		.amdhsa_float_denorm_mode_32 3
		.amdhsa_float_denorm_mode_16_64 3
		.amdhsa_fp16_overflow 0
		.amdhsa_workgroup_processor_mode 1
		.amdhsa_memory_ordered 1
		.amdhsa_forward_progress 0
		.amdhsa_round_robin_scheduling 0
		.amdhsa_exception_fp_ieee_invalid_op 0
		.amdhsa_exception_fp_denorm_src 0
		.amdhsa_exception_fp_ieee_div_zero 0
		.amdhsa_exception_fp_ieee_overflow 0
		.amdhsa_exception_fp_ieee_underflow 0
		.amdhsa_exception_fp_ieee_inexact 0
		.amdhsa_exception_int_div_zero 0
	.end_amdhsa_kernel
	.text
.Lfunc_end9:
	.size	gpu_test_kernel, .Lfunc_end9-gpu_test_kernel
                                        ; -- End function
	.section	.AMDGPU.csdata,"",@progbits
; Kernel info:
; codeLenInByte = 2592
; NumSgprs: 62
; NumVgprs: 82
; ScratchSize: 96
; MemoryBound: 0
; FloatMode: 240
; IeeeMode: 1
; LDSByteSize: 2048 bytes/workgroup (compile time only)
; SGPRBlocks: 7
; VGPRBlocks: 10
; NumSGPRsForWavesPerEU: 62
; NumVGPRsForWavesPerEU: 82
; Occupancy: 16
; WaveLimiterHint : 1
; COMPUTE_PGM_RSRC2:SCRATCH_EN: 1
; COMPUTE_PGM_RSRC2:USER_SGPR: 4
; COMPUTE_PGM_RSRC2:TRAP_HANDLER: 0
; COMPUTE_PGM_RSRC2:TGID_X_EN: 1
; COMPUTE_PGM_RSRC2:TGID_Y_EN: 1
; COMPUTE_PGM_RSRC2:TGID_Z_EN: 1
; COMPUTE_PGM_RSRC2:TIDIG_COMP_CNT: 2
	.text
	.p2alignl 7, 3214868480
	.fill 96, 4, 3214868480
	.type	__PRETTY_FUNCTION__._ZL16array_less_equalRN8migraphx4test12test_managerE,@object ; @__PRETTY_FUNCTION__._ZL16array_less_equalRN8migraphx4test12test_managerE
	.section	.rodata.str1.1,"aMS",@progbits,1
__PRETTY_FUNCTION__._ZL16array_less_equalRN8migraphx4test12test_managerE:
	.asciz	"void array_less_equal(migraphx::test::test_manager &)"
	.size	__PRETTY_FUNCTION__._ZL16array_less_equalRN8migraphx4test12test_managerE, 54

	.type	.str.1,@object                  ; @.str.1
.str.1:
	.asciz	"/root/src/amdgpu-assembly/repos/ROCm__AMDMIGraphX/_shim/test_array_12_shim.cpp"
	.size	.str.1, 79

	.type	.str.3,@object                  ; @.str.3
.str.3:
	.asciz	"not(c <= a)"
	.size	.str.3, 12

	.type	.str.4,@object                  ; @.str.4
.str.4:
	.asciz	"    FAILED: "
	.size	.str.4, 13

	.type	.str.5,@object                  ; @.str.5
.str.5:
	.asciz	" [ "
	.size	.str.5, 4

	.type	.str.6,@object                  ; @.str.6
.str.6:
	.asciz	" ]"
	.size	.str.6, 3

	.type	.str.7,@object                  ; @.str.7
.str.7:
	.asciz	"%s"
	.size	.str.7, 3

	.type	.str.8,@object                  ; @.str.8
.str.8:
	.asciz	"%c"
	.size	.str.8, 3

	.type	.str.9,@object                  ; @.str.9
.str.9:
	.asciz	"%li"
	.size	.str.9, 4

	.type	.str.10,@object                 ; @.str.10
.str.10:
	.asciz	" "
	.size	.str.10, 2

	.type	.str.13,@object                 ; @.str.13
.str.13:
	.asciz	", "
	.size	.str.13, 3

	.type	.str.14,@object                 ; @.str.14
.str.14:
	.asciz	"true"
	.size	.str.14, 5

	.type	.str.15,@object                 ; @.str.15
.str.15:
	.asciz	"false"
	.size	.str.15, 6

	.type	__PRETTY_FUNCTION__._ZL19array_greater_equalRN8migraphx4test12test_managerE,@object ; @__PRETTY_FUNCTION__._ZL19array_greater_equalRN8migraphx4test12test_managerE
__PRETTY_FUNCTION__._ZL19array_greater_equalRN8migraphx4test12test_managerE:
	.asciz	"void array_greater_equal(migraphx::test::test_manager &)"
	.size	__PRETTY_FUNCTION__._ZL19array_greater_equalRN8migraphx4test12test_managerE, 57

	.type	.str.17,@object                 ; @.str.17
.str.17:
	.asciz	"c >= a"
	.size	.str.17, 7

	.type	.str.18,@object                 ; @.str.18
.str.18:
	.asciz	"not(a >= c)"
	.size	.str.18, 12

	.type	.str.19,@object                 ; @.str.19
.str.19:
	.asciz	">="
	.size	.str.19, 3

	.type	__PRETTY_FUNCTION__._ZL18array_carry_methodRN8migraphx4test12test_managerE,@object ; @__PRETTY_FUNCTION__._ZL18array_carry_methodRN8migraphx4test12test_managerE
__PRETTY_FUNCTION__._ZL18array_carry_methodRN8migraphx4test12test_managerE:
	.asciz	"void array_carry_method(migraphx::test::test_manager &)"
	.size	__PRETTY_FUNCTION__._ZL18array_carry_methodRN8migraphx4test12test_managerE, 56

	.type	.str.21,@object                 ; @.str.21
.str.21:
	.asciz	"result[1] == 7"
	.size	.str.21, 15

	.type	.str.22,@object                 ; @.str.22
.str.22:
	.asciz	"result[2] == 5"
	.size	.str.22, 15

	.type	.str.23,@object                 ; @.str.23
.str.23:
	.asciz	"=="
	.size	.str.23, 3

	.type	__PRETTY_FUNCTION__._ZL23array_carry_no_overflowRN8migraphx4test12test_managerE,@object ; @__PRETTY_FUNCTION__._ZL23array_carry_no_overflowRN8migraphx4test12test_managerE
__PRETTY_FUNCTION__._ZL23array_carry_no_overflowRN8migraphx4test12test_managerE:
	.asciz	"void array_carry_no_overflow(migraphx::test::test_manager &)"
	.size	__PRETTY_FUNCTION__._ZL23array_carry_no_overflowRN8migraphx4test12test_managerE, 61

	.type	.str.25,@object                 ; @.str.25
.str.25:
	.asciz	"result[1] == 2"
	.size	.str.25, 15

	.type	.str.26,@object                 ; @.str.26
.str.26:
	.asciz	"result[2] == 3"
	.size	.str.26, 15

	.type	__PRETTY_FUNCTION__._ZL18array_multi_methodRN8migraphx4test12test_managerE,@object ; @__PRETTY_FUNCTION__._ZL18array_multi_methodRN8migraphx4test12test_managerE
__PRETTY_FUNCTION__._ZL18array_multi_methodRN8migraphx4test12test_managerE:
	.asciz	"void array_multi_method(migraphx::test::test_manager &)"
	.size	__PRETTY_FUNCTION__._ZL18array_multi_methodRN8migraphx4test12test_managerE, 56

	.type	__PRETTY_FUNCTION__._ZL18array_multi_simpleRN8migraphx4test12test_managerE,@object ; @__PRETTY_FUNCTION__._ZL18array_multi_simpleRN8migraphx4test12test_managerE
__PRETTY_FUNCTION__._ZL18array_multi_simpleRN8migraphx4test12test_managerE:
	.asciz	"void array_multi_simple(migraphx::test::test_manager &)"
	.size	__PRETTY_FUNCTION__._ZL18array_multi_simpleRN8migraphx4test12test_managerE, 56

	.type	.str.28,@object                 ; @.str.28
.str.28:
	.asciz	"result[1] == 1"
	.size	.str.28, 15

	.type	__hip_cuid_9c903dd0dd85c3af,@object ; @__hip_cuid_9c903dd0dd85c3af
	.section	.bss,"aw",@nobits
	.globl	__hip_cuid_9c903dd0dd85c3af
__hip_cuid_9c903dd0dd85c3af:
	.byte	0                               ; 0x0
	.size	__hip_cuid_9c903dd0dd85c3af, 1

	.ident	"AMD clang version 19.0.0git (https://github.com/RadeonOpenCompute/llvm-project roc-6.4.0 25133 c7fe45cf4b819c5991fe208aaa96edf142730f1d)"
	.section	".note.GNU-stack","",@progbits
	.addrsig
	.addrsig_sym __hip_cuid_9c903dd0dd85c3af
	.amdgpu_metadata
---
amdhsa.kernels:
  - .args:
      - .offset:         0
        .size:           4
        .value_kind:     by_value
      - .address_space:  global
        .offset:         8
        .size:           8
        .value_kind:     global_buffer
      - .offset:         16
        .size:           4
        .value_kind:     hidden_block_count_x
      - .offset:         20
        .size:           4
        .value_kind:     hidden_block_count_y
      - .offset:         24
        .size:           4
        .value_kind:     hidden_block_count_z
      - .offset:         28
        .size:           2
        .value_kind:     hidden_group_size_x
      - .offset:         30
        .size:           2
        .value_kind:     hidden_group_size_y
      - .offset:         32
        .size:           2
        .value_kind:     hidden_group_size_z
      - .offset:         34
        .size:           2
        .value_kind:     hidden_remainder_x
      - .offset:         36
        .size:           2
        .value_kind:     hidden_remainder_y
      - .offset:         38
        .size:           2
        .value_kind:     hidden_remainder_z
      - .offset:         56
        .size:           8
        .value_kind:     hidden_global_offset_x
      - .offset:         64
        .size:           8
        .value_kind:     hidden_global_offset_y
      - .offset:         72
        .size:           8
        .value_kind:     hidden_global_offset_z
      - .offset:         80
        .size:           2
        .value_kind:     hidden_grid_dims
      - .offset:         96
        .size:           8
        .value_kind:     hidden_hostcall_buffer
    .group_segment_fixed_size: 2048
    .kernarg_segment_align: 8
    .kernarg_segment_size: 272
    .language:       OpenCL C
    .language_version:
      - 2
      - 0
    .max_flat_workgroup_size: 1024
    .name:           gpu_test_kernel
    .private_segment_fixed_size: 96
    .sgpr_count:     62
    .sgpr_spill_count: 0
    .symbol:         gpu_test_kernel.kd
    .uniform_work_group_size: 1
    .uses_dynamic_stack: false
    .vgpr_count:     82
    .vgpr_spill_count: 0
    .wavefront_size: 32
    .workgroup_processor_mode: 1
amdhsa.target:   amdgcn-amd-amdhsa--gfx1201
amdhsa.version:
  - 1
  - 2
...

	.end_amdgpu_metadata
